;; amdgpu-corpus repo=ROCm/rccl kind=compiled arch=gfx1030 opt=O3
	.amdgcn_target "amdgcn-amd-amdhsa--gfx1030"
	.amdhsa_code_object_version 6
	.text
	.p2align	2                               ; -- Begin function __ockl_fprintf_append_string_n
	.type	__ockl_fprintf_append_string_n,@function
__ockl_fprintf_append_string_n:         ; @__ockl_fprintf_append_string_n
; %bb.0:
	s_waitcnt vmcnt(0) expcnt(0) lgkmcnt(0)
	v_or_b32_e32 v2, 2, v0
	v_cmp_eq_u32_e32 vcc_lo, 0, v6
	v_mbcnt_lo_u32_b32 v35, -1, 0
	s_getpc_b64 s[4:5]
	s_add_u32 s4, s4, .str.3@rel32@lo+4
	s_addc_u32 s5, s5, .str.3@rel32@hi+12
	s_mov_b32 s14, 0
	s_cmp_lg_u64 s[4:5], 0
	v_cndmask_b32_e32 v34, v2, v0, vcc_lo
	s_cbranch_scc0 .LBB0_113
; %bb.1:
	s_load_dwordx2 s[6:7], s[8:9], 0x50
	v_and_b32_e32 v0, -3, v34
	s_getpc_b64 s[4:5]
	s_add_u32 s4, s4, .str.3@rel32@lo+4
	s_addc_u32 s5, s5, .str.3@rel32@hi+12
	v_mov_b32_e32 v11, v1
	v_mov_b32_e32 v2, s4
	v_and_b32_e32 v36, 2, v34
	v_mov_b32_e32 v7, 0
	v_mov_b32_e32 v3, s5
	;; [unrolled: 1-line block ×5, first 2 shown]
	s_mov_b32 s15, 0
	s_branch .LBB0_3
.LBB0_2:                                ;   in Loop: Header=BB0_3 Depth=1
	s_or_b32 exec_lo, exec_lo, s12
	v_sub_co_u32 v4, vcc_lo, v4, v30
	v_sub_co_ci_u32_e64 v5, null, v5, v31, vcc_lo
	v_add_co_u32 v2, s4, v2, v30
	v_add_co_ci_u32_e64 v3, null, v3, v31, s4
	v_cmp_eq_u64_e32 vcc_lo, 0, v[4:5]
	s_or_b32 s15, vcc_lo, s15
	s_andn2_b32 exec_lo, exec_lo, s15
	s_cbranch_execz .LBB0_85
.LBB0_3:                                ; =>This Loop Header: Depth=1
                                        ;     Child Loop BB0_6 Depth 2
                                        ;     Child Loop BB0_14 Depth 2
	;; [unrolled: 1-line block ×11, first 2 shown]
	v_cmp_gt_u64_e32 vcc_lo, 56, v[4:5]
	s_mov_b32 s5, exec_lo
	v_cndmask_b32_e32 v31, 0, v5, vcc_lo
	v_cndmask_b32_e32 v30, 56, v4, vcc_lo
	v_add_co_u32 v16, vcc_lo, v2, 8
	v_add_co_ci_u32_e64 v17, null, 0, v3, vcc_lo
	v_cmpx_gt_u64_e32 8, v[4:5]
	s_xor_b32 s5, exec_lo, s5
	s_cbranch_execz .LBB0_9
; %bb.4:                                ;   in Loop: Header=BB0_3 Depth=1
	s_waitcnt vmcnt(0)
	v_mov_b32_e32 v12, 0
	v_mov_b32_e32 v13, 0
	s_mov_b32 s12, exec_lo
	v_cmpx_ne_u64_e32 0, v[4:5]
	s_cbranch_execz .LBB0_8
; %bb.5:                                ;   in Loop: Header=BB0_3 Depth=1
	v_lshlrev_b64 v[14:15], 3, v[30:31]
	v_mov_b32_e32 v12, 0
	v_mov_b32_e32 v16, v3
	;; [unrolled: 1-line block ×4, first 2 shown]
	s_mov_b64 s[10:11], 0
	s_mov_b32 s13, 0
	.p2align	6
.LBB0_6:                                ;   Parent Loop BB0_3 Depth=1
                                        ; =>  This Inner Loop Header: Depth=2
	global_load_ubyte v0, v[15:16], off
	v_mov_b32_e32 v18, s14
	v_add_co_u32 v15, vcc_lo, v15, 1
	v_add_co_ci_u32_e64 v16, null, 0, v16, vcc_lo
	s_waitcnt vmcnt(0)
	v_and_b32_e32 v17, 0xffff, v0
	v_lshlrev_b64 v[17:18], s10, v[17:18]
	s_add_u32 s10, s10, 8
	s_addc_u32 s11, s11, 0
	v_cmp_eq_u32_e64 s4, s10, v14
	v_or_b32_e32 v13, v18, v13
	v_or_b32_e32 v12, v17, v12
	s_or_b32 s13, s4, s13
	s_andn2_b32 exec_lo, exec_lo, s13
	s_cbranch_execnz .LBB0_6
; %bb.7:                                ;   in Loop: Header=BB0_3 Depth=1
	s_or_b32 exec_lo, exec_lo, s13
.LBB0_8:                                ;   in Loop: Header=BB0_3 Depth=1
	s_or_b32 exec_lo, exec_lo, s12
	v_mov_b32_e32 v17, v3
	v_mov_b32_e32 v16, v2
.LBB0_9:                                ;   in Loop: Header=BB0_3 Depth=1
	s_or_saveexec_b32 s4, s5
	v_mov_b32_e32 v0, 0
	s_xor_b32 exec_lo, exec_lo, s4
	s_cbranch_execz .LBB0_11
; %bb.10:                               ;   in Loop: Header=BB0_3 Depth=1
	global_load_dwordx2 v[12:13], v[2:3], off
	v_add_nc_u32_e32 v0, -8, v30
.LBB0_11:                               ;   in Loop: Header=BB0_3 Depth=1
	s_or_b32 exec_lo, exec_lo, s4
	v_add_co_u32 v18, s4, v16, 8
	v_add_co_ci_u32_e64 v19, null, 0, v17, s4
                                        ; implicit-def: $vgpr14_vgpr15
	s_mov_b32 s4, exec_lo
	v_cmpx_gt_u32_e32 8, v0
	s_xor_b32 s12, exec_lo, s4
	s_cbranch_execz .LBB0_17
; %bb.12:                               ;   in Loop: Header=BB0_3 Depth=1
	v_mov_b32_e32 v14, 0
	v_mov_b32_e32 v15, 0
	s_mov_b32 s13, exec_lo
	v_cmpx_ne_u32_e32 0, v0
	s_cbranch_execz .LBB0_16
; %bb.13:                               ;   in Loop: Header=BB0_3 Depth=1
	v_mov_b32_e32 v14, 0
	v_mov_b32_e32 v15, 0
	s_mov_b64 s[4:5], 0
	s_mov_b32 s16, 0
	s_mov_b64 s[10:11], 0
	.p2align	6
.LBB0_14:                               ;   Parent Loop BB0_3 Depth=1
                                        ; =>  This Inner Loop Header: Depth=2
	v_add_co_u32 v18, vcc_lo, v16, s10
	v_add_co_ci_u32_e64 v19, null, s11, v17, vcc_lo
	s_add_u32 s10, s10, 1
	s_addc_u32 s11, s11, 0
	v_cmp_eq_u32_e32 vcc_lo, s10, v0
	global_load_ubyte v6, v[18:19], off
	v_mov_b32_e32 v19, s14
	s_waitcnt vmcnt(0)
	v_and_b32_e32 v18, 0xffff, v6
	v_lshlrev_b64 v[18:19], s4, v[18:19]
	s_add_u32 s4, s4, 8
	s_addc_u32 s5, s5, 0
	s_or_b32 s16, vcc_lo, s16
	v_or_b32_e32 v15, v19, v15
	v_or_b32_e32 v14, v18, v14
	s_andn2_b32 exec_lo, exec_lo, s16
	s_cbranch_execnz .LBB0_14
; %bb.15:                               ;   in Loop: Header=BB0_3 Depth=1
	s_or_b32 exec_lo, exec_lo, s16
.LBB0_16:                               ;   in Loop: Header=BB0_3 Depth=1
	s_or_b32 exec_lo, exec_lo, s13
	v_mov_b32_e32 v19, v17
	v_mov_b32_e32 v18, v16
                                        ; implicit-def: $vgpr0
.LBB0_17:                               ;   in Loop: Header=BB0_3 Depth=1
	s_or_saveexec_b32 s4, s12
	v_mov_b32_e32 v6, 0
	s_xor_b32 exec_lo, exec_lo, s4
	s_cbranch_execz .LBB0_19
; %bb.18:                               ;   in Loop: Header=BB0_3 Depth=1
	global_load_dwordx2 v[14:15], v[16:17], off
	v_add_nc_u32_e32 v6, -8, v0
.LBB0_19:                               ;   in Loop: Header=BB0_3 Depth=1
	s_or_b32 exec_lo, exec_lo, s4
	v_add_co_u32 v20, s4, v18, 8
	v_add_co_ci_u32_e64 v21, null, 0, v19, s4
	s_mov_b32 s4, exec_lo
	v_cmpx_gt_u32_e32 8, v6
	s_xor_b32 s12, exec_lo, s4
	s_cbranch_execz .LBB0_25
; %bb.20:                               ;   in Loop: Header=BB0_3 Depth=1
	v_mov_b32_e32 v16, 0
	v_mov_b32_e32 v17, 0
	s_mov_b32 s13, exec_lo
	v_cmpx_ne_u32_e32 0, v6
	s_cbranch_execz .LBB0_24
; %bb.21:                               ;   in Loop: Header=BB0_3 Depth=1
	v_mov_b32_e32 v16, 0
	v_mov_b32_e32 v17, 0
	s_mov_b64 s[4:5], 0
	s_mov_b32 s16, 0
	s_mov_b64 s[10:11], 0
	.p2align	6
.LBB0_22:                               ;   Parent Loop BB0_3 Depth=1
                                        ; =>  This Inner Loop Header: Depth=2
	v_add_co_u32 v20, vcc_lo, v18, s10
	v_add_co_ci_u32_e64 v21, null, s11, v19, vcc_lo
	s_add_u32 s10, s10, 1
	s_addc_u32 s11, s11, 0
	v_cmp_eq_u32_e32 vcc_lo, s10, v6
	global_load_ubyte v0, v[20:21], off
	v_mov_b32_e32 v21, s14
	s_waitcnt vmcnt(0)
	v_and_b32_e32 v20, 0xffff, v0
	v_lshlrev_b64 v[20:21], s4, v[20:21]
	s_add_u32 s4, s4, 8
	s_addc_u32 s5, s5, 0
	s_or_b32 s16, vcc_lo, s16
	v_or_b32_e32 v17, v21, v17
	v_or_b32_e32 v16, v20, v16
	s_andn2_b32 exec_lo, exec_lo, s16
	s_cbranch_execnz .LBB0_22
; %bb.23:                               ;   in Loop: Header=BB0_3 Depth=1
	s_or_b32 exec_lo, exec_lo, s16
.LBB0_24:                               ;   in Loop: Header=BB0_3 Depth=1
	s_or_b32 exec_lo, exec_lo, s13
	v_mov_b32_e32 v21, v19
	v_mov_b32_e32 v20, v18
                                        ; implicit-def: $vgpr6
.LBB0_25:                               ;   in Loop: Header=BB0_3 Depth=1
	s_or_saveexec_b32 s4, s12
	v_mov_b32_e32 v0, 0
	s_xor_b32 exec_lo, exec_lo, s4
	s_cbranch_execz .LBB0_27
; %bb.26:                               ;   in Loop: Header=BB0_3 Depth=1
	global_load_dwordx2 v[16:17], v[18:19], off
	v_add_nc_u32_e32 v0, -8, v6
.LBB0_27:                               ;   in Loop: Header=BB0_3 Depth=1
	s_or_b32 exec_lo, exec_lo, s4
	v_add_co_u32 v22, s4, v20, 8
	v_add_co_ci_u32_e64 v23, null, 0, v21, s4
                                        ; implicit-def: $vgpr18_vgpr19
	s_mov_b32 s4, exec_lo
	v_cmpx_gt_u32_e32 8, v0
	s_xor_b32 s12, exec_lo, s4
	s_cbranch_execz .LBB0_33
; %bb.28:                               ;   in Loop: Header=BB0_3 Depth=1
	v_mov_b32_e32 v18, 0
	v_mov_b32_e32 v19, 0
	s_mov_b32 s13, exec_lo
	v_cmpx_ne_u32_e32 0, v0
	s_cbranch_execz .LBB0_32
; %bb.29:                               ;   in Loop: Header=BB0_3 Depth=1
	v_mov_b32_e32 v18, 0
	v_mov_b32_e32 v19, 0
	s_mov_b64 s[4:5], 0
	s_mov_b32 s16, 0
	s_mov_b64 s[10:11], 0
	.p2align	6
.LBB0_30:                               ;   Parent Loop BB0_3 Depth=1
                                        ; =>  This Inner Loop Header: Depth=2
	v_add_co_u32 v22, vcc_lo, v20, s10
	v_add_co_ci_u32_e64 v23, null, s11, v21, vcc_lo
	s_add_u32 s10, s10, 1
	s_addc_u32 s11, s11, 0
	v_cmp_eq_u32_e32 vcc_lo, s10, v0
	global_load_ubyte v6, v[22:23], off
	v_mov_b32_e32 v23, s14
	s_waitcnt vmcnt(0)
	v_and_b32_e32 v22, 0xffff, v6
	v_lshlrev_b64 v[22:23], s4, v[22:23]
	s_add_u32 s4, s4, 8
	s_addc_u32 s5, s5, 0
	s_or_b32 s16, vcc_lo, s16
	v_or_b32_e32 v19, v23, v19
	v_or_b32_e32 v18, v22, v18
	s_andn2_b32 exec_lo, exec_lo, s16
	s_cbranch_execnz .LBB0_30
; %bb.31:                               ;   in Loop: Header=BB0_3 Depth=1
	s_or_b32 exec_lo, exec_lo, s16
.LBB0_32:                               ;   in Loop: Header=BB0_3 Depth=1
	s_or_b32 exec_lo, exec_lo, s13
	v_mov_b32_e32 v23, v21
	v_mov_b32_e32 v22, v20
                                        ; implicit-def: $vgpr0
.LBB0_33:                               ;   in Loop: Header=BB0_3 Depth=1
	s_or_saveexec_b32 s4, s12
	v_mov_b32_e32 v6, 0
	s_xor_b32 exec_lo, exec_lo, s4
	s_cbranch_execz .LBB0_35
; %bb.34:                               ;   in Loop: Header=BB0_3 Depth=1
	global_load_dwordx2 v[18:19], v[20:21], off
	v_add_nc_u32_e32 v6, -8, v0
.LBB0_35:                               ;   in Loop: Header=BB0_3 Depth=1
	s_or_b32 exec_lo, exec_lo, s4
	v_add_co_u32 v24, s4, v22, 8
	v_add_co_ci_u32_e64 v25, null, 0, v23, s4
	s_mov_b32 s4, exec_lo
	v_cmpx_gt_u32_e32 8, v6
	s_xor_b32 s12, exec_lo, s4
	s_cbranch_execz .LBB0_41
; %bb.36:                               ;   in Loop: Header=BB0_3 Depth=1
	v_mov_b32_e32 v20, 0
	v_mov_b32_e32 v21, 0
	s_mov_b32 s13, exec_lo
	v_cmpx_ne_u32_e32 0, v6
	s_cbranch_execz .LBB0_40
; %bb.37:                               ;   in Loop: Header=BB0_3 Depth=1
	v_mov_b32_e32 v20, 0
	v_mov_b32_e32 v21, 0
	s_mov_b64 s[4:5], 0
	s_mov_b32 s16, 0
	s_mov_b64 s[10:11], 0
	.p2align	6
.LBB0_38:                               ;   Parent Loop BB0_3 Depth=1
                                        ; =>  This Inner Loop Header: Depth=2
	v_add_co_u32 v24, vcc_lo, v22, s10
	v_add_co_ci_u32_e64 v25, null, s11, v23, vcc_lo
	s_add_u32 s10, s10, 1
	s_addc_u32 s11, s11, 0
	v_cmp_eq_u32_e32 vcc_lo, s10, v6
	global_load_ubyte v0, v[24:25], off
	v_mov_b32_e32 v25, s14
	s_waitcnt vmcnt(0)
	v_and_b32_e32 v24, 0xffff, v0
	v_lshlrev_b64 v[24:25], s4, v[24:25]
	s_add_u32 s4, s4, 8
	s_addc_u32 s5, s5, 0
	s_or_b32 s16, vcc_lo, s16
	v_or_b32_e32 v21, v25, v21
	v_or_b32_e32 v20, v24, v20
	s_andn2_b32 exec_lo, exec_lo, s16
	s_cbranch_execnz .LBB0_38
; %bb.39:                               ;   in Loop: Header=BB0_3 Depth=1
	s_or_b32 exec_lo, exec_lo, s16
.LBB0_40:                               ;   in Loop: Header=BB0_3 Depth=1
	s_or_b32 exec_lo, exec_lo, s13
	v_mov_b32_e32 v25, v23
	v_mov_b32_e32 v24, v22
                                        ; implicit-def: $vgpr6
.LBB0_41:                               ;   in Loop: Header=BB0_3 Depth=1
	s_or_saveexec_b32 s4, s12
	v_mov_b32_e32 v0, 0
	s_xor_b32 exec_lo, exec_lo, s4
	s_cbranch_execz .LBB0_43
; %bb.42:                               ;   in Loop: Header=BB0_3 Depth=1
	global_load_dwordx2 v[20:21], v[22:23], off
	v_add_nc_u32_e32 v0, -8, v6
.LBB0_43:                               ;   in Loop: Header=BB0_3 Depth=1
	s_or_b32 exec_lo, exec_lo, s4
	v_add_co_u32 v26, s4, v24, 8
	v_add_co_ci_u32_e64 v27, null, 0, v25, s4
                                        ; implicit-def: $vgpr22_vgpr23
	s_mov_b32 s4, exec_lo
	v_cmpx_gt_u32_e32 8, v0
	s_xor_b32 s12, exec_lo, s4
	s_cbranch_execz .LBB0_49
; %bb.44:                               ;   in Loop: Header=BB0_3 Depth=1
	v_mov_b32_e32 v22, 0
	v_mov_b32_e32 v23, 0
	s_mov_b32 s13, exec_lo
	v_cmpx_ne_u32_e32 0, v0
	s_cbranch_execz .LBB0_48
; %bb.45:                               ;   in Loop: Header=BB0_3 Depth=1
	v_mov_b32_e32 v22, 0
	v_mov_b32_e32 v23, 0
	s_mov_b64 s[4:5], 0
	s_mov_b32 s16, 0
	s_mov_b64 s[10:11], 0
	.p2align	6
.LBB0_46:                               ;   Parent Loop BB0_3 Depth=1
                                        ; =>  This Inner Loop Header: Depth=2
	v_add_co_u32 v26, vcc_lo, v24, s10
	v_add_co_ci_u32_e64 v27, null, s11, v25, vcc_lo
	s_add_u32 s10, s10, 1
	s_addc_u32 s11, s11, 0
	v_cmp_eq_u32_e32 vcc_lo, s10, v0
	global_load_ubyte v6, v[26:27], off
	v_mov_b32_e32 v27, s14
	s_waitcnt vmcnt(0)
	v_and_b32_e32 v26, 0xffff, v6
	v_lshlrev_b64 v[26:27], s4, v[26:27]
	s_add_u32 s4, s4, 8
	s_addc_u32 s5, s5, 0
	s_or_b32 s16, vcc_lo, s16
	v_or_b32_e32 v23, v27, v23
	v_or_b32_e32 v22, v26, v22
	s_andn2_b32 exec_lo, exec_lo, s16
	s_cbranch_execnz .LBB0_46
; %bb.47:                               ;   in Loop: Header=BB0_3 Depth=1
	s_or_b32 exec_lo, exec_lo, s16
.LBB0_48:                               ;   in Loop: Header=BB0_3 Depth=1
	s_or_b32 exec_lo, exec_lo, s13
	v_mov_b32_e32 v27, v25
	v_mov_b32_e32 v26, v24
                                        ; implicit-def: $vgpr0
.LBB0_49:                               ;   in Loop: Header=BB0_3 Depth=1
	s_or_saveexec_b32 s4, s12
	v_mov_b32_e32 v6, 0
	s_xor_b32 exec_lo, exec_lo, s4
	s_cbranch_execz .LBB0_51
; %bb.50:                               ;   in Loop: Header=BB0_3 Depth=1
	global_load_dwordx2 v[22:23], v[24:25], off
	v_add_nc_u32_e32 v6, -8, v0
.LBB0_51:                               ;   in Loop: Header=BB0_3 Depth=1
	s_or_b32 exec_lo, exec_lo, s4
	s_mov_b32 s4, exec_lo
	v_cmpx_gt_u32_e32 8, v6
	s_xor_b32 s10, exec_lo, s4
	s_cbranch_execz .LBB0_57
; %bb.52:                               ;   in Loop: Header=BB0_3 Depth=1
	v_mov_b32_e32 v24, 0
	v_mov_b32_e32 v25, 0
	s_mov_b32 s11, exec_lo
	v_cmpx_ne_u32_e32 0, v6
	s_cbranch_execz .LBB0_56
; %bb.53:                               ;   in Loop: Header=BB0_3 Depth=1
	v_mov_b32_e32 v24, 0
	v_mov_b32_e32 v25, 0
	s_mov_b64 s[4:5], 0
	s_mov_b32 s12, 0
	.p2align	6
.LBB0_54:                               ;   Parent Loop BB0_3 Depth=1
                                        ; =>  This Inner Loop Header: Depth=2
	global_load_ubyte v0, v[26:27], off
	v_mov_b32_e32 v29, s14
	v_add_nc_u32_e32 v6, -1, v6
	v_add_co_u32 v26, vcc_lo, v26, 1
	v_add_co_ci_u32_e64 v27, null, 0, v27, vcc_lo
	v_cmp_eq_u32_e32 vcc_lo, 0, v6
	s_waitcnt vmcnt(0)
	v_and_b32_e32 v28, 0xffff, v0
	v_lshlrev_b64 v[28:29], s4, v[28:29]
	s_add_u32 s4, s4, 8
	s_addc_u32 s5, s5, 0
	s_or_b32 s12, vcc_lo, s12
	v_or_b32_e32 v25, v29, v25
	v_or_b32_e32 v24, v28, v24
	s_andn2_b32 exec_lo, exec_lo, s12
	s_cbranch_execnz .LBB0_54
; %bb.55:                               ;   in Loop: Header=BB0_3 Depth=1
	s_or_b32 exec_lo, exec_lo, s12
.LBB0_56:                               ;   in Loop: Header=BB0_3 Depth=1
	s_or_b32 exec_lo, exec_lo, s11
                                        ; implicit-def: $vgpr26_vgpr27
.LBB0_57:                               ;   in Loop: Header=BB0_3 Depth=1
	s_andn2_saveexec_b32 s4, s10
	s_cbranch_execz .LBB0_59
; %bb.58:                               ;   in Loop: Header=BB0_3 Depth=1
	global_load_dwordx2 v[24:25], v[26:27], off
.LBB0_59:                               ;   in Loop: Header=BB0_3 Depth=1
	s_or_b32 exec_lo, exec_lo, s4
	v_readfirstlane_b32 s4, v35
	v_mov_b32_e32 v32, 0
	v_mov_b32_e32 v33, 0
	v_cmp_eq_u32_e64 s4, s4, v35
	s_and_saveexec_b32 s5, s4
	s_cbranch_execz .LBB0_65
; %bb.60:                               ;   in Loop: Header=BB0_3 Depth=1
	s_waitcnt lgkmcnt(0)
	global_load_dwordx2 v[28:29], v7, s[6:7] offset:24 glc dlc
	s_waitcnt vmcnt(0)
	buffer_gl1_inv
	buffer_gl0_inv
	s_clause 0x1
	global_load_dwordx2 v[26:27], v7, s[6:7] offset:40
	global_load_dwordx2 v[32:33], v7, s[6:7]
	s_mov_b32 s10, exec_lo
	s_waitcnt vmcnt(1)
	v_and_b32_e32 v0, v27, v29
	v_and_b32_e32 v6, v26, v28
	v_mul_lo_u32 v0, v0, 24
	v_mul_hi_u32 v26, v6, 24
	v_mul_lo_u32 v6, v6, 24
	v_add_nc_u32_e32 v0, v26, v0
	s_waitcnt vmcnt(0)
	v_add_co_u32 v26, vcc_lo, v32, v6
	v_add_co_ci_u32_e64 v27, null, v33, v0, vcc_lo
	global_load_dwordx2 v[26:27], v[26:27], off glc dlc
	s_waitcnt vmcnt(0)
	global_atomic_cmpswap_x2 v[32:33], v7, v[26:29], s[6:7] offset:24 glc
	s_waitcnt vmcnt(0)
	buffer_gl1_inv
	buffer_gl0_inv
	v_cmpx_ne_u64_e64 v[32:33], v[28:29]
	s_cbranch_execz .LBB0_64
; %bb.61:                               ;   in Loop: Header=BB0_3 Depth=1
	s_mov_b32 s11, 0
	.p2align	6
.LBB0_62:                               ;   Parent Loop BB0_3 Depth=1
                                        ; =>  This Inner Loop Header: Depth=2
	s_sleep 1
	s_clause 0x1
	global_load_dwordx2 v[26:27], v7, s[6:7] offset:40
	global_load_dwordx2 v[37:38], v7, s[6:7]
	v_mov_b32_e32 v28, v32
	v_mov_b32_e32 v29, v33
	s_waitcnt vmcnt(1)
	v_and_b32_e32 v0, v26, v28
	v_and_b32_e32 v6, v27, v29
	s_waitcnt vmcnt(0)
	v_mad_u64_u32 v[32:33], null, v0, 24, v[37:38]
	v_mov_b32_e32 v0, v33
	v_mad_u64_u32 v[26:27], null, v6, 24, v[0:1]
	v_mov_b32_e32 v33, v26
	global_load_dwordx2 v[26:27], v[32:33], off glc dlc
	s_waitcnt vmcnt(0)
	global_atomic_cmpswap_x2 v[32:33], v7, v[26:29], s[6:7] offset:24 glc
	s_waitcnt vmcnt(0)
	buffer_gl1_inv
	buffer_gl0_inv
	v_cmp_eq_u64_e32 vcc_lo, v[32:33], v[28:29]
	s_or_b32 s11, vcc_lo, s11
	s_andn2_b32 exec_lo, exec_lo, s11
	s_cbranch_execnz .LBB0_62
; %bb.63:                               ;   in Loop: Header=BB0_3 Depth=1
	s_or_b32 exec_lo, exec_lo, s11
.LBB0_64:                               ;   in Loop: Header=BB0_3 Depth=1
	s_or_b32 exec_lo, exec_lo, s10
.LBB0_65:                               ;   in Loop: Header=BB0_3 Depth=1
	s_or_b32 exec_lo, exec_lo, s5
	s_waitcnt lgkmcnt(0)
	s_clause 0x1
	global_load_dwordx2 v[37:38], v7, s[6:7] offset:40
	global_load_dwordx4 v[26:29], v7, s[6:7]
	v_readfirstlane_b32 s11, v33
	v_readfirstlane_b32 s10, v32
	s_mov_b32 s5, exec_lo
	s_waitcnt vmcnt(1)
	v_readfirstlane_b32 s12, v37
	v_readfirstlane_b32 s13, v38
	s_and_b64 s[12:13], s[12:13], s[10:11]
	s_mul_i32 s16, s13, 24
	s_mul_hi_u32 s17, s12, 24
	s_mul_i32 s18, s12, 24
	s_add_i32 s17, s17, s16
	s_waitcnt vmcnt(0)
	v_add_co_u32 v32, vcc_lo, v26, s18
	v_add_co_ci_u32_e64 v33, null, s17, v27, vcc_lo
	s_and_saveexec_b32 s16, s4
	s_cbranch_execz .LBB0_67
; %bb.66:                               ;   in Loop: Header=BB0_3 Depth=1
	v_mov_b32_e32 v6, s5
	global_store_dwordx4 v[32:33], v[6:9], off offset:8
.LBB0_67:                               ;   in Loop: Header=BB0_3 Depth=1
	s_or_b32 exec_lo, exec_lo, s16
	v_cmp_gt_u64_e32 vcc_lo, 57, v[4:5]
	s_lshl_b64 s[12:13], s[12:13], 12
	v_and_b32_e32 v10, 0xffffff1f, v10
	v_lshl_add_u32 v37, v30, 2, 28
	v_cndmask_b32_e32 v6, 0, v36, vcc_lo
	v_add_co_u32 v0, vcc_lo, v28, s12
	v_add_co_ci_u32_e64 v28, null, s13, v29, vcc_lo
	v_or_b32_e32 v6, v10, v6
	v_lshlrev_b32_e32 v29, 6, v35
	v_readfirstlane_b32 s12, v0
	v_readfirstlane_b32 s13, v28
	v_and_or_b32 v10, 0x1e0, v37, v6
	global_store_dwordx4 v29, v[14:17], s[12:13] offset:16
	global_store_dwordx4 v29, v[10:13], s[12:13]
	global_store_dwordx4 v29, v[18:21], s[12:13] offset:32
	global_store_dwordx4 v29, v[22:25], s[12:13] offset:48
	s_and_saveexec_b32 s5, s4
	s_cbranch_execz .LBB0_75
; %bb.68:                               ;   in Loop: Header=BB0_3 Depth=1
	s_clause 0x1
	global_load_dwordx2 v[18:19], v7, s[6:7] offset:32 glc dlc
	global_load_dwordx2 v[10:11], v7, s[6:7] offset:40
	v_mov_b32_e32 v16, s10
	v_mov_b32_e32 v17, s11
	s_waitcnt vmcnt(0)
	v_readfirstlane_b32 s12, v10
	v_readfirstlane_b32 s13, v11
	s_and_b64 s[12:13], s[12:13], s[10:11]
	s_mul_i32 s13, s13, 24
	s_mul_hi_u32 s16, s12, 24
	s_mul_i32 s12, s12, 24
	s_add_i32 s16, s16, s13
	v_add_co_u32 v14, vcc_lo, v26, s12
	v_add_co_ci_u32_e64 v15, null, s16, v27, vcc_lo
	s_mov_b32 s12, exec_lo
	global_store_dwordx2 v[14:15], v[18:19], off
	s_waitcnt_vscnt null, 0x0
	global_atomic_cmpswap_x2 v[12:13], v7, v[16:19], s[6:7] offset:32 glc
	s_waitcnt vmcnt(0)
	v_cmpx_ne_u64_e64 v[12:13], v[18:19]
	s_cbranch_execz .LBB0_71
; %bb.69:                               ;   in Loop: Header=BB0_3 Depth=1
	s_mov_b32 s13, 0
.LBB0_70:                               ;   Parent Loop BB0_3 Depth=1
                                        ; =>  This Inner Loop Header: Depth=2
	v_mov_b32_e32 v10, s10
	v_mov_b32_e32 v11, s11
	s_sleep 1
	global_store_dwordx2 v[14:15], v[12:13], off
	s_waitcnt_vscnt null, 0x0
	global_atomic_cmpswap_x2 v[10:11], v7, v[10:13], s[6:7] offset:32 glc
	s_waitcnt vmcnt(0)
	v_cmp_eq_u64_e32 vcc_lo, v[10:11], v[12:13]
	v_mov_b32_e32 v13, v11
	v_mov_b32_e32 v12, v10
	s_or_b32 s13, vcc_lo, s13
	s_andn2_b32 exec_lo, exec_lo, s13
	s_cbranch_execnz .LBB0_70
.LBB0_71:                               ;   in Loop: Header=BB0_3 Depth=1
	s_or_b32 exec_lo, exec_lo, s12
	global_load_dwordx2 v[10:11], v7, s[6:7] offset:16
	s_mov_b32 s13, exec_lo
	s_mov_b32 s12, exec_lo
	v_mbcnt_lo_u32_b32 v6, s13, 0
	v_cmpx_eq_u32_e32 0, v6
	s_cbranch_execz .LBB0_73
; %bb.72:                               ;   in Loop: Header=BB0_3 Depth=1
	s_bcnt1_i32_b32 s13, s13
	v_mov_b32_e32 v6, s13
	s_waitcnt vmcnt(0)
	global_atomic_add_x2 v[10:11], v[6:7], off offset:8
.LBB0_73:                               ;   in Loop: Header=BB0_3 Depth=1
	s_or_b32 exec_lo, exec_lo, s12
	s_waitcnt vmcnt(0)
	global_load_dwordx2 v[12:13], v[10:11], off offset:16
	s_waitcnt vmcnt(0)
	v_cmp_eq_u64_e32 vcc_lo, 0, v[12:13]
	s_cbranch_vccnz .LBB0_75
; %bb.74:                               ;   in Loop: Header=BB0_3 Depth=1
	global_load_dword v6, v[10:11], off offset:24
	s_waitcnt vmcnt(0)
	v_readfirstlane_b32 s12, v6
	s_waitcnt_vscnt null, 0x0
	global_store_dwordx2 v[12:13], v[6:7], off
	s_and_b32 m0, s12, 0x7fffff
	s_sendmsg sendmsg(MSG_INTERRUPT)
.LBB0_75:                               ;   in Loop: Header=BB0_3 Depth=1
	s_or_b32 exec_lo, exec_lo, s5
	v_add_co_u32 v10, vcc_lo, v0, v29
	v_add_co_ci_u32_e64 v11, null, 0, v28, vcc_lo
	s_branch .LBB0_79
	.p2align	6
.LBB0_76:                               ;   in Loop: Header=BB0_79 Depth=2
	s_or_b32 exec_lo, exec_lo, s5
	v_readfirstlane_b32 s5, v0
	s_cmp_eq_u32 s5, 0
	s_cbranch_scc1 .LBB0_78
; %bb.77:                               ;   in Loop: Header=BB0_79 Depth=2
	s_sleep 1
	s_cbranch_execnz .LBB0_79
	s_branch .LBB0_81
	.p2align	6
.LBB0_78:                               ;   in Loop: Header=BB0_3 Depth=1
	s_branch .LBB0_81
.LBB0_79:                               ;   Parent Loop BB0_3 Depth=1
                                        ; =>  This Inner Loop Header: Depth=2
	v_mov_b32_e32 v0, 1
	s_and_saveexec_b32 s5, s4
	s_cbranch_execz .LBB0_76
; %bb.80:                               ;   in Loop: Header=BB0_79 Depth=2
	global_load_dword v0, v[32:33], off offset:20 glc dlc
	s_waitcnt vmcnt(0)
	buffer_gl1_inv
	buffer_gl0_inv
	v_and_b32_e32 v0, 1, v0
	s_branch .LBB0_76
.LBB0_81:                               ;   in Loop: Header=BB0_3 Depth=1
	global_load_dwordx4 v[10:13], v[10:11], off
	s_and_saveexec_b32 s12, s4
	s_cbranch_execz .LBB0_2
; %bb.82:                               ;   in Loop: Header=BB0_3 Depth=1
	s_clause 0x2
	global_load_dwordx2 v[12:13], v7, s[6:7] offset:40
	global_load_dwordx2 v[20:21], v7, s[6:7] offset:24 glc dlc
	global_load_dwordx2 v[14:15], v7, s[6:7]
	s_waitcnt vmcnt(2)
	v_readfirstlane_b32 s16, v12
	v_readfirstlane_b32 s17, v13
	s_add_u32 s13, s16, 1
	s_addc_u32 s18, s17, 0
	s_add_u32 s4, s13, s10
	s_addc_u32 s5, s18, s11
	s_cmp_eq_u64 s[4:5], 0
	s_cselect_b32 s5, s18, s5
	s_cselect_b32 s4, s13, s4
	v_mov_b32_e32 v19, s5
	s_and_b64 s[10:11], s[4:5], s[16:17]
	v_mov_b32_e32 v18, s4
	s_mul_i32 s11, s11, 24
	s_mul_hi_u32 s13, s10, 24
	s_mul_i32 s10, s10, 24
	s_add_i32 s13, s13, s11
	s_waitcnt vmcnt(0)
	v_add_co_u32 v16, vcc_lo, v14, s10
	v_add_co_ci_u32_e64 v17, null, s13, v15, vcc_lo
	global_store_dwordx2 v[16:17], v[20:21], off
	s_waitcnt_vscnt null, 0x0
	global_atomic_cmpswap_x2 v[14:15], v7, v[18:21], s[6:7] offset:24 glc
	s_waitcnt vmcnt(0)
	v_cmp_ne_u64_e32 vcc_lo, v[14:15], v[20:21]
	s_and_b32 exec_lo, exec_lo, vcc_lo
	s_cbranch_execz .LBB0_2
; %bb.83:                               ;   in Loop: Header=BB0_3 Depth=1
	s_mov_b32 s10, 0
.LBB0_84:                               ;   Parent Loop BB0_3 Depth=1
                                        ; =>  This Inner Loop Header: Depth=2
	v_mov_b32_e32 v12, s4
	v_mov_b32_e32 v13, s5
	s_sleep 1
	global_store_dwordx2 v[16:17], v[14:15], off
	s_waitcnt_vscnt null, 0x0
	global_atomic_cmpswap_x2 v[12:13], v7, v[12:15], s[6:7] offset:24 glc
	s_waitcnt vmcnt(0)
	v_cmp_eq_u64_e32 vcc_lo, v[12:13], v[14:15]
	v_mov_b32_e32 v15, v13
	v_mov_b32_e32 v14, v12
	s_or_b32 s10, vcc_lo, s10
	s_andn2_b32 exec_lo, exec_lo, s10
	s_cbranch_execnz .LBB0_84
	s_branch .LBB0_2
.LBB0_85:
	s_or_b32 exec_lo, exec_lo, s15
	s_branch .LBB0_114
.LBB0_86:
	s_load_dwordx2 s[6:7], s[8:9], 0x50
	v_readfirstlane_b32 s4, v35
	v_mov_b32_e32 v8, 0
	v_mov_b32_e32 v9, 0
	v_cmp_eq_u32_e64 s4, s4, v35
	s_and_saveexec_b32 s5, s4
	s_cbranch_execz .LBB0_92
; %bb.87:
	v_mov_b32_e32 v0, 0
	s_mov_b32 s8, exec_lo
	s_waitcnt lgkmcnt(0)
	global_load_dwordx2 v[4:5], v0, s[6:7] offset:24 glc dlc
	s_waitcnt vmcnt(0)
	buffer_gl1_inv
	buffer_gl0_inv
	s_clause 0x1
	global_load_dwordx2 v[2:3], v0, s[6:7] offset:40
	global_load_dwordx2 v[6:7], v0, s[6:7]
	s_waitcnt vmcnt(1)
	v_and_b32_e32 v3, v3, v5
	v_and_b32_e32 v2, v2, v4
	v_mul_lo_u32 v3, v3, 24
	v_mul_hi_u32 v8, v2, 24
	v_mul_lo_u32 v2, v2, 24
	v_add_nc_u32_e32 v3, v8, v3
	s_waitcnt vmcnt(0)
	v_add_co_u32 v2, vcc_lo, v6, v2
	v_add_co_ci_u32_e64 v3, null, v7, v3, vcc_lo
	global_load_dwordx2 v[2:3], v[2:3], off glc dlc
	s_waitcnt vmcnt(0)
	global_atomic_cmpswap_x2 v[8:9], v0, v[2:5], s[6:7] offset:24 glc
	s_waitcnt vmcnt(0)
	buffer_gl1_inv
	buffer_gl0_inv
	v_cmpx_ne_u64_e64 v[8:9], v[4:5]
	s_cbranch_execz .LBB0_91
; %bb.88:
	s_mov_b32 s9, 0
	.p2align	6
.LBB0_89:                               ; =>This Inner Loop Header: Depth=1
	s_sleep 1
	s_clause 0x1
	global_load_dwordx2 v[2:3], v0, s[6:7] offset:40
	global_load_dwordx2 v[6:7], v0, s[6:7]
	v_mov_b32_e32 v4, v8
	v_mov_b32_e32 v5, v9
	s_waitcnt vmcnt(1)
	v_and_b32_e32 v2, v2, v4
	v_and_b32_e32 v3, v3, v5
	s_waitcnt vmcnt(0)
	v_mad_u64_u32 v[6:7], null, v2, 24, v[6:7]
	v_mov_b32_e32 v2, v7
	v_mad_u64_u32 v[2:3], null, v3, 24, v[2:3]
	v_mov_b32_e32 v7, v2
	global_load_dwordx2 v[2:3], v[6:7], off glc dlc
	s_waitcnt vmcnt(0)
	global_atomic_cmpswap_x2 v[8:9], v0, v[2:5], s[6:7] offset:24 glc
	s_waitcnt vmcnt(0)
	buffer_gl1_inv
	buffer_gl0_inv
	v_cmp_eq_u64_e32 vcc_lo, v[8:9], v[4:5]
	s_or_b32 s9, vcc_lo, s9
	s_andn2_b32 exec_lo, exec_lo, s9
	s_cbranch_execnz .LBB0_89
; %bb.90:
	s_or_b32 exec_lo, exec_lo, s9
.LBB0_91:
	s_or_b32 exec_lo, exec_lo, s8
.LBB0_92:
	s_or_b32 exec_lo, exec_lo, s5
	v_mov_b32_e32 v2, 0
	v_readfirstlane_b32 s9, v9
	v_readfirstlane_b32 s8, v8
	s_mov_b32 s5, exec_lo
	s_waitcnt lgkmcnt(0)
	s_clause 0x1
	global_load_dwordx2 v[10:11], v2, s[6:7] offset:40
	global_load_dwordx4 v[4:7], v2, s[6:7]
	s_waitcnt vmcnt(1)
	v_readfirstlane_b32 s10, v10
	v_readfirstlane_b32 s11, v11
	s_and_b64 s[10:11], s[10:11], s[8:9]
	s_mul_i32 s12, s11, 24
	s_mul_hi_u32 s13, s10, 24
	s_mul_i32 s14, s10, 24
	s_add_i32 s13, s13, s12
	s_waitcnt vmcnt(0)
	v_add_co_u32 v8, vcc_lo, v4, s14
	v_add_co_ci_u32_e64 v9, null, s13, v5, vcc_lo
	s_and_saveexec_b32 s12, s4
	s_cbranch_execz .LBB0_94
; %bb.93:
	v_mov_b32_e32 v10, s5
	v_mov_b32_e32 v11, v2
	v_mov_b32_e32 v12, 2
	v_mov_b32_e32 v13, 1
	global_store_dwordx4 v[8:9], v[10:13], off offset:8
.LBB0_94:
	s_or_b32 exec_lo, exec_lo, s12
	s_lshl_b64 s[10:11], s[10:11], 12
	s_mov_b32 s12, 0
	v_add_co_u32 v6, vcc_lo, v6, s10
	v_add_co_ci_u32_e64 v7, null, s11, v7, vcc_lo
	s_mov_b32 s13, s12
	s_mov_b32 s14, s12
	;; [unrolled: 1-line block ×3, first 2 shown]
	v_and_or_b32 v0, 0xffffff1f, v34, 32
	v_lshlrev_b32_e32 v14, 6, v35
	v_mov_b32_e32 v3, v2
	v_readfirstlane_b32 s10, v6
	v_readfirstlane_b32 s11, v7
	v_mov_b32_e32 v10, s12
	v_mov_b32_e32 v11, s13
	;; [unrolled: 1-line block ×4, first 2 shown]
	global_store_dwordx4 v14, v[0:3], s[10:11]
	global_store_dwordx4 v14, v[10:13], s[10:11] offset:16
	global_store_dwordx4 v14, v[10:13], s[10:11] offset:32
	;; [unrolled: 1-line block ×3, first 2 shown]
	s_and_saveexec_b32 s5, s4
	s_cbranch_execz .LBB0_102
; %bb.95:
	v_mov_b32_e32 v6, 0
	v_mov_b32_e32 v10, s8
	;; [unrolled: 1-line block ×3, first 2 shown]
	s_mov_b32 s10, exec_lo
	s_clause 0x1
	global_load_dwordx2 v[12:13], v6, s[6:7] offset:32 glc dlc
	global_load_dwordx2 v[0:1], v6, s[6:7] offset:40
	s_waitcnt vmcnt(0)
	v_and_b32_e32 v1, s9, v1
	v_and_b32_e32 v0, s8, v0
	v_mul_lo_u32 v1, v1, 24
	v_mul_hi_u32 v2, v0, 24
	v_mul_lo_u32 v0, v0, 24
	v_add_nc_u32_e32 v1, v2, v1
	v_add_co_u32 v4, vcc_lo, v4, v0
	v_add_co_ci_u32_e64 v5, null, v5, v1, vcc_lo
	global_store_dwordx2 v[4:5], v[12:13], off
	s_waitcnt_vscnt null, 0x0
	global_atomic_cmpswap_x2 v[2:3], v6, v[10:13], s[6:7] offset:32 glc
	s_waitcnt vmcnt(0)
	v_cmpx_ne_u64_e64 v[2:3], v[12:13]
	s_cbranch_execz .LBB0_98
; %bb.96:
	s_mov_b32 s11, 0
.LBB0_97:                               ; =>This Inner Loop Header: Depth=1
	v_mov_b32_e32 v0, s8
	v_mov_b32_e32 v1, s9
	s_sleep 1
	global_store_dwordx2 v[4:5], v[2:3], off
	s_waitcnt_vscnt null, 0x0
	global_atomic_cmpswap_x2 v[0:1], v6, v[0:3], s[6:7] offset:32 glc
	s_waitcnt vmcnt(0)
	v_cmp_eq_u64_e32 vcc_lo, v[0:1], v[2:3]
	v_mov_b32_e32 v3, v1
	v_mov_b32_e32 v2, v0
	s_or_b32 s11, vcc_lo, s11
	s_andn2_b32 exec_lo, exec_lo, s11
	s_cbranch_execnz .LBB0_97
.LBB0_98:
	s_or_b32 exec_lo, exec_lo, s10
	v_mov_b32_e32 v3, 0
	s_mov_b32 s11, exec_lo
	s_mov_b32 s10, exec_lo
	v_mbcnt_lo_u32_b32 v2, s11, 0
	global_load_dwordx2 v[0:1], v3, s[6:7] offset:16
	v_cmpx_eq_u32_e32 0, v2
	s_cbranch_execz .LBB0_100
; %bb.99:
	s_bcnt1_i32_b32 s11, s11
	v_mov_b32_e32 v2, s11
	s_waitcnt vmcnt(0)
	global_atomic_add_x2 v[0:1], v[2:3], off offset:8
.LBB0_100:
	s_or_b32 exec_lo, exec_lo, s10
	s_waitcnt vmcnt(0)
	global_load_dwordx2 v[2:3], v[0:1], off offset:16
	s_waitcnt vmcnt(0)
	v_cmp_eq_u64_e32 vcc_lo, 0, v[2:3]
	s_cbranch_vccnz .LBB0_102
; %bb.101:
	global_load_dword v0, v[0:1], off offset:24
	v_mov_b32_e32 v1, 0
	s_waitcnt vmcnt(0)
	v_readfirstlane_b32 s10, v0
	s_waitcnt_vscnt null, 0x0
	global_store_dwordx2 v[2:3], v[0:1], off
	s_and_b32 m0, s10, 0x7fffff
	s_sendmsg sendmsg(MSG_INTERRUPT)
.LBB0_102:
	s_or_b32 exec_lo, exec_lo, s5
	s_branch .LBB0_106
	.p2align	6
.LBB0_103:                              ;   in Loop: Header=BB0_106 Depth=1
	s_or_b32 exec_lo, exec_lo, s5
	v_readfirstlane_b32 s5, v0
	s_cmp_eq_u32 s5, 0
	s_cbranch_scc1 .LBB0_105
; %bb.104:                              ;   in Loop: Header=BB0_106 Depth=1
	s_sleep 1
	s_cbranch_execnz .LBB0_106
	s_branch .LBB0_108
	.p2align	6
.LBB0_105:
	s_branch .LBB0_108
.LBB0_106:                              ; =>This Inner Loop Header: Depth=1
	v_mov_b32_e32 v0, 1
	s_and_saveexec_b32 s5, s4
	s_cbranch_execz .LBB0_103
; %bb.107:                              ;   in Loop: Header=BB0_106 Depth=1
	global_load_dword v0, v[8:9], off offset:20 glc dlc
	s_waitcnt vmcnt(0)
	buffer_gl1_inv
	buffer_gl0_inv
	v_and_b32_e32 v0, 1, v0
	s_branch .LBB0_103
.LBB0_108:
	s_and_saveexec_b32 s10, s4
	s_cbranch_execz .LBB0_112
; %bb.109:
	v_mov_b32_e32 v6, 0
	s_clause 0x2
	global_load_dwordx2 v[0:1], v6, s[6:7] offset:40
	global_load_dwordx2 v[9:10], v6, s[6:7] offset:24 glc dlc
	global_load_dwordx2 v[2:3], v6, s[6:7]
	s_waitcnt vmcnt(2)
	v_readfirstlane_b32 s12, v0
	v_readfirstlane_b32 s13, v1
	s_add_u32 s11, s12, 1
	s_addc_u32 s14, s13, 0
	s_add_u32 s4, s11, s8
	s_addc_u32 s5, s14, s9
	s_cmp_eq_u64 s[4:5], 0
	s_cselect_b32 s5, s14, s5
	s_cselect_b32 s4, s11, s4
	v_mov_b32_e32 v8, s5
	s_and_b64 s[8:9], s[4:5], s[12:13]
	v_mov_b32_e32 v7, s4
	s_mul_i32 s9, s9, 24
	s_mul_hi_u32 s11, s8, 24
	s_mul_i32 s8, s8, 24
	s_add_i32 s11, s11, s9
	s_waitcnt vmcnt(0)
	v_add_co_u32 v4, vcc_lo, v2, s8
	v_add_co_ci_u32_e64 v5, null, s11, v3, vcc_lo
	global_store_dwordx2 v[4:5], v[9:10], off
	s_waitcnt_vscnt null, 0x0
	global_atomic_cmpswap_x2 v[2:3], v6, v[7:10], s[6:7] offset:24 glc
	s_waitcnt vmcnt(0)
	v_cmp_ne_u64_e32 vcc_lo, v[2:3], v[9:10]
	s_and_b32 exec_lo, exec_lo, vcc_lo
	s_cbranch_execz .LBB0_112
; %bb.110:
	s_mov_b32 s8, 0
.LBB0_111:                              ; =>This Inner Loop Header: Depth=1
	v_mov_b32_e32 v0, s4
	v_mov_b32_e32 v1, s5
	s_sleep 1
	global_store_dwordx2 v[4:5], v[2:3], off
	s_waitcnt_vscnt null, 0x0
	global_atomic_cmpswap_x2 v[0:1], v6, v[0:3], s[6:7] offset:24 glc
	s_waitcnt vmcnt(0)
	v_cmp_eq_u64_e32 vcc_lo, v[0:1], v[2:3]
	v_mov_b32_e32 v3, v1
	v_mov_b32_e32 v2, v0
	s_or_b32 s8, vcc_lo, s8
	s_andn2_b32 exec_lo, exec_lo, s8
	s_cbranch_execnz .LBB0_111
.LBB0_112:
	s_or_b32 exec_lo, exec_lo, s10
	s_waitcnt lgkmcnt(0)
	s_setpc_b64 s[30:31]
.LBB0_113:
	s_cbranch_execnz .LBB0_86
.LBB0_114:
	s_waitcnt vmcnt(0) lgkmcnt(0)
	s_setpc_b64 s[30:31]
.Lfunc_end0:
	.size	__ockl_fprintf_append_string_n, .Lfunc_end0-__ockl_fprintf_append_string_n
                                        ; -- End function
	.set .L__ockl_fprintf_append_string_n.num_vgpr, 39
	.set .L__ockl_fprintf_append_string_n.num_agpr, 0
	.set .L__ockl_fprintf_append_string_n.numbered_sgpr, 32
	.set .L__ockl_fprintf_append_string_n.num_named_barrier, 0
	.set .L__ockl_fprintf_append_string_n.private_seg_size, 0
	.set .L__ockl_fprintf_append_string_n.uses_vcc, 1
	.set .L__ockl_fprintf_append_string_n.uses_flat_scratch, 0
	.set .L__ockl_fprintf_append_string_n.has_dyn_sized_stack, 0
	.set .L__ockl_fprintf_append_string_n.has_recursion, 0
	.set .L__ockl_fprintf_append_string_n.has_indirect_call, 0
	.section	.AMDGPU.csdata,"",@progbits
; Function info:
; codeLenInByte = 4528
; TotalNumSgprs: 34
; NumVgprs: 39
; ScratchSize: 0
; MemoryBound: 0
	.text
	.p2align	2                               ; -- Begin function __assert_fail
	.type	__assert_fail,@function
__assert_fail:                          ; @__assert_fail
; %bb.0:
	s_waitcnt vmcnt(0) expcnt(0) lgkmcnt(0)
	s_mov_b32 s24, s33
	s_mov_b32 s33, s32
	s_xor_saveexec_b32 s4, -1
	buffer_store_dword v39, off, s[0:3], s33 offset:48 ; 4-byte Folded Spill
	s_mov_b32 exec_lo, s4
	v_writelane_b32 v39, s30, 0
	s_addk_i32 s32, 0x800
	v_writelane_b32 v39, s31, 1
	v_mov_b32_e32 v4, v0
	v_mov_b32_e32 v0, 0
	s_getpc_b64 s[4:5]
	s_add_u32 s4, s4, __const.__assert_fail.fmt@rel32@lo+35
	s_addc_u32 s5, s5, __const.__assert_fail.fmt@rel32@hi+43
	v_mbcnt_lo_u32_b32 v32, -1, 0
	v_mov_b32_e32 v6, 0
	v_mov_b32_e32 v5, v1
	global_load_dwordx4 v[8:11], v0, s[4:5]
	s_getpc_b64 s[4:5]
	s_add_u32 s4, s4, __const.__assert_fail.fmt@rel32@lo+4
	s_addc_u32 s5, s5, __const.__assert_fail.fmt@rel32@hi+12
	s_getpc_b64 s[6:7]
	s_add_u32 s6, s6, __const.__assert_fail.fmt@rel32@lo+20
	s_addc_u32 s7, s7, __const.__assert_fail.fmt@rel32@hi+28
	s_clause 0x1
	s_load_dwordx4 s[12:15], s[4:5], 0x0
	s_load_dwordx4 s[16:19], s[6:7], 0x0
	s_load_dwordx2 s[6:7], s[8:9], 0x50
	v_readfirstlane_b32 s4, v32
	v_mov_b32_e32 v7, 0
	v_cmp_eq_u32_e64 s4, s4, v32
	s_waitcnt lgkmcnt(0)
	v_mov_b32_e32 v1, s15
	v_mov_b32_e32 v2, s14
	;; [unrolled: 1-line block ×8, first 2 shown]
	buffer_store_dword v1, off, s[0:3], s33 offset:12
	buffer_store_dword v2, off, s[0:3], s33 offset:8
	;; [unrolled: 1-line block ×3, first 2 shown]
	buffer_store_dword v12, off, s[0:3], s33
	buffer_store_dword v13, off, s[0:3], s33 offset:28
	buffer_store_dword v14, off, s[0:3], s33 offset:24
	;; [unrolled: 1-line block ×4, first 2 shown]
	s_waitcnt vmcnt(0)
	buffer_store_dword v11, off, s[0:3], s33 offset:43
	buffer_store_dword v10, off, s[0:3], s33 offset:39
	;; [unrolled: 1-line block ×4, first 2 shown]
	s_and_saveexec_b32 s5, s4
	s_cbranch_execz .LBB1_6
; %bb.1:
	global_load_dwordx2 v[8:9], v0, s[6:7] offset:24 glc dlc
	s_waitcnt vmcnt(0)
	buffer_gl1_inv
	buffer_gl0_inv
	s_clause 0x1
	global_load_dwordx2 v[1:2], v0, s[6:7] offset:40
	global_load_dwordx2 v[6:7], v0, s[6:7]
	s_mov_b32 s10, exec_lo
	s_waitcnt vmcnt(1)
	v_and_b32_e32 v2, v2, v9
	v_and_b32_e32 v1, v1, v8
	v_mul_lo_u32 v2, v2, 24
	v_mul_hi_u32 v3, v1, 24
	v_mul_lo_u32 v1, v1, 24
	v_add_nc_u32_e32 v2, v3, v2
	s_waitcnt vmcnt(0)
	v_add_co_u32 v1, vcc_lo, v6, v1
	v_add_co_ci_u32_e64 v2, null, v7, v2, vcc_lo
	global_load_dwordx2 v[6:7], v[1:2], off glc dlc
	s_waitcnt vmcnt(0)
	global_atomic_cmpswap_x2 v[6:7], v0, v[6:9], s[6:7] offset:24 glc
	s_waitcnt vmcnt(0)
	buffer_gl1_inv
	buffer_gl0_inv
	v_cmpx_ne_u64_e64 v[6:7], v[8:9]
	s_cbranch_execz .LBB1_5
; %bb.2:
	v_mov_b32_e32 v1, 0
	s_mov_b32 s11, 0
	.p2align	6
.LBB1_3:                                ; =>This Inner Loop Header: Depth=1
	s_sleep 1
	s_clause 0x1
	global_load_dwordx2 v[2:3], v1, s[6:7] offset:40
	global_load_dwordx2 v[10:11], v1, s[6:7]
	v_mov_b32_e32 v9, v7
	v_mov_b32_e32 v8, v6
	s_waitcnt vmcnt(1)
	v_and_b32_e32 v2, v2, v8
	v_and_b32_e32 v3, v3, v9
	s_waitcnt vmcnt(0)
	v_mad_u64_u32 v[6:7], null, v2, 24, v[10:11]
	v_mov_b32_e32 v2, v7
	v_mad_u64_u32 v[2:3], null, v3, 24, v[2:3]
	v_mov_b32_e32 v7, v2
	global_load_dwordx2 v[6:7], v[6:7], off glc dlc
	s_waitcnt vmcnt(0)
	global_atomic_cmpswap_x2 v[6:7], v1, v[6:9], s[6:7] offset:24 glc
	s_waitcnt vmcnt(0)
	buffer_gl1_inv
	buffer_gl0_inv
	v_cmp_eq_u64_e32 vcc_lo, v[6:7], v[8:9]
	s_or_b32 s11, vcc_lo, s11
	s_andn2_b32 exec_lo, exec_lo, s11
	s_cbranch_execnz .LBB1_3
; %bb.4:
	s_or_b32 exec_lo, exec_lo, s11
.LBB1_5:
	s_or_b32 exec_lo, exec_lo, s10
.LBB1_6:
	s_or_b32 exec_lo, exec_lo, s5
	s_clause 0x1
	global_load_dwordx2 v[8:9], v0, s[6:7] offset:40
	global_load_dwordx4 v[0:3], v0, s[6:7]
	v_readfirstlane_b32 s11, v7
	v_readfirstlane_b32 s10, v6
	s_mov_b32 s5, exec_lo
	s_waitcnt vmcnt(1)
	v_readfirstlane_b32 s12, v8
	v_readfirstlane_b32 s13, v9
	s_and_b64 s[12:13], s[12:13], s[10:11]
	s_mul_i32 s14, s13, 24
	s_mul_hi_u32 s15, s12, 24
	s_mul_i32 s16, s12, 24
	s_add_i32 s15, s15, s14
	s_waitcnt vmcnt(0)
	v_add_co_u32 v10, vcc_lo, v0, s16
	v_add_co_ci_u32_e64 v11, null, s15, v1, vcc_lo
	s_and_saveexec_b32 s14, s4
	s_cbranch_execz .LBB1_8
; %bb.7:
	v_mov_b32_e32 v6, s5
	v_mov_b32_e32 v7, 0
	;; [unrolled: 1-line block ×4, first 2 shown]
	global_store_dwordx4 v[10:11], v[6:9], off offset:8
.LBB1_8:
	s_or_b32 exec_lo, exec_lo, s14
	s_lshl_b64 s[12:13], s[12:13], 12
	v_lshlrev_b32_e32 v33, 6, v32
	v_add_co_u32 v2, vcc_lo, v2, s12
	v_add_co_ci_u32_e64 v3, null, s13, v3, vcc_lo
	v_mov_b32_e32 v7, 0
	s_mov_b32 s12, 0
	v_add_co_u32 v12, vcc_lo, v2, v33
	s_mov_b32 s15, s12
	s_mov_b32 s13, s12
	;; [unrolled: 1-line block ×3, first 2 shown]
	v_mov_b32_e32 v6, 33
	v_mov_b32_e32 v8, 1
	;; [unrolled: 1-line block ×3, first 2 shown]
	v_readfirstlane_b32 s16, v2
	v_readfirstlane_b32 s17, v3
	v_mov_b32_e32 v17, s15
	v_add_co_ci_u32_e64 v13, null, 0, v3, vcc_lo
	v_mov_b32_e32 v16, s14
	v_mov_b32_e32 v15, s13
	;; [unrolled: 1-line block ×3, first 2 shown]
	global_store_dwordx4 v33, v[6:9], s[16:17]
	global_store_dwordx4 v33, v[14:17], s[16:17] offset:16
	global_store_dwordx4 v33, v[14:17], s[16:17] offset:32
	;; [unrolled: 1-line block ×3, first 2 shown]
	s_and_saveexec_b32 s5, s4
	s_cbranch_execz .LBB1_16
; %bb.9:
	s_clause 0x1
	global_load_dwordx2 v[16:17], v7, s[6:7] offset:32 glc dlc
	global_load_dwordx2 v[2:3], v7, s[6:7] offset:40
	v_mov_b32_e32 v14, s10
	v_mov_b32_e32 v15, s11
	s_mov_b32 s12, exec_lo
	s_waitcnt vmcnt(0)
	v_and_b32_e32 v3, s11, v3
	v_and_b32_e32 v2, s10, v2
	v_mul_lo_u32 v3, v3, 24
	v_mul_hi_u32 v6, v2, 24
	v_mul_lo_u32 v2, v2, 24
	v_add_nc_u32_e32 v3, v6, v3
	v_add_co_u32 v8, vcc_lo, v0, v2
	v_add_co_ci_u32_e64 v9, null, v1, v3, vcc_lo
	global_store_dwordx2 v[8:9], v[16:17], off
	s_waitcnt_vscnt null, 0x0
	global_atomic_cmpswap_x2 v[2:3], v7, v[14:17], s[6:7] offset:32 glc
	s_waitcnt vmcnt(0)
	v_cmpx_ne_u64_e64 v[2:3], v[16:17]
	s_cbranch_execz .LBB1_12
; %bb.10:
	v_mov_b32_e32 v6, 0
	s_mov_b32 s13, 0
.LBB1_11:                               ; =>This Inner Loop Header: Depth=1
	v_mov_b32_e32 v0, s10
	v_mov_b32_e32 v1, s11
	s_sleep 1
	global_store_dwordx2 v[8:9], v[2:3], off
	s_waitcnt_vscnt null, 0x0
	global_atomic_cmpswap_x2 v[0:1], v6, v[0:3], s[6:7] offset:32 glc
	s_waitcnt vmcnt(0)
	v_cmp_eq_u64_e32 vcc_lo, v[0:1], v[2:3]
	v_mov_b32_e32 v3, v1
	v_mov_b32_e32 v2, v0
	s_or_b32 s13, vcc_lo, s13
	s_andn2_b32 exec_lo, exec_lo, s13
	s_cbranch_execnz .LBB1_11
.LBB1_12:
	s_or_b32 exec_lo, exec_lo, s12
	v_mov_b32_e32 v3, 0
	s_mov_b32 s13, exec_lo
	s_mov_b32 s12, exec_lo
	v_mbcnt_lo_u32_b32 v2, s13, 0
	global_load_dwordx2 v[0:1], v3, s[6:7] offset:16
	v_cmpx_eq_u32_e32 0, v2
	s_cbranch_execz .LBB1_14
; %bb.13:
	s_bcnt1_i32_b32 s13, s13
	v_mov_b32_e32 v2, s13
	s_waitcnt vmcnt(0)
	global_atomic_add_x2 v[0:1], v[2:3], off offset:8
.LBB1_14:
	s_or_b32 exec_lo, exec_lo, s12
	s_waitcnt vmcnt(0)
	global_load_dwordx2 v[2:3], v[0:1], off offset:16
	s_waitcnt vmcnt(0)
	v_cmp_eq_u64_e32 vcc_lo, 0, v[2:3]
	s_cbranch_vccnz .LBB1_16
; %bb.15:
	global_load_dword v0, v[0:1], off offset:24
	v_mov_b32_e32 v1, 0
	s_waitcnt vmcnt(0)
	v_readfirstlane_b32 s12, v0
	s_waitcnt_vscnt null, 0x0
	global_store_dwordx2 v[2:3], v[0:1], off
	s_and_b32 m0, s12, 0x7fffff
	s_sendmsg sendmsg(MSG_INTERRUPT)
.LBB1_16:
	s_or_b32 exec_lo, exec_lo, s5
	s_branch .LBB1_20
	.p2align	6
.LBB1_17:                               ;   in Loop: Header=BB1_20 Depth=1
	s_or_b32 exec_lo, exec_lo, s5
	v_readfirstlane_b32 s5, v0
	s_cmp_eq_u32 s5, 0
	s_cbranch_scc1 .LBB1_19
; %bb.18:                               ;   in Loop: Header=BB1_20 Depth=1
	s_sleep 1
	s_cbranch_execnz .LBB1_20
	s_branch .LBB1_22
	.p2align	6
.LBB1_19:
	s_branch .LBB1_22
.LBB1_20:                               ; =>This Inner Loop Header: Depth=1
	v_mov_b32_e32 v0, 1
	s_and_saveexec_b32 s5, s4
	s_cbranch_execz .LBB1_17
; %bb.21:                               ;   in Loop: Header=BB1_20 Depth=1
	global_load_dword v0, v[10:11], off offset:20 glc dlc
	s_waitcnt vmcnt(0)
	buffer_gl1_inv
	buffer_gl0_inv
	v_and_b32_e32 v0, 1, v0
	s_branch .LBB1_17
.LBB1_22:
	global_load_dwordx2 v[6:7], v[12:13], off
	s_and_saveexec_b32 s12, s4
	s_cbranch_execz .LBB1_26
; %bb.23:
	v_mov_b32_e32 v10, 0
	s_clause 0x2
	global_load_dwordx2 v[0:1], v10, s[6:7] offset:40
	global_load_dwordx2 v[13:14], v10, s[6:7] offset:24 glc dlc
	global_load_dwordx2 v[2:3], v10, s[6:7]
	s_waitcnt vmcnt(2)
	v_readfirstlane_b32 s14, v0
	v_readfirstlane_b32 s15, v1
	s_add_u32 s13, s14, 1
	s_addc_u32 s16, s15, 0
	s_add_u32 s4, s13, s10
	s_addc_u32 s5, s16, s11
	s_cmp_eq_u64 s[4:5], 0
	s_cselect_b32 s5, s16, s5
	s_cselect_b32 s4, s13, s4
	v_mov_b32_e32 v12, s5
	s_and_b64 s[10:11], s[4:5], s[14:15]
	v_mov_b32_e32 v11, s4
	s_mul_i32 s11, s11, 24
	s_mul_hi_u32 s13, s10, 24
	s_mul_i32 s10, s10, 24
	s_add_i32 s13, s13, s11
	s_waitcnt vmcnt(0)
	v_add_co_u32 v8, vcc_lo, v2, s10
	v_add_co_ci_u32_e64 v9, null, s13, v3, vcc_lo
	global_store_dwordx2 v[8:9], v[13:14], off
	s_waitcnt_vscnt null, 0x0
	global_atomic_cmpswap_x2 v[2:3], v10, v[11:14], s[6:7] offset:24 glc
	s_waitcnt vmcnt(0)
	v_cmp_ne_u64_e32 vcc_lo, v[2:3], v[13:14]
	s_and_b32 exec_lo, exec_lo, vcc_lo
	s_cbranch_execz .LBB1_26
; %bb.24:
	s_mov_b32 s10, 0
.LBB1_25:                               ; =>This Inner Loop Header: Depth=1
	v_mov_b32_e32 v0, s4
	v_mov_b32_e32 v1, s5
	s_sleep 1
	global_store_dwordx2 v[8:9], v[2:3], off
	s_waitcnt_vscnt null, 0x0
	global_atomic_cmpswap_x2 v[0:1], v10, v[0:3], s[6:7] offset:24 glc
	s_waitcnt vmcnt(0)
	v_cmp_eq_u64_e32 vcc_lo, v[0:1], v[2:3]
	v_mov_b32_e32 v3, v1
	v_mov_b32_e32 v2, v0
	s_or_b32 s10, vcc_lo, s10
	s_andn2_b32 exec_lo, exec_lo, s10
	s_cbranch_execnz .LBB1_25
.LBB1_26:
	s_or_b32 exec_lo, exec_lo, s12
	s_lshr_b32 s5, s33, 5
	s_mov_b32 s4, 0
.LBB1_27:                               ; =>This Inner Loop Header: Depth=1
	v_mov_b32_e32 v0, s5
	s_add_i32 s5, s5, 1
	buffer_load_ubyte v0, v0, s[0:3], 0 offen
	s_waitcnt vmcnt(0)
	v_cmp_eq_u16_e32 vcc_lo, 0, v0
	v_mov_b32_e32 v0, s5
	s_or_b32 s4, vcc_lo, s4
	s_andn2_b32 exec_lo, exec_lo, s4
	s_cbranch_execnz .LBB1_27
; %bb.28:
	s_or_b32 exec_lo, exec_lo, s4
	s_lshr_b32 s4, s33, 5
	s_cmp_lg_u32 s4, -1
	s_cbranch_scc0 .LBB1_113
; %bb.29:
	v_lshrrev_b32_e64 v1, 5, s33
	v_and_b32_e32 v34, 2, v6
	v_mov_b32_e32 v9, 0
	v_lshrrev_b32_e64 v35, 5, s33
	v_mov_b32_e32 v10, 2
	v_subrev_nc_u32_e32 v28, v1, v0
	v_and_b32_e32 v0, -3, v6
	v_mov_b32_e32 v1, v7
	v_mov_b32_e32 v11, 1
	s_mov_b32 s15, 0
	v_ashrrev_i32_e32 v29, 31, v28
	s_mov_b32 s14, 0
	s_branch .LBB1_31
.LBB1_30:                               ;   in Loop: Header=BB1_31 Depth=1
	s_or_b32 exec_lo, exec_lo, s12
	v_sub_co_u32 v28, vcc_lo, v28, v36
	v_sub_co_ci_u32_e64 v29, null, v29, v26, vcc_lo
	v_add_nc_u32_e32 v35, v35, v36
	v_cmp_eq_u64_e32 vcc_lo, 0, v[28:29]
	s_or_b32 s14, vcc_lo, s14
	s_andn2_b32 exec_lo, exec_lo, s14
	s_cbranch_execz .LBB1_114
.LBB1_31:                               ; =>This Loop Header: Depth=1
                                        ;     Child Loop BB1_34 Depth 2
                                        ;     Child Loop BB1_42 Depth 2
	;; [unrolled: 1-line block ×11, first 2 shown]
	v_cmp_gt_u64_e32 vcc_lo, 56, v[28:29]
	v_add_nc_u32_e32 v14, 8, v35
	s_mov_b32 s5, exec_lo
	v_cndmask_b32_e32 v36, 56, v28, vcc_lo
	v_cmpx_gt_u64_e32 8, v[28:29]
	s_xor_b32 s5, exec_lo, s5
	s_cbranch_execz .LBB1_37
; %bb.32:                               ;   in Loop: Header=BB1_31 Depth=1
	v_mov_b32_e32 v2, 0
	v_mov_b32_e32 v3, 0
	s_mov_b32 s12, exec_lo
	v_cmpx_ne_u64_e32 0, v[28:29]
	s_cbranch_execz .LBB1_36
; %bb.33:                               ;   in Loop: Header=BB1_31 Depth=1
	v_mov_b32_e32 v2, 0
	v_mov_b32_e32 v3, 0
	s_mov_b64 s[10:11], 0
	s_mov_b32 s13, 0
	s_mov_b32 s16, 0
	.p2align	6
.LBB1_34:                               ;   Parent Loop BB1_31 Depth=1
                                        ; =>  This Inner Loop Header: Depth=2
	v_add_nc_u32_e32 v8, s16, v35
	v_mov_b32_e32 v13, s15
	s_add_i32 s16, s16, 1
	v_cmp_eq_u32_e64 s4, s16, v36
	buffer_load_ubyte v8, v8, s[0:3], 0 offen
	s_waitcnt vmcnt(0)
	v_and_b32_e32 v12, 0xffff, v8
	v_lshlrev_b64 v[12:13], s10, v[12:13]
	s_add_u32 s10, s10, 8
	s_addc_u32 s11, s11, 0
	s_or_b32 s13, s4, s13
	v_or_b32_e32 v3, v13, v3
	v_or_b32_e32 v2, v12, v2
	s_andn2_b32 exec_lo, exec_lo, s13
	s_cbranch_execnz .LBB1_34
; %bb.35:                               ;   in Loop: Header=BB1_31 Depth=1
	s_or_b32 exec_lo, exec_lo, s13
.LBB1_36:                               ;   in Loop: Header=BB1_31 Depth=1
	s_or_b32 exec_lo, exec_lo, s12
	v_mov_b32_e32 v14, v35
.LBB1_37:                               ;   in Loop: Header=BB1_31 Depth=1
	s_or_saveexec_b32 s4, s5
	v_mov_b32_e32 v15, 0
	s_xor_b32 exec_lo, exec_lo, s4
	s_cbranch_execz .LBB1_39
; %bb.38:                               ;   in Loop: Header=BB1_31 Depth=1
	s_clause 0x1
	buffer_load_dword v2, v35, s[0:3], 0 offen
	buffer_load_dword v3, v35, s[0:3], 0 offen offset:4
	v_add_nc_u32_e32 v15, -8, v36
.LBB1_39:                               ;   in Loop: Header=BB1_31 Depth=1
	s_or_b32 exec_lo, exec_lo, s4
	v_add_nc_u32_e32 v8, 8, v14
	s_mov_b32 s5, exec_lo
                                        ; implicit-def: $vgpr12_vgpr13
	v_cmpx_gt_u32_e32 8, v15
	s_xor_b32 s5, exec_lo, s5
	s_cbranch_execz .LBB1_45
; %bb.40:                               ;   in Loop: Header=BB1_31 Depth=1
	v_mov_b32_e32 v12, 0
	v_mov_b32_e32 v13, 0
	s_mov_b32 s12, exec_lo
	v_cmpx_ne_u32_e32 0, v15
	s_cbranch_execz .LBB1_44
; %bb.41:                               ;   in Loop: Header=BB1_31 Depth=1
	v_mov_b32_e32 v12, 0
	v_mov_b32_e32 v13, 0
	s_mov_b64 s[10:11], 0
	s_mov_b32 s13, 0
	s_mov_b32 s16, 0
	.p2align	6
.LBB1_42:                               ;   Parent Loop BB1_31 Depth=1
                                        ; =>  This Inner Loop Header: Depth=2
	v_add_nc_u32_e32 v8, s16, v14
	v_mov_b32_e32 v17, s15
	s_add_i32 s16, s16, 1
	v_cmp_eq_u32_e64 s4, s16, v15
	buffer_load_ubyte v8, v8, s[0:3], 0 offen
	s_waitcnt vmcnt(0)
	v_and_b32_e32 v16, 0xffff, v8
	v_lshlrev_b64 v[16:17], s10, v[16:17]
	s_add_u32 s10, s10, 8
	s_addc_u32 s11, s11, 0
	s_or_b32 s13, s4, s13
	v_or_b32_e32 v13, v17, v13
	v_or_b32_e32 v12, v16, v12
	s_andn2_b32 exec_lo, exec_lo, s13
	s_cbranch_execnz .LBB1_42
; %bb.43:                               ;   in Loop: Header=BB1_31 Depth=1
	s_or_b32 exec_lo, exec_lo, s13
.LBB1_44:                               ;   in Loop: Header=BB1_31 Depth=1
	s_or_b32 exec_lo, exec_lo, s12
	v_mov_b32_e32 v8, v14
                                        ; implicit-def: $vgpr15
.LBB1_45:                               ;   in Loop: Header=BB1_31 Depth=1
	s_or_saveexec_b32 s4, s5
	v_mov_b32_e32 v16, 0
	s_xor_b32 exec_lo, exec_lo, s4
	s_cbranch_execz .LBB1_47
; %bb.46:                               ;   in Loop: Header=BB1_31 Depth=1
	s_clause 0x1
	buffer_load_dword v12, v14, s[0:3], 0 offen
	buffer_load_dword v13, v14, s[0:3], 0 offen offset:4
	v_add_nc_u32_e32 v16, -8, v15
.LBB1_47:                               ;   in Loop: Header=BB1_31 Depth=1
	s_or_b32 exec_lo, exec_lo, s4
	v_add_nc_u32_e32 v18, 8, v8
	s_mov_b32 s5, exec_lo
	v_cmpx_gt_u32_e32 8, v16
	s_xor_b32 s5, exec_lo, s5
	s_cbranch_execz .LBB1_53
; %bb.48:                               ;   in Loop: Header=BB1_31 Depth=1
	v_mov_b32_e32 v14, 0
	v_mov_b32_e32 v15, 0
	s_mov_b32 s12, exec_lo
	v_cmpx_ne_u32_e32 0, v16
	s_cbranch_execz .LBB1_52
; %bb.49:                               ;   in Loop: Header=BB1_31 Depth=1
	v_mov_b32_e32 v14, 0
	v_mov_b32_e32 v15, 0
	s_mov_b64 s[10:11], 0
	s_mov_b32 s13, 0
	s_mov_b32 s16, 0
	.p2align	6
.LBB1_50:                               ;   Parent Loop BB1_31 Depth=1
                                        ; =>  This Inner Loop Header: Depth=2
	v_add_nc_u32_e32 v17, s16, v8
	v_mov_b32_e32 v18, s15
	s_add_i32 s16, s16, 1
	v_cmp_eq_u32_e64 s4, s16, v16
	buffer_load_ubyte v17, v17, s[0:3], 0 offen
	s_waitcnt vmcnt(0)
	v_and_b32_e32 v17, 0xffff, v17
	v_lshlrev_b64 v[17:18], s10, v[17:18]
	s_add_u32 s10, s10, 8
	s_addc_u32 s11, s11, 0
	s_or_b32 s13, s4, s13
	v_or_b32_e32 v15, v18, v15
	v_or_b32_e32 v14, v17, v14
	s_andn2_b32 exec_lo, exec_lo, s13
	s_cbranch_execnz .LBB1_50
; %bb.51:                               ;   in Loop: Header=BB1_31 Depth=1
	s_or_b32 exec_lo, exec_lo, s13
.LBB1_52:                               ;   in Loop: Header=BB1_31 Depth=1
	s_or_b32 exec_lo, exec_lo, s12
	v_mov_b32_e32 v18, v8
                                        ; implicit-def: $vgpr16
.LBB1_53:                               ;   in Loop: Header=BB1_31 Depth=1
	s_or_saveexec_b32 s4, s5
	v_mov_b32_e32 v19, 0
	s_xor_b32 exec_lo, exec_lo, s4
	s_cbranch_execz .LBB1_55
; %bb.54:                               ;   in Loop: Header=BB1_31 Depth=1
	s_clause 0x1
	buffer_load_dword v14, v8, s[0:3], 0 offen
	buffer_load_dword v15, v8, s[0:3], 0 offen offset:4
	v_add_nc_u32_e32 v19, -8, v16
.LBB1_55:                               ;   in Loop: Header=BB1_31 Depth=1
	s_or_b32 exec_lo, exec_lo, s4
	v_add_nc_u32_e32 v8, 8, v18
	s_mov_b32 s5, exec_lo
                                        ; implicit-def: $vgpr16_vgpr17
	v_cmpx_gt_u32_e32 8, v19
	s_xor_b32 s5, exec_lo, s5
	s_cbranch_execz .LBB1_61
; %bb.56:                               ;   in Loop: Header=BB1_31 Depth=1
	v_mov_b32_e32 v16, 0
	v_mov_b32_e32 v17, 0
	s_mov_b32 s12, exec_lo
	v_cmpx_ne_u32_e32 0, v19
	s_cbranch_execz .LBB1_60
; %bb.57:                               ;   in Loop: Header=BB1_31 Depth=1
	v_mov_b32_e32 v16, 0
	v_mov_b32_e32 v17, 0
	s_mov_b64 s[10:11], 0
	s_mov_b32 s13, 0
	s_mov_b32 s16, 0
	.p2align	6
.LBB1_58:                               ;   Parent Loop BB1_31 Depth=1
                                        ; =>  This Inner Loop Header: Depth=2
	v_add_nc_u32_e32 v8, s16, v18
	v_mov_b32_e32 v21, s15
	s_add_i32 s16, s16, 1
	v_cmp_eq_u32_e64 s4, s16, v19
	buffer_load_ubyte v8, v8, s[0:3], 0 offen
	s_waitcnt vmcnt(0)
	v_and_b32_e32 v20, 0xffff, v8
	v_lshlrev_b64 v[20:21], s10, v[20:21]
	s_add_u32 s10, s10, 8
	s_addc_u32 s11, s11, 0
	s_or_b32 s13, s4, s13
	v_or_b32_e32 v17, v21, v17
	v_or_b32_e32 v16, v20, v16
	s_andn2_b32 exec_lo, exec_lo, s13
	s_cbranch_execnz .LBB1_58
; %bb.59:                               ;   in Loop: Header=BB1_31 Depth=1
	s_or_b32 exec_lo, exec_lo, s13
.LBB1_60:                               ;   in Loop: Header=BB1_31 Depth=1
	s_or_b32 exec_lo, exec_lo, s12
	v_mov_b32_e32 v8, v18
                                        ; implicit-def: $vgpr19
.LBB1_61:                               ;   in Loop: Header=BB1_31 Depth=1
	s_or_saveexec_b32 s4, s5
	v_mov_b32_e32 v20, 0
	s_xor_b32 exec_lo, exec_lo, s4
	s_cbranch_execz .LBB1_63
; %bb.62:                               ;   in Loop: Header=BB1_31 Depth=1
	s_clause 0x1
	buffer_load_dword v16, v18, s[0:3], 0 offen
	buffer_load_dword v17, v18, s[0:3], 0 offen offset:4
	v_add_nc_u32_e32 v20, -8, v19
.LBB1_63:                               ;   in Loop: Header=BB1_31 Depth=1
	s_or_b32 exec_lo, exec_lo, s4
	v_add_nc_u32_e32 v22, 8, v8
	s_mov_b32 s5, exec_lo
	v_cmpx_gt_u32_e32 8, v20
	s_xor_b32 s5, exec_lo, s5
	s_cbranch_execz .LBB1_69
; %bb.64:                               ;   in Loop: Header=BB1_31 Depth=1
	v_mov_b32_e32 v18, 0
	v_mov_b32_e32 v19, 0
	s_mov_b32 s12, exec_lo
	v_cmpx_ne_u32_e32 0, v20
	s_cbranch_execz .LBB1_68
; %bb.65:                               ;   in Loop: Header=BB1_31 Depth=1
	v_mov_b32_e32 v18, 0
	v_mov_b32_e32 v19, 0
	s_mov_b64 s[10:11], 0
	s_mov_b32 s13, 0
	s_mov_b32 s16, 0
	.p2align	6
.LBB1_66:                               ;   Parent Loop BB1_31 Depth=1
                                        ; =>  This Inner Loop Header: Depth=2
	v_add_nc_u32_e32 v21, s16, v8
	v_mov_b32_e32 v22, s15
	s_add_i32 s16, s16, 1
	v_cmp_eq_u32_e64 s4, s16, v20
	buffer_load_ubyte v21, v21, s[0:3], 0 offen
	s_waitcnt vmcnt(0)
	v_and_b32_e32 v21, 0xffff, v21
	v_lshlrev_b64 v[21:22], s10, v[21:22]
	s_add_u32 s10, s10, 8
	s_addc_u32 s11, s11, 0
	s_or_b32 s13, s4, s13
	v_or_b32_e32 v19, v22, v19
	v_or_b32_e32 v18, v21, v18
	s_andn2_b32 exec_lo, exec_lo, s13
	s_cbranch_execnz .LBB1_66
; %bb.67:                               ;   in Loop: Header=BB1_31 Depth=1
	s_or_b32 exec_lo, exec_lo, s13
.LBB1_68:                               ;   in Loop: Header=BB1_31 Depth=1
	s_or_b32 exec_lo, exec_lo, s12
	v_mov_b32_e32 v22, v8
                                        ; implicit-def: $vgpr20
.LBB1_69:                               ;   in Loop: Header=BB1_31 Depth=1
	s_or_saveexec_b32 s4, s5
	v_mov_b32_e32 v23, 0
	s_xor_b32 exec_lo, exec_lo, s4
	s_cbranch_execz .LBB1_71
; %bb.70:                               ;   in Loop: Header=BB1_31 Depth=1
	s_clause 0x1
	buffer_load_dword v18, v8, s[0:3], 0 offen
	buffer_load_dword v19, v8, s[0:3], 0 offen offset:4
	v_add_nc_u32_e32 v23, -8, v20
.LBB1_71:                               ;   in Loop: Header=BB1_31 Depth=1
	s_or_b32 exec_lo, exec_lo, s4
	v_add_nc_u32_e32 v8, 8, v22
	s_mov_b32 s5, exec_lo
                                        ; implicit-def: $vgpr20_vgpr21
	v_cmpx_gt_u32_e32 8, v23
	s_xor_b32 s5, exec_lo, s5
	s_cbranch_execz .LBB1_77
; %bb.72:                               ;   in Loop: Header=BB1_31 Depth=1
	v_mov_b32_e32 v20, 0
	v_mov_b32_e32 v21, 0
	s_mov_b32 s12, exec_lo
	v_cmpx_ne_u32_e32 0, v23
	s_cbranch_execz .LBB1_76
; %bb.73:                               ;   in Loop: Header=BB1_31 Depth=1
	v_mov_b32_e32 v20, 0
	v_mov_b32_e32 v21, 0
	s_mov_b64 s[10:11], 0
	s_mov_b32 s13, 0
	s_mov_b32 s16, 0
	.p2align	6
.LBB1_74:                               ;   Parent Loop BB1_31 Depth=1
                                        ; =>  This Inner Loop Header: Depth=2
	v_add_nc_u32_e32 v8, s16, v22
	v_mov_b32_e32 v25, s15
	s_add_i32 s16, s16, 1
	v_cmp_eq_u32_e64 s4, s16, v23
	buffer_load_ubyte v8, v8, s[0:3], 0 offen
	s_waitcnt vmcnt(0)
	v_and_b32_e32 v24, 0xffff, v8
	v_lshlrev_b64 v[24:25], s10, v[24:25]
	s_add_u32 s10, s10, 8
	s_addc_u32 s11, s11, 0
	s_or_b32 s13, s4, s13
	v_or_b32_e32 v21, v25, v21
	v_or_b32_e32 v20, v24, v20
	s_andn2_b32 exec_lo, exec_lo, s13
	s_cbranch_execnz .LBB1_74
; %bb.75:                               ;   in Loop: Header=BB1_31 Depth=1
	s_or_b32 exec_lo, exec_lo, s13
.LBB1_76:                               ;   in Loop: Header=BB1_31 Depth=1
	s_or_b32 exec_lo, exec_lo, s12
	v_mov_b32_e32 v8, v22
                                        ; implicit-def: $vgpr23
.LBB1_77:                               ;   in Loop: Header=BB1_31 Depth=1
	s_or_saveexec_b32 s4, s5
	v_mov_b32_e32 v24, 0
	s_xor_b32 exec_lo, exec_lo, s4
	s_cbranch_execz .LBB1_79
; %bb.78:                               ;   in Loop: Header=BB1_31 Depth=1
	s_clause 0x1
	buffer_load_dword v20, v22, s[0:3], 0 offen
	buffer_load_dword v21, v22, s[0:3], 0 offen offset:4
	v_add_nc_u32_e32 v24, -8, v23
.LBB1_79:                               ;   in Loop: Header=BB1_31 Depth=1
	s_or_b32 exec_lo, exec_lo, s4
	s_mov_b32 s5, exec_lo
	v_cmpx_gt_u32_e32 8, v24
	s_xor_b32 s5, exec_lo, s5
	s_cbranch_execz .LBB1_85
; %bb.80:                               ;   in Loop: Header=BB1_31 Depth=1
	v_mov_b32_e32 v22, 0
	v_mov_b32_e32 v23, 0
	s_mov_b32 s12, exec_lo
	v_cmpx_ne_u32_e32 0, v24
	s_cbranch_execz .LBB1_84
; %bb.81:                               ;   in Loop: Header=BB1_31 Depth=1
	v_mov_b32_e32 v22, 0
	v_mov_b32_e32 v23, 0
	s_mov_b64 s[10:11], 0
	s_mov_b32 s13, 0
	.p2align	6
.LBB1_82:                               ;   Parent Loop BB1_31 Depth=1
                                        ; =>  This Inner Loop Header: Depth=2
	buffer_load_ubyte v25, v8, s[0:3], 0 offen
	v_mov_b32_e32 v26, s15
	v_add_nc_u32_e32 v24, -1, v24
	v_add_nc_u32_e32 v8, 1, v8
	v_cmp_eq_u32_e64 s4, 0, v24
	s_waitcnt vmcnt(0)
	v_and_b32_e32 v25, 0xffff, v25
	v_lshlrev_b64 v[25:26], s10, v[25:26]
	s_add_u32 s10, s10, 8
	s_addc_u32 s11, s11, 0
	s_or_b32 s13, s4, s13
	v_or_b32_e32 v23, v26, v23
	v_or_b32_e32 v22, v25, v22
	s_andn2_b32 exec_lo, exec_lo, s13
	s_cbranch_execnz .LBB1_82
; %bb.83:                               ;   in Loop: Header=BB1_31 Depth=1
	s_or_b32 exec_lo, exec_lo, s13
.LBB1_84:                               ;   in Loop: Header=BB1_31 Depth=1
	s_or_b32 exec_lo, exec_lo, s12
                                        ; implicit-def: $vgpr8
.LBB1_85:                               ;   in Loop: Header=BB1_31 Depth=1
	s_andn2_saveexec_b32 s4, s5
	s_cbranch_execz .LBB1_87
; %bb.86:                               ;   in Loop: Header=BB1_31 Depth=1
	s_clause 0x1
	buffer_load_dword v22, v8, s[0:3], 0 offen
	buffer_load_dword v23, v8, s[0:3], 0 offen offset:4
.LBB1_87:                               ;   in Loop: Header=BB1_31 Depth=1
	s_or_b32 exec_lo, exec_lo, s4
	v_readfirstlane_b32 s4, v32
	v_mov_b32_e32 v30, 0
	v_mov_b32_e32 v31, 0
	v_cmp_eq_u32_e64 s4, s4, v32
	s_and_saveexec_b32 s10, s4
	s_cbranch_execz .LBB1_93
; %bb.88:                               ;   in Loop: Header=BB1_31 Depth=1
	global_load_dwordx2 v[26:27], v9, s[6:7] offset:24 glc dlc
	s_waitcnt vmcnt(0)
	buffer_gl1_inv
	buffer_gl0_inv
	s_clause 0x1
	global_load_dwordx2 v[24:25], v9, s[6:7] offset:40
	global_load_dwordx2 v[30:31], v9, s[6:7]
	s_mov_b32 s11, exec_lo
	s_waitcnt vmcnt(1)
	v_and_b32_e32 v8, v25, v27
	v_and_b32_e32 v24, v24, v26
	v_mul_lo_u32 v8, v8, 24
	v_mul_hi_u32 v25, v24, 24
	v_mul_lo_u32 v24, v24, 24
	v_add_nc_u32_e32 v8, v25, v8
	s_waitcnt vmcnt(0)
	v_add_co_u32 v24, s5, v30, v24
	v_add_co_ci_u32_e64 v25, null, v31, v8, s5
	global_load_dwordx2 v[24:25], v[24:25], off glc dlc
	s_waitcnt vmcnt(0)
	global_atomic_cmpswap_x2 v[30:31], v9, v[24:27], s[6:7] offset:24 glc
	s_waitcnt vmcnt(0)
	buffer_gl1_inv
	buffer_gl0_inv
	v_cmpx_ne_u64_e64 v[30:31], v[26:27]
	s_cbranch_execz .LBB1_92
; %bb.89:                               ;   in Loop: Header=BB1_31 Depth=1
	s_mov_b32 s12, 0
	.p2align	6
.LBB1_90:                               ;   Parent Loop BB1_31 Depth=1
                                        ; =>  This Inner Loop Header: Depth=2
	s_sleep 1
	s_clause 0x1
	global_load_dwordx2 v[24:25], v9, s[6:7] offset:40
	global_load_dwordx2 v[37:38], v9, s[6:7]
	v_mov_b32_e32 v26, v30
	v_mov_b32_e32 v27, v31
	s_waitcnt vmcnt(1)
	v_and_b32_e32 v8, v24, v26
	v_and_b32_e32 v24, v25, v27
	s_waitcnt vmcnt(0)
	v_mad_u64_u32 v[30:31], null, v8, 24, v[37:38]
	v_mov_b32_e32 v8, v31
	v_mad_u64_u32 v[24:25], null, v24, 24, v[8:9]
	v_mov_b32_e32 v31, v24
	global_load_dwordx2 v[24:25], v[30:31], off glc dlc
	s_waitcnt vmcnt(0)
	global_atomic_cmpswap_x2 v[30:31], v9, v[24:27], s[6:7] offset:24 glc
	s_waitcnt vmcnt(0)
	buffer_gl1_inv
	buffer_gl0_inv
	v_cmp_eq_u64_e64 s5, v[30:31], v[26:27]
	s_or_b32 s12, s5, s12
	s_andn2_b32 exec_lo, exec_lo, s12
	s_cbranch_execnz .LBB1_90
; %bb.91:                               ;   in Loop: Header=BB1_31 Depth=1
	s_or_b32 exec_lo, exec_lo, s12
.LBB1_92:                               ;   in Loop: Header=BB1_31 Depth=1
	s_or_b32 exec_lo, exec_lo, s11
.LBB1_93:                               ;   in Loop: Header=BB1_31 Depth=1
	s_or_b32 exec_lo, exec_lo, s10
	s_clause 0x1
	global_load_dwordx2 v[37:38], v9, s[6:7] offset:40
	global_load_dwordx4 v[24:27], v9, s[6:7]
	v_readfirstlane_b32 s11, v31
	v_readfirstlane_b32 s10, v30
	s_mov_b32 s16, exec_lo
	s_waitcnt vmcnt(1)
	v_readfirstlane_b32 s12, v37
	v_readfirstlane_b32 s13, v38
	s_and_b64 s[12:13], s[12:13], s[10:11]
	s_mul_i32 s5, s13, 24
	s_mul_hi_u32 s17, s12, 24
	s_mul_i32 s18, s12, 24
	s_add_i32 s17, s17, s5
	s_waitcnt vmcnt(0)
	v_add_co_u32 v30, s5, v24, s18
	v_add_co_ci_u32_e64 v31, null, s17, v25, s5
	s_and_saveexec_b32 s5, s4
	s_cbranch_execz .LBB1_95
; %bb.94:                               ;   in Loop: Header=BB1_31 Depth=1
	v_mov_b32_e32 v8, s16
	global_store_dwordx4 v[30:31], v[8:11], off offset:8
.LBB1_95:                               ;   in Loop: Header=BB1_31 Depth=1
	s_or_b32 exec_lo, exec_lo, s5
	v_cmp_gt_u64_e64 s5, 57, v[28:29]
	v_and_b32_e32 v0, 0xffffff1f, v0
	s_lshl_b64 s[12:13], s[12:13], 12
	v_cndmask_b32_e64 v8, 0, v34, s5
	v_add_co_u32 v37, s5, v26, s12
	v_add_co_ci_u32_e64 v27, null, s13, v27, s5
	v_lshl_add_u32 v26, v36, 2, 28
	v_or_b32_e32 v0, v0, v8
	v_readfirstlane_b32 s12, v37
	v_readfirstlane_b32 s13, v27
	v_and_or_b32 v0, 0x1e0, v26, v0
	v_cndmask_b32_e32 v26, 0, v29, vcc_lo
	global_store_dwordx4 v33, v[12:15], s[12:13] offset:16
	global_store_dwordx4 v33, v[0:3], s[12:13]
	global_store_dwordx4 v33, v[16:19], s[12:13] offset:32
	global_store_dwordx4 v33, v[20:23], s[12:13] offset:48
	s_and_saveexec_b32 s5, s4
	s_cbranch_execz .LBB1_103
; %bb.96:                               ;   in Loop: Header=BB1_31 Depth=1
	s_clause 0x1
	global_load_dwordx2 v[16:17], v9, s[6:7] offset:32 glc dlc
	global_load_dwordx2 v[0:1], v9, s[6:7] offset:40
	v_mov_b32_e32 v14, s10
	v_mov_b32_e32 v15, s11
	s_waitcnt vmcnt(0)
	v_readfirstlane_b32 s12, v0
	v_readfirstlane_b32 s13, v1
	s_and_b64 s[12:13], s[12:13], s[10:11]
	s_mul_i32 s13, s13, 24
	s_mul_hi_u32 s16, s12, 24
	s_mul_i32 s12, s12, 24
	s_add_i32 s16, s16, s13
	v_add_co_u32 v12, vcc_lo, v24, s12
	v_add_co_ci_u32_e64 v13, null, s16, v25, vcc_lo
	s_mov_b32 s12, exec_lo
	global_store_dwordx2 v[12:13], v[16:17], off
	s_waitcnt_vscnt null, 0x0
	global_atomic_cmpswap_x2 v[2:3], v9, v[14:17], s[6:7] offset:32 glc
	s_waitcnt vmcnt(0)
	v_cmpx_ne_u64_e64 v[2:3], v[16:17]
	s_cbranch_execz .LBB1_99
; %bb.97:                               ;   in Loop: Header=BB1_31 Depth=1
	s_mov_b32 s13, 0
.LBB1_98:                               ;   Parent Loop BB1_31 Depth=1
                                        ; =>  This Inner Loop Header: Depth=2
	v_mov_b32_e32 v0, s10
	v_mov_b32_e32 v1, s11
	s_sleep 1
	global_store_dwordx2 v[12:13], v[2:3], off
	s_waitcnt_vscnt null, 0x0
	global_atomic_cmpswap_x2 v[0:1], v9, v[0:3], s[6:7] offset:32 glc
	s_waitcnt vmcnt(0)
	v_cmp_eq_u64_e32 vcc_lo, v[0:1], v[2:3]
	v_mov_b32_e32 v3, v1
	v_mov_b32_e32 v2, v0
	s_or_b32 s13, vcc_lo, s13
	s_andn2_b32 exec_lo, exec_lo, s13
	s_cbranch_execnz .LBB1_98
.LBB1_99:                               ;   in Loop: Header=BB1_31 Depth=1
	s_or_b32 exec_lo, exec_lo, s12
	global_load_dwordx2 v[0:1], v9, s[6:7] offset:16
	s_mov_b32 s13, exec_lo
	s_mov_b32 s12, exec_lo
	v_mbcnt_lo_u32_b32 v2, s13, 0
	v_cmpx_eq_u32_e32 0, v2
	s_cbranch_execz .LBB1_101
; %bb.100:                              ;   in Loop: Header=BB1_31 Depth=1
	s_bcnt1_i32_b32 s13, s13
	v_mov_b32_e32 v8, s13
	s_waitcnt vmcnt(0)
	global_atomic_add_x2 v[0:1], v[8:9], off offset:8
.LBB1_101:                              ;   in Loop: Header=BB1_31 Depth=1
	s_or_b32 exec_lo, exec_lo, s12
	s_waitcnt vmcnt(0)
	global_load_dwordx2 v[2:3], v[0:1], off offset:16
	s_waitcnt vmcnt(0)
	v_cmp_eq_u64_e32 vcc_lo, 0, v[2:3]
	s_cbranch_vccnz .LBB1_103
; %bb.102:                              ;   in Loop: Header=BB1_31 Depth=1
	global_load_dword v8, v[0:1], off offset:24
	s_waitcnt vmcnt(0)
	v_readfirstlane_b32 s12, v8
	s_waitcnt_vscnt null, 0x0
	global_store_dwordx2 v[2:3], v[8:9], off
	s_and_b32 m0, s12, 0x7fffff
	s_sendmsg sendmsg(MSG_INTERRUPT)
.LBB1_103:                              ;   in Loop: Header=BB1_31 Depth=1
	s_or_b32 exec_lo, exec_lo, s5
	v_add_co_u32 v0, vcc_lo, v37, v33
	v_add_co_ci_u32_e64 v1, null, 0, v27, vcc_lo
	s_branch .LBB1_107
	.p2align	6
.LBB1_104:                              ;   in Loop: Header=BB1_107 Depth=2
	s_or_b32 exec_lo, exec_lo, s5
	v_readfirstlane_b32 s5, v2
	s_cmp_eq_u32 s5, 0
	s_cbranch_scc1 .LBB1_106
; %bb.105:                              ;   in Loop: Header=BB1_107 Depth=2
	s_sleep 1
	s_cbranch_execnz .LBB1_107
	s_branch .LBB1_109
	.p2align	6
.LBB1_106:                              ;   in Loop: Header=BB1_31 Depth=1
	s_branch .LBB1_109
.LBB1_107:                              ;   Parent Loop BB1_31 Depth=1
                                        ; =>  This Inner Loop Header: Depth=2
	v_mov_b32_e32 v2, 1
	s_and_saveexec_b32 s5, s4
	s_cbranch_execz .LBB1_104
; %bb.108:                              ;   in Loop: Header=BB1_107 Depth=2
	global_load_dword v2, v[30:31], off offset:20 glc dlc
	s_waitcnt vmcnt(0)
	buffer_gl1_inv
	buffer_gl0_inv
	v_and_b32_e32 v2, 1, v2
	s_branch .LBB1_104
.LBB1_109:                              ;   in Loop: Header=BB1_31 Depth=1
	global_load_dwordx2 v[0:1], v[0:1], off
	s_and_saveexec_b32 s12, s4
	s_cbranch_execz .LBB1_30
; %bb.110:                              ;   in Loop: Header=BB1_31 Depth=1
	s_clause 0x2
	global_load_dwordx2 v[2:3], v9, s[6:7] offset:40
	global_load_dwordx2 v[16:17], v9, s[6:7] offset:24 glc dlc
	global_load_dwordx2 v[12:13], v9, s[6:7]
	s_waitcnt vmcnt(2)
	v_readfirstlane_b32 s16, v2
	v_readfirstlane_b32 s17, v3
	s_add_u32 s13, s16, 1
	s_addc_u32 s18, s17, 0
	s_add_u32 s4, s13, s10
	s_addc_u32 s5, s18, s11
	s_cmp_eq_u64 s[4:5], 0
	s_cselect_b32 s5, s18, s5
	s_cselect_b32 s4, s13, s4
	v_mov_b32_e32 v15, s5
	s_and_b64 s[10:11], s[4:5], s[16:17]
	v_mov_b32_e32 v14, s4
	s_mul_i32 s11, s11, 24
	s_mul_hi_u32 s13, s10, 24
	s_mul_i32 s10, s10, 24
	s_add_i32 s13, s13, s11
	s_waitcnt vmcnt(0)
	v_add_co_u32 v2, vcc_lo, v12, s10
	v_add_co_ci_u32_e64 v3, null, s13, v13, vcc_lo
	global_store_dwordx2 v[2:3], v[16:17], off
	s_waitcnt_vscnt null, 0x0
	global_atomic_cmpswap_x2 v[14:15], v9, v[14:17], s[6:7] offset:24 glc
	s_waitcnt vmcnt(0)
	v_cmp_ne_u64_e32 vcc_lo, v[14:15], v[16:17]
	s_and_b32 exec_lo, exec_lo, vcc_lo
	s_cbranch_execz .LBB1_30
; %bb.111:                              ;   in Loop: Header=BB1_31 Depth=1
	s_mov_b32 s10, 0
.LBB1_112:                              ;   Parent Loop BB1_31 Depth=1
                                        ; =>  This Inner Loop Header: Depth=2
	v_mov_b32_e32 v12, s4
	v_mov_b32_e32 v13, s5
	s_sleep 1
	global_store_dwordx2 v[2:3], v[14:15], off
	s_waitcnt_vscnt null, 0x0
	global_atomic_cmpswap_x2 v[12:13], v9, v[12:15], s[6:7] offset:24 glc
	s_waitcnt vmcnt(0)
	v_cmp_eq_u64_e32 vcc_lo, v[12:13], v[14:15]
	v_mov_b32_e32 v15, v13
	v_mov_b32_e32 v14, v12
	s_or_b32 s10, vcc_lo, s10
	s_andn2_b32 exec_lo, exec_lo, s10
	s_cbranch_execnz .LBB1_112
	s_branch .LBB1_30
.LBB1_113:
                                        ; implicit-def: $vgpr0_vgpr1
	s_cbranch_execnz .LBB1_115
	s_branch .LBB1_142
.LBB1_114:
	s_or_b32 exec_lo, exec_lo, s14
	s_branch .LBB1_142
.LBB1_115:
	v_readfirstlane_b32 s4, v32
	v_mov_b32_e32 v9, 0
	v_mov_b32_e32 v10, 0
	v_cmp_eq_u32_e64 s4, s4, v32
	s_and_saveexec_b32 s5, s4
	s_cbranch_execz .LBB1_121
; %bb.116:
	s_waitcnt vmcnt(0)
	v_mov_b32_e32 v0, 0
	s_mov_b32 s10, exec_lo
	global_load_dwordx2 v[11:12], v0, s[6:7] offset:24 glc dlc
	s_waitcnt vmcnt(0)
	buffer_gl1_inv
	buffer_gl0_inv
	s_clause 0x1
	global_load_dwordx2 v[1:2], v0, s[6:7] offset:40
	global_load_dwordx2 v[8:9], v0, s[6:7]
	s_waitcnt vmcnt(1)
	v_and_b32_e32 v2, v2, v12
	v_and_b32_e32 v1, v1, v11
	v_mul_lo_u32 v2, v2, 24
	v_mul_hi_u32 v3, v1, 24
	v_mul_lo_u32 v1, v1, 24
	v_add_nc_u32_e32 v2, v3, v2
	s_waitcnt vmcnt(0)
	v_add_co_u32 v1, vcc_lo, v8, v1
	v_add_co_ci_u32_e64 v2, null, v9, v2, vcc_lo
	global_load_dwordx2 v[9:10], v[1:2], off glc dlc
	s_waitcnt vmcnt(0)
	global_atomic_cmpswap_x2 v[9:10], v0, v[9:12], s[6:7] offset:24 glc
	s_waitcnt vmcnt(0)
	buffer_gl1_inv
	buffer_gl0_inv
	v_cmpx_ne_u64_e64 v[9:10], v[11:12]
	s_cbranch_execz .LBB1_120
; %bb.117:
	s_mov_b32 s11, 0
	.p2align	6
.LBB1_118:                              ; =>This Inner Loop Header: Depth=1
	s_sleep 1
	s_clause 0x1
	global_load_dwordx2 v[1:2], v0, s[6:7] offset:40
	global_load_dwordx2 v[13:14], v0, s[6:7]
	v_mov_b32_e32 v12, v10
	v_mov_b32_e32 v11, v9
	s_waitcnt vmcnt(1)
	v_and_b32_e32 v1, v1, v11
	v_and_b32_e32 v2, v2, v12
	s_waitcnt vmcnt(0)
	v_mad_u64_u32 v[8:9], null, v1, 24, v[13:14]
	v_mov_b32_e32 v1, v9
	v_mad_u64_u32 v[1:2], null, v2, 24, v[1:2]
	v_mov_b32_e32 v9, v1
	global_load_dwordx2 v[9:10], v[8:9], off glc dlc
	s_waitcnt vmcnt(0)
	global_atomic_cmpswap_x2 v[9:10], v0, v[9:12], s[6:7] offset:24 glc
	s_waitcnt vmcnt(0)
	buffer_gl1_inv
	buffer_gl0_inv
	v_cmp_eq_u64_e32 vcc_lo, v[9:10], v[11:12]
	s_or_b32 s11, vcc_lo, s11
	s_andn2_b32 exec_lo, exec_lo, s11
	s_cbranch_execnz .LBB1_118
; %bb.119:
	s_or_b32 exec_lo, exec_lo, s11
.LBB1_120:
	s_or_b32 exec_lo, exec_lo, s10
.LBB1_121:
	s_or_b32 exec_lo, exec_lo, s5
	v_mov_b32_e32 v8, 0
	v_readfirstlane_b32 s11, v10
	v_readfirstlane_b32 s10, v9
	s_mov_b32 s5, exec_lo
	s_clause 0x1
	global_load_dwordx2 v[11:12], v8, s[6:7] offset:40
	global_load_dwordx4 v[0:3], v8, s[6:7]
	s_waitcnt vmcnt(1)
	v_readfirstlane_b32 s12, v11
	v_readfirstlane_b32 s13, v12
	s_and_b64 s[12:13], s[12:13], s[10:11]
	s_mul_i32 s14, s13, 24
	s_mul_hi_u32 s15, s12, 24
	s_mul_i32 s16, s12, 24
	s_add_i32 s15, s15, s14
	s_waitcnt vmcnt(0)
	v_add_co_u32 v10, vcc_lo, v0, s16
	v_add_co_ci_u32_e64 v11, null, s15, v1, vcc_lo
	s_and_saveexec_b32 s14, s4
	s_cbranch_execz .LBB1_123
; %bb.122:
	v_mov_b32_e32 v12, s5
	v_mov_b32_e32 v13, v8
	;; [unrolled: 1-line block ×4, first 2 shown]
	global_store_dwordx4 v[10:11], v[12:15], off offset:8
.LBB1_123:
	s_or_b32 exec_lo, exec_lo, s14
	s_lshl_b64 s[12:13], s[12:13], 12
	v_and_or_b32 v6, 0xffffff1f, v6, 32
	v_add_co_u32 v2, vcc_lo, v2, s12
	v_add_co_ci_u32_e64 v3, null, s13, v3, vcc_lo
	s_mov_b32 s12, 0
	v_add_co_u32 v12, vcc_lo, v2, v33
	s_mov_b32 s15, s12
	s_mov_b32 s13, s12
	;; [unrolled: 1-line block ×3, first 2 shown]
	v_mov_b32_e32 v9, v8
	v_readfirstlane_b32 s16, v2
	v_readfirstlane_b32 s17, v3
	v_mov_b32_e32 v17, s15
	v_add_co_ci_u32_e64 v13, null, 0, v3, vcc_lo
	v_mov_b32_e32 v16, s14
	v_mov_b32_e32 v15, s13
	;; [unrolled: 1-line block ×3, first 2 shown]
	global_store_dwordx4 v33, v[6:9], s[16:17]
	global_store_dwordx4 v33, v[14:17], s[16:17] offset:16
	global_store_dwordx4 v33, v[14:17], s[16:17] offset:32
	;; [unrolled: 1-line block ×3, first 2 shown]
	s_and_saveexec_b32 s5, s4
	s_cbranch_execz .LBB1_131
; %bb.124:
	v_mov_b32_e32 v8, 0
	v_mov_b32_e32 v14, s10
	;; [unrolled: 1-line block ×3, first 2 shown]
	s_clause 0x1
	global_load_dwordx2 v[16:17], v8, s[6:7] offset:32 glc dlc
	global_load_dwordx2 v[2:3], v8, s[6:7] offset:40
	s_waitcnt vmcnt(0)
	v_readfirstlane_b32 s12, v2
	v_readfirstlane_b32 s13, v3
	s_and_b64 s[12:13], s[12:13], s[10:11]
	s_mul_i32 s13, s13, 24
	s_mul_hi_u32 s14, s12, 24
	s_mul_i32 s12, s12, 24
	s_add_i32 s14, s14, s13
	v_add_co_u32 v6, vcc_lo, v0, s12
	v_add_co_ci_u32_e64 v7, null, s14, v1, vcc_lo
	s_mov_b32 s12, exec_lo
	global_store_dwordx2 v[6:7], v[16:17], off
	s_waitcnt_vscnt null, 0x0
	global_atomic_cmpswap_x2 v[2:3], v8, v[14:17], s[6:7] offset:32 glc
	s_waitcnt vmcnt(0)
	v_cmpx_ne_u64_e64 v[2:3], v[16:17]
	s_cbranch_execz .LBB1_127
; %bb.125:
	s_mov_b32 s13, 0
.LBB1_126:                              ; =>This Inner Loop Header: Depth=1
	v_mov_b32_e32 v0, s10
	v_mov_b32_e32 v1, s11
	s_sleep 1
	global_store_dwordx2 v[6:7], v[2:3], off
	s_waitcnt_vscnt null, 0x0
	global_atomic_cmpswap_x2 v[0:1], v8, v[0:3], s[6:7] offset:32 glc
	s_waitcnt vmcnt(0)
	v_cmp_eq_u64_e32 vcc_lo, v[0:1], v[2:3]
	v_mov_b32_e32 v3, v1
	v_mov_b32_e32 v2, v0
	s_or_b32 s13, vcc_lo, s13
	s_andn2_b32 exec_lo, exec_lo, s13
	s_cbranch_execnz .LBB1_126
.LBB1_127:
	s_or_b32 exec_lo, exec_lo, s12
	v_mov_b32_e32 v3, 0
	s_mov_b32 s13, exec_lo
	s_mov_b32 s12, exec_lo
	v_mbcnt_lo_u32_b32 v2, s13, 0
	global_load_dwordx2 v[0:1], v3, s[6:7] offset:16
	v_cmpx_eq_u32_e32 0, v2
	s_cbranch_execz .LBB1_129
; %bb.128:
	s_bcnt1_i32_b32 s13, s13
	v_mov_b32_e32 v2, s13
	s_waitcnt vmcnt(0)
	global_atomic_add_x2 v[0:1], v[2:3], off offset:8
.LBB1_129:
	s_or_b32 exec_lo, exec_lo, s12
	s_waitcnt vmcnt(0)
	global_load_dwordx2 v[2:3], v[0:1], off offset:16
	s_waitcnt vmcnt(0)
	v_cmp_eq_u64_e32 vcc_lo, 0, v[2:3]
	s_cbranch_vccnz .LBB1_131
; %bb.130:
	global_load_dword v0, v[0:1], off offset:24
	v_mov_b32_e32 v1, 0
	s_waitcnt vmcnt(0)
	v_readfirstlane_b32 s12, v0
	s_waitcnt_vscnt null, 0x0
	global_store_dwordx2 v[2:3], v[0:1], off
	s_and_b32 m0, s12, 0x7fffff
	s_sendmsg sendmsg(MSG_INTERRUPT)
.LBB1_131:
	s_or_b32 exec_lo, exec_lo, s5
	s_branch .LBB1_135
	.p2align	6
.LBB1_132:                              ;   in Loop: Header=BB1_135 Depth=1
	s_or_b32 exec_lo, exec_lo, s5
	v_readfirstlane_b32 s5, v0
	s_cmp_eq_u32 s5, 0
	s_cbranch_scc1 .LBB1_134
; %bb.133:                              ;   in Loop: Header=BB1_135 Depth=1
	s_sleep 1
	s_cbranch_execnz .LBB1_135
	s_branch .LBB1_137
	.p2align	6
.LBB1_134:
	s_branch .LBB1_137
.LBB1_135:                              ; =>This Inner Loop Header: Depth=1
	v_mov_b32_e32 v0, 1
	s_and_saveexec_b32 s5, s4
	s_cbranch_execz .LBB1_132
; %bb.136:                              ;   in Loop: Header=BB1_135 Depth=1
	global_load_dword v0, v[10:11], off offset:20 glc dlc
	s_waitcnt vmcnt(0)
	buffer_gl1_inv
	buffer_gl0_inv
	v_and_b32_e32 v0, 1, v0
	s_branch .LBB1_132
.LBB1_137:
	global_load_dwordx2 v[0:1], v[12:13], off
	s_and_saveexec_b32 s12, s4
	s_cbranch_execz .LBB1_141
; %bb.138:
	v_mov_b32_e32 v10, 0
	s_clause 0x2
	global_load_dwordx2 v[2:3], v10, s[6:7] offset:40
	global_load_dwordx2 v[13:14], v10, s[6:7] offset:24 glc dlc
	global_load_dwordx2 v[6:7], v10, s[6:7]
	s_waitcnt vmcnt(2)
	v_readfirstlane_b32 s14, v2
	v_readfirstlane_b32 s15, v3
	s_add_u32 s13, s14, 1
	s_addc_u32 s16, s15, 0
	s_add_u32 s4, s13, s10
	s_addc_u32 s5, s16, s11
	s_cmp_eq_u64 s[4:5], 0
	s_cselect_b32 s5, s16, s5
	s_cselect_b32 s4, s13, s4
	v_mov_b32_e32 v12, s5
	s_and_b64 s[10:11], s[4:5], s[14:15]
	v_mov_b32_e32 v11, s4
	s_mul_i32 s11, s11, 24
	s_mul_hi_u32 s13, s10, 24
	s_mul_i32 s10, s10, 24
	s_add_i32 s13, s13, s11
	s_waitcnt vmcnt(0)
	v_add_co_u32 v2, vcc_lo, v6, s10
	v_add_co_ci_u32_e64 v3, null, s13, v7, vcc_lo
	global_store_dwordx2 v[2:3], v[13:14], off
	s_waitcnt_vscnt null, 0x0
	global_atomic_cmpswap_x2 v[8:9], v10, v[11:14], s[6:7] offset:24 glc
	s_waitcnt vmcnt(0)
	v_cmp_ne_u64_e32 vcc_lo, v[8:9], v[13:14]
	s_and_b32 exec_lo, exec_lo, vcc_lo
	s_cbranch_execz .LBB1_141
; %bb.139:
	s_mov_b32 s10, 0
.LBB1_140:                              ; =>This Inner Loop Header: Depth=1
	v_mov_b32_e32 v6, s4
	v_mov_b32_e32 v7, s5
	s_sleep 1
	global_store_dwordx2 v[2:3], v[8:9], off
	s_waitcnt_vscnt null, 0x0
	global_atomic_cmpswap_x2 v[6:7], v10, v[6:9], s[6:7] offset:24 glc
	s_waitcnt vmcnt(0)
	v_cmp_eq_u64_e32 vcc_lo, v[6:7], v[8:9]
	v_mov_b32_e32 v9, v7
	v_mov_b32_e32 v8, v6
	s_or_b32 s10, vcc_lo, s10
	s_andn2_b32 exec_lo, exec_lo, s10
	s_cbranch_execnz .LBB1_140
.LBB1_141:
	s_or_b32 exec_lo, exec_lo, s12
.LBB1_142:
	s_getpc_b64 s[10:11]
	s_add_u32 s10, s10, .str.4@rel32@lo+4
	s_addc_u32 s11, s11, .str.4@rel32@hi+12
	s_cmp_lg_u64 s[10:11], 0
	s_cbranch_scc0 .LBB1_220
; %bb.143:
	s_getpc_b64 s[4:5]
	s_add_u32 s4, s4, .str.4@rel32@lo+80
	s_addc_u32 s5, s5, .str.4@rel32@hi+88
	s_waitcnt vmcnt(0)
	v_and_b32_e32 v30, 2, v0
	v_mov_b32_e32 v11, 0
	v_and_b32_e32 v6, -3, v0
	v_mov_b32_e32 v7, v1
	v_mov_b32_e32 v12, 2
	;; [unrolled: 1-line block ×3, first 2 shown]
	s_sub_i32 s12, s4, s10
	s_ashr_i32 s13, s12, 31
	s_branch .LBB1_145
.LBB1_144:                              ;   in Loop: Header=BB1_145 Depth=1
	s_or_b32 exec_lo, exec_lo, s18
	s_sub_u32 s12, s12, s14
	s_subb_u32 s13, s13, s15
	s_add_u32 s10, s10, s14
	s_addc_u32 s11, s11, s15
	s_cmp_lg_u64 s[12:13], 0
	s_cbranch_scc0 .LBB1_221
.LBB1_145:                              ; =>This Loop Header: Depth=1
                                        ;     Child Loop BB1_148 Depth 2
                                        ;     Child Loop BB1_155 Depth 2
                                        ;     Child Loop BB1_162 Depth 2
                                        ;     Child Loop BB1_169 Depth 2
                                        ;     Child Loop BB1_176 Depth 2
                                        ;     Child Loop BB1_183 Depth 2
                                        ;     Child Loop BB1_190 Depth 2
                                        ;     Child Loop BB1_197 Depth 2
                                        ;     Child Loop BB1_205 Depth 2
                                        ;     Child Loop BB1_214 Depth 2
                                        ;     Child Loop BB1_219 Depth 2
	v_cmp_lt_u64_e64 s4, s[12:13], 56
	v_cmp_gt_u64_e64 s16, s[12:13], 7
	s_and_b32 s4, s4, exec_lo
	s_cselect_b32 s15, s13, 0
	s_cselect_b32 s14, s12, 56
	s_add_u32 s4, s10, 8
	s_addc_u32 s5, s11, 0
	s_and_b32 vcc_lo, exec_lo, s16
	s_cbranch_vccnz .LBB1_150
; %bb.146:                              ;   in Loop: Header=BB1_145 Depth=1
	v_mov_b32_e32 v8, 0
	v_mov_b32_e32 v9, 0
	s_cmp_eq_u64 s[12:13], 0
	s_cbranch_scc1 .LBB1_149
; %bb.147:                              ;   in Loop: Header=BB1_145 Depth=1
	s_lshl_b64 s[4:5], s[14:15], 3
	s_mov_b64 s[16:17], 0
	s_mov_b64 s[18:19], s[10:11]
.LBB1_148:                              ;   Parent Loop BB1_145 Depth=1
                                        ; =>  This Inner Loop Header: Depth=2
	global_load_ubyte v2, v11, s[18:19]
	s_waitcnt vmcnt(0)
	v_and_b32_e32 v10, 0xffff, v2
	v_lshlrev_b64 v[2:3], s16, v[10:11]
	s_add_u32 s16, s16, 8
	s_addc_u32 s17, s17, 0
	s_add_u32 s18, s18, 1
	s_addc_u32 s19, s19, 0
	s_cmp_lg_u32 s4, s16
	v_or_b32_e32 v8, v2, v8
	v_or_b32_e32 v9, v3, v9
	s_cbranch_scc1 .LBB1_148
.LBB1_149:                              ;   in Loop: Header=BB1_145 Depth=1
	s_mov_b64 s[4:5], s[10:11]
	s_mov_b32 s20, 0
	s_cbranch_execz .LBB1_151
	s_branch .LBB1_152
.LBB1_150:                              ;   in Loop: Header=BB1_145 Depth=1
	s_mov_b32 s20, 0
.LBB1_151:                              ;   in Loop: Header=BB1_145 Depth=1
	global_load_dwordx2 v[8:9], v11, s[10:11]
	s_add_i32 s20, s14, -8
.LBB1_152:                              ;   in Loop: Header=BB1_145 Depth=1
	s_add_u32 s16, s4, 8
	s_addc_u32 s17, s5, 0
	s_cmp_gt_u32 s20, 7
	s_cbranch_scc1 .LBB1_157
; %bb.153:                              ;   in Loop: Header=BB1_145 Depth=1
	v_mov_b32_e32 v14, 0
	v_mov_b32_e32 v15, 0
	s_cmp_eq_u32 s20, 0
	s_cbranch_scc1 .LBB1_156
; %bb.154:                              ;   in Loop: Header=BB1_145 Depth=1
	s_mov_b64 s[16:17], 0
	s_mov_b64 s[18:19], 0
.LBB1_155:                              ;   Parent Loop BB1_145 Depth=1
                                        ; =>  This Inner Loop Header: Depth=2
	s_add_u32 s22, s4, s18
	s_addc_u32 s23, s5, s19
	s_add_u32 s18, s18, 1
	global_load_ubyte v2, v11, s[22:23]
	s_addc_u32 s19, s19, 0
	s_waitcnt vmcnt(0)
	v_and_b32_e32 v10, 0xffff, v2
	v_lshlrev_b64 v[2:3], s16, v[10:11]
	s_add_u32 s16, s16, 8
	s_addc_u32 s17, s17, 0
	s_cmp_lg_u32 s20, s18
	v_or_b32_e32 v14, v2, v14
	v_or_b32_e32 v15, v3, v15
	s_cbranch_scc1 .LBB1_155
.LBB1_156:                              ;   in Loop: Header=BB1_145 Depth=1
	s_mov_b64 s[16:17], s[4:5]
	s_mov_b32 s21, 0
	s_cbranch_execz .LBB1_158
	s_branch .LBB1_159
.LBB1_157:                              ;   in Loop: Header=BB1_145 Depth=1
                                        ; implicit-def: $vgpr14_vgpr15
	s_mov_b32 s21, 0
.LBB1_158:                              ;   in Loop: Header=BB1_145 Depth=1
	global_load_dwordx2 v[14:15], v11, s[4:5]
	s_add_i32 s21, s20, -8
.LBB1_159:                              ;   in Loop: Header=BB1_145 Depth=1
	s_add_u32 s4, s16, 8
	s_addc_u32 s5, s17, 0
	s_cmp_gt_u32 s21, 7
	s_cbranch_scc1 .LBB1_164
; %bb.160:                              ;   in Loop: Header=BB1_145 Depth=1
	v_mov_b32_e32 v16, 0
	v_mov_b32_e32 v17, 0
	s_cmp_eq_u32 s21, 0
	s_cbranch_scc1 .LBB1_163
; %bb.161:                              ;   in Loop: Header=BB1_145 Depth=1
	s_mov_b64 s[4:5], 0
	s_mov_b64 s[18:19], 0
.LBB1_162:                              ;   Parent Loop BB1_145 Depth=1
                                        ; =>  This Inner Loop Header: Depth=2
	s_add_u32 s22, s16, s18
	s_addc_u32 s23, s17, s19
	s_add_u32 s18, s18, 1
	global_load_ubyte v2, v11, s[22:23]
	s_addc_u32 s19, s19, 0
	s_waitcnt vmcnt(0)
	v_and_b32_e32 v10, 0xffff, v2
	v_lshlrev_b64 v[2:3], s4, v[10:11]
	s_add_u32 s4, s4, 8
	s_addc_u32 s5, s5, 0
	s_cmp_lg_u32 s21, s18
	v_or_b32_e32 v16, v2, v16
	v_or_b32_e32 v17, v3, v17
	s_cbranch_scc1 .LBB1_162
.LBB1_163:                              ;   in Loop: Header=BB1_145 Depth=1
	s_mov_b64 s[4:5], s[16:17]
	s_mov_b32 s20, 0
	s_cbranch_execz .LBB1_165
	s_branch .LBB1_166
.LBB1_164:                              ;   in Loop: Header=BB1_145 Depth=1
	s_mov_b32 s20, 0
.LBB1_165:                              ;   in Loop: Header=BB1_145 Depth=1
	global_load_dwordx2 v[16:17], v11, s[16:17]
	s_add_i32 s20, s21, -8
.LBB1_166:                              ;   in Loop: Header=BB1_145 Depth=1
	s_add_u32 s16, s4, 8
	s_addc_u32 s17, s5, 0
	s_cmp_gt_u32 s20, 7
	s_cbranch_scc1 .LBB1_171
; %bb.167:                              ;   in Loop: Header=BB1_145 Depth=1
	v_mov_b32_e32 v18, 0
	v_mov_b32_e32 v19, 0
	s_cmp_eq_u32 s20, 0
	s_cbranch_scc1 .LBB1_170
; %bb.168:                              ;   in Loop: Header=BB1_145 Depth=1
	s_mov_b64 s[16:17], 0
	s_mov_b64 s[18:19], 0
.LBB1_169:                              ;   Parent Loop BB1_145 Depth=1
                                        ; =>  This Inner Loop Header: Depth=2
	s_add_u32 s22, s4, s18
	s_addc_u32 s23, s5, s19
	s_add_u32 s18, s18, 1
	global_load_ubyte v2, v11, s[22:23]
	s_addc_u32 s19, s19, 0
	s_waitcnt vmcnt(0)
	v_and_b32_e32 v10, 0xffff, v2
	v_lshlrev_b64 v[2:3], s16, v[10:11]
	s_add_u32 s16, s16, 8
	s_addc_u32 s17, s17, 0
	s_cmp_lg_u32 s20, s18
	v_or_b32_e32 v18, v2, v18
	v_or_b32_e32 v19, v3, v19
	s_cbranch_scc1 .LBB1_169
.LBB1_170:                              ;   in Loop: Header=BB1_145 Depth=1
	s_mov_b64 s[16:17], s[4:5]
	s_mov_b32 s21, 0
	s_cbranch_execz .LBB1_172
	s_branch .LBB1_173
.LBB1_171:                              ;   in Loop: Header=BB1_145 Depth=1
                                        ; implicit-def: $vgpr18_vgpr19
	s_mov_b32 s21, 0
.LBB1_172:                              ;   in Loop: Header=BB1_145 Depth=1
	global_load_dwordx2 v[18:19], v11, s[4:5]
	s_add_i32 s21, s20, -8
.LBB1_173:                              ;   in Loop: Header=BB1_145 Depth=1
	s_add_u32 s4, s16, 8
	s_addc_u32 s5, s17, 0
	s_cmp_gt_u32 s21, 7
	s_cbranch_scc1 .LBB1_178
; %bb.174:                              ;   in Loop: Header=BB1_145 Depth=1
	v_mov_b32_e32 v20, 0
	v_mov_b32_e32 v21, 0
	s_cmp_eq_u32 s21, 0
	s_cbranch_scc1 .LBB1_177
; %bb.175:                              ;   in Loop: Header=BB1_145 Depth=1
	s_mov_b64 s[4:5], 0
	s_mov_b64 s[18:19], 0
.LBB1_176:                              ;   Parent Loop BB1_145 Depth=1
                                        ; =>  This Inner Loop Header: Depth=2
	s_add_u32 s22, s16, s18
	s_addc_u32 s23, s17, s19
	s_add_u32 s18, s18, 1
	global_load_ubyte v2, v11, s[22:23]
	s_addc_u32 s19, s19, 0
	s_waitcnt vmcnt(0)
	v_and_b32_e32 v10, 0xffff, v2
	v_lshlrev_b64 v[2:3], s4, v[10:11]
	s_add_u32 s4, s4, 8
	s_addc_u32 s5, s5, 0
	s_cmp_lg_u32 s21, s18
	v_or_b32_e32 v20, v2, v20
	v_or_b32_e32 v21, v3, v21
	s_cbranch_scc1 .LBB1_176
.LBB1_177:                              ;   in Loop: Header=BB1_145 Depth=1
	s_mov_b64 s[4:5], s[16:17]
	s_mov_b32 s20, 0
	s_cbranch_execz .LBB1_179
	s_branch .LBB1_180
.LBB1_178:                              ;   in Loop: Header=BB1_145 Depth=1
	s_mov_b32 s20, 0
.LBB1_179:                              ;   in Loop: Header=BB1_145 Depth=1
	global_load_dwordx2 v[20:21], v11, s[16:17]
	s_add_i32 s20, s21, -8
.LBB1_180:                              ;   in Loop: Header=BB1_145 Depth=1
	s_add_u32 s16, s4, 8
	s_addc_u32 s17, s5, 0
	s_cmp_gt_u32 s20, 7
	s_cbranch_scc1 .LBB1_185
; %bb.181:                              ;   in Loop: Header=BB1_145 Depth=1
	v_mov_b32_e32 v22, 0
	v_mov_b32_e32 v23, 0
	s_cmp_eq_u32 s20, 0
	s_cbranch_scc1 .LBB1_184
; %bb.182:                              ;   in Loop: Header=BB1_145 Depth=1
	s_mov_b64 s[16:17], 0
	s_mov_b64 s[18:19], 0
.LBB1_183:                              ;   Parent Loop BB1_145 Depth=1
                                        ; =>  This Inner Loop Header: Depth=2
	s_add_u32 s22, s4, s18
	s_addc_u32 s23, s5, s19
	s_add_u32 s18, s18, 1
	global_load_ubyte v2, v11, s[22:23]
	s_addc_u32 s19, s19, 0
	s_waitcnt vmcnt(0)
	v_and_b32_e32 v10, 0xffff, v2
	v_lshlrev_b64 v[2:3], s16, v[10:11]
	s_add_u32 s16, s16, 8
	s_addc_u32 s17, s17, 0
	s_cmp_lg_u32 s20, s18
	v_or_b32_e32 v22, v2, v22
	v_or_b32_e32 v23, v3, v23
	s_cbranch_scc1 .LBB1_183
.LBB1_184:                              ;   in Loop: Header=BB1_145 Depth=1
	s_mov_b64 s[16:17], s[4:5]
	s_mov_b32 s21, 0
	s_cbranch_execz .LBB1_186
	s_branch .LBB1_187
.LBB1_185:                              ;   in Loop: Header=BB1_145 Depth=1
                                        ; implicit-def: $vgpr22_vgpr23
	s_mov_b32 s21, 0
.LBB1_186:                              ;   in Loop: Header=BB1_145 Depth=1
	global_load_dwordx2 v[22:23], v11, s[4:5]
	s_add_i32 s21, s20, -8
.LBB1_187:                              ;   in Loop: Header=BB1_145 Depth=1
	s_cmp_gt_u32 s21, 7
	s_cbranch_scc1 .LBB1_192
; %bb.188:                              ;   in Loop: Header=BB1_145 Depth=1
	v_mov_b32_e32 v24, 0
	v_mov_b32_e32 v25, 0
	s_cmp_eq_u32 s21, 0
	s_cbranch_scc1 .LBB1_191
; %bb.189:                              ;   in Loop: Header=BB1_145 Depth=1
	s_mov_b64 s[4:5], 0
	s_mov_b64 s[18:19], s[16:17]
.LBB1_190:                              ;   Parent Loop BB1_145 Depth=1
                                        ; =>  This Inner Loop Header: Depth=2
	global_load_ubyte v2, v11, s[18:19]
	s_add_i32 s21, s21, -1
	s_waitcnt vmcnt(0)
	v_and_b32_e32 v10, 0xffff, v2
	v_lshlrev_b64 v[2:3], s4, v[10:11]
	s_add_u32 s4, s4, 8
	s_addc_u32 s5, s5, 0
	s_add_u32 s18, s18, 1
	s_addc_u32 s19, s19, 0
	s_cmp_lg_u32 s21, 0
	v_or_b32_e32 v24, v2, v24
	v_or_b32_e32 v25, v3, v25
	s_cbranch_scc1 .LBB1_190
.LBB1_191:                              ;   in Loop: Header=BB1_145 Depth=1
	s_cbranch_execz .LBB1_193
	s_branch .LBB1_194
.LBB1_192:                              ;   in Loop: Header=BB1_145 Depth=1
.LBB1_193:                              ;   in Loop: Header=BB1_145 Depth=1
	global_load_dwordx2 v[24:25], v11, s[16:17]
.LBB1_194:                              ;   in Loop: Header=BB1_145 Depth=1
	v_readfirstlane_b32 s4, v32
	v_mov_b32_e32 v2, 0
	v_mov_b32_e32 v3, 0
	v_cmp_eq_u32_e64 s4, s4, v32
	s_and_saveexec_b32 s5, s4
	s_cbranch_execz .LBB1_200
; %bb.195:                              ;   in Loop: Header=BB1_145 Depth=1
	global_load_dwordx2 v[28:29], v11, s[6:7] offset:24 glc dlc
	s_waitcnt vmcnt(0)
	buffer_gl1_inv
	buffer_gl0_inv
	s_clause 0x1
	global_load_dwordx2 v[2:3], v11, s[6:7] offset:40
	global_load_dwordx2 v[26:27], v11, s[6:7]
	s_mov_b32 s16, exec_lo
	s_waitcnt vmcnt(1)
	v_and_b32_e32 v3, v3, v29
	v_and_b32_e32 v2, v2, v28
	v_mul_lo_u32 v3, v3, 24
	v_mul_hi_u32 v10, v2, 24
	v_mul_lo_u32 v2, v2, 24
	v_add_nc_u32_e32 v3, v10, v3
	s_waitcnt vmcnt(0)
	v_add_co_u32 v2, vcc_lo, v26, v2
	v_add_co_ci_u32_e64 v3, null, v27, v3, vcc_lo
	global_load_dwordx2 v[26:27], v[2:3], off glc dlc
	s_waitcnt vmcnt(0)
	global_atomic_cmpswap_x2 v[2:3], v11, v[26:29], s[6:7] offset:24 glc
	s_waitcnt vmcnt(0)
	buffer_gl1_inv
	buffer_gl0_inv
	v_cmpx_ne_u64_e64 v[2:3], v[28:29]
	s_cbranch_execz .LBB1_199
; %bb.196:                              ;   in Loop: Header=BB1_145 Depth=1
	s_mov_b32 s17, 0
	.p2align	6
.LBB1_197:                              ;   Parent Loop BB1_145 Depth=1
                                        ; =>  This Inner Loop Header: Depth=2
	s_sleep 1
	s_clause 0x1
	global_load_dwordx2 v[26:27], v11, s[6:7] offset:40
	global_load_dwordx2 v[34:35], v11, s[6:7]
	v_mov_b32_e32 v29, v3
	v_mov_b32_e32 v28, v2
	s_waitcnt vmcnt(1)
	v_and_b32_e32 v2, v26, v28
	v_and_b32_e32 v10, v27, v29
	s_waitcnt vmcnt(0)
	v_mad_u64_u32 v[2:3], null, v2, 24, v[34:35]
	v_mad_u64_u32 v[26:27], null, v10, 24, v[3:4]
	v_mov_b32_e32 v3, v26
	global_load_dwordx2 v[26:27], v[2:3], off glc dlc
	s_waitcnt vmcnt(0)
	global_atomic_cmpswap_x2 v[2:3], v11, v[26:29], s[6:7] offset:24 glc
	s_waitcnt vmcnt(0)
	buffer_gl1_inv
	buffer_gl0_inv
	v_cmp_eq_u64_e32 vcc_lo, v[2:3], v[28:29]
	s_or_b32 s17, vcc_lo, s17
	s_andn2_b32 exec_lo, exec_lo, s17
	s_cbranch_execnz .LBB1_197
; %bb.198:                              ;   in Loop: Header=BB1_145 Depth=1
	s_or_b32 exec_lo, exec_lo, s17
.LBB1_199:                              ;   in Loop: Header=BB1_145 Depth=1
	s_or_b32 exec_lo, exec_lo, s16
.LBB1_200:                              ;   in Loop: Header=BB1_145 Depth=1
	s_or_b32 exec_lo, exec_lo, s5
	s_clause 0x1
	global_load_dwordx2 v[34:35], v11, s[6:7] offset:40
	global_load_dwordx4 v[26:29], v11, s[6:7]
	v_readfirstlane_b32 s17, v3
	v_readfirstlane_b32 s16, v2
	s_mov_b32 s5, exec_lo
	s_waitcnt vmcnt(1)
	v_readfirstlane_b32 s18, v34
	v_readfirstlane_b32 s19, v35
	s_and_b64 s[18:19], s[18:19], s[16:17]
	s_mul_i32 s20, s19, 24
	s_mul_hi_u32 s21, s18, 24
	s_mul_i32 s22, s18, 24
	s_add_i32 s21, s21, s20
	s_waitcnt vmcnt(0)
	v_add_co_u32 v2, vcc_lo, v26, s22
	v_add_co_ci_u32_e64 v3, null, s21, v27, vcc_lo
	s_and_saveexec_b32 s20, s4
	s_cbranch_execz .LBB1_202
; %bb.201:                              ;   in Loop: Header=BB1_145 Depth=1
	v_mov_b32_e32 v10, s5
	global_store_dwordx4 v[2:3], v[10:13], off offset:8
.LBB1_202:                              ;   in Loop: Header=BB1_145 Depth=1
	s_or_b32 exec_lo, exec_lo, s20
	v_cmp_lt_u64_e64 vcc_lo, s[12:13], 57
	s_lshl_b64 s[18:19], s[18:19], 12
	v_and_b32_e32 v6, 0xffffff1f, v6
	s_lshl_b32 s5, s14, 2
	s_add_i32 s5, s5, 28
	v_cndmask_b32_e32 v10, 0, v30, vcc_lo
	v_add_co_u32 v28, vcc_lo, v28, s18
	v_add_co_ci_u32_e64 v29, null, s19, v29, vcc_lo
	v_or_b32_e32 v6, v6, v10
	v_readfirstlane_b32 s18, v28
	v_readfirstlane_b32 s19, v29
	v_and_or_b32 v6, 0x1e0, s5, v6
	global_store_dwordx4 v33, v[14:17], s[18:19] offset:16
	global_store_dwordx4 v33, v[6:9], s[18:19]
	global_store_dwordx4 v33, v[18:21], s[18:19] offset:32
	global_store_dwordx4 v33, v[22:25], s[18:19] offset:48
	s_and_saveexec_b32 s5, s4
	s_cbranch_execz .LBB1_210
; %bb.203:                              ;   in Loop: Header=BB1_145 Depth=1
	s_clause 0x1
	global_load_dwordx2 v[18:19], v11, s[6:7] offset:32 glc dlc
	global_load_dwordx2 v[6:7], v11, s[6:7] offset:40
	v_mov_b32_e32 v16, s16
	v_mov_b32_e32 v17, s17
	s_waitcnt vmcnt(0)
	v_readfirstlane_b32 s18, v6
	v_readfirstlane_b32 s19, v7
	s_and_b64 s[18:19], s[18:19], s[16:17]
	s_mul_i32 s19, s19, 24
	s_mul_hi_u32 s20, s18, 24
	s_mul_i32 s18, s18, 24
	s_add_i32 s20, s20, s19
	v_add_co_u32 v14, vcc_lo, v26, s18
	v_add_co_ci_u32_e64 v15, null, s20, v27, vcc_lo
	s_mov_b32 s18, exec_lo
	global_store_dwordx2 v[14:15], v[18:19], off
	s_waitcnt_vscnt null, 0x0
	global_atomic_cmpswap_x2 v[8:9], v11, v[16:19], s[6:7] offset:32 glc
	s_waitcnt vmcnt(0)
	v_cmpx_ne_u64_e64 v[8:9], v[18:19]
	s_cbranch_execz .LBB1_206
; %bb.204:                              ;   in Loop: Header=BB1_145 Depth=1
	s_mov_b32 s19, 0
.LBB1_205:                              ;   Parent Loop BB1_145 Depth=1
                                        ; =>  This Inner Loop Header: Depth=2
	v_mov_b32_e32 v6, s16
	v_mov_b32_e32 v7, s17
	s_sleep 1
	global_store_dwordx2 v[14:15], v[8:9], off
	s_waitcnt_vscnt null, 0x0
	global_atomic_cmpswap_x2 v[6:7], v11, v[6:9], s[6:7] offset:32 glc
	s_waitcnt vmcnt(0)
	v_cmp_eq_u64_e32 vcc_lo, v[6:7], v[8:9]
	v_mov_b32_e32 v9, v7
	v_mov_b32_e32 v8, v6
	s_or_b32 s19, vcc_lo, s19
	s_andn2_b32 exec_lo, exec_lo, s19
	s_cbranch_execnz .LBB1_205
.LBB1_206:                              ;   in Loop: Header=BB1_145 Depth=1
	s_or_b32 exec_lo, exec_lo, s18
	global_load_dwordx2 v[6:7], v11, s[6:7] offset:16
	s_mov_b32 s19, exec_lo
	s_mov_b32 s18, exec_lo
	v_mbcnt_lo_u32_b32 v8, s19, 0
	v_cmpx_eq_u32_e32 0, v8
	s_cbranch_execz .LBB1_208
; %bb.207:                              ;   in Loop: Header=BB1_145 Depth=1
	s_bcnt1_i32_b32 s19, s19
	v_mov_b32_e32 v10, s19
	s_waitcnt vmcnt(0)
	global_atomic_add_x2 v[6:7], v[10:11], off offset:8
.LBB1_208:                              ;   in Loop: Header=BB1_145 Depth=1
	s_or_b32 exec_lo, exec_lo, s18
	s_waitcnt vmcnt(0)
	global_load_dwordx2 v[8:9], v[6:7], off offset:16
	s_waitcnt vmcnt(0)
	v_cmp_eq_u64_e32 vcc_lo, 0, v[8:9]
	s_cbranch_vccnz .LBB1_210
; %bb.209:                              ;   in Loop: Header=BB1_145 Depth=1
	global_load_dword v10, v[6:7], off offset:24
	s_waitcnt vmcnt(0)
	v_readfirstlane_b32 s18, v10
	s_waitcnt_vscnt null, 0x0
	global_store_dwordx2 v[8:9], v[10:11], off
	s_and_b32 m0, s18, 0x7fffff
	s_sendmsg sendmsg(MSG_INTERRUPT)
.LBB1_210:                              ;   in Loop: Header=BB1_145 Depth=1
	s_or_b32 exec_lo, exec_lo, s5
	v_add_co_u32 v6, vcc_lo, v28, v33
	v_add_co_ci_u32_e64 v7, null, 0, v29, vcc_lo
	s_branch .LBB1_214
	.p2align	6
.LBB1_211:                              ;   in Loop: Header=BB1_214 Depth=2
	s_or_b32 exec_lo, exec_lo, s5
	v_readfirstlane_b32 s5, v8
	s_cmp_eq_u32 s5, 0
	s_cbranch_scc1 .LBB1_213
; %bb.212:                              ;   in Loop: Header=BB1_214 Depth=2
	s_sleep 1
	s_cbranch_execnz .LBB1_214
	s_branch .LBB1_216
	.p2align	6
.LBB1_213:                              ;   in Loop: Header=BB1_145 Depth=1
	s_branch .LBB1_216
.LBB1_214:                              ;   Parent Loop BB1_145 Depth=1
                                        ; =>  This Inner Loop Header: Depth=2
	v_mov_b32_e32 v8, 1
	s_and_saveexec_b32 s5, s4
	s_cbranch_execz .LBB1_211
; %bb.215:                              ;   in Loop: Header=BB1_214 Depth=2
	global_load_dword v8, v[2:3], off offset:20 glc dlc
	s_waitcnt vmcnt(0)
	buffer_gl1_inv
	buffer_gl0_inv
	v_and_b32_e32 v8, 1, v8
	s_branch .LBB1_211
.LBB1_216:                              ;   in Loop: Header=BB1_145 Depth=1
	global_load_dwordx2 v[6:7], v[6:7], off
	s_and_saveexec_b32 s18, s4
	s_cbranch_execz .LBB1_144
; %bb.217:                              ;   in Loop: Header=BB1_145 Depth=1
	s_clause 0x2
	global_load_dwordx2 v[2:3], v11, s[6:7] offset:40
	global_load_dwordx2 v[18:19], v11, s[6:7] offset:24 glc dlc
	global_load_dwordx2 v[8:9], v11, s[6:7]
	s_waitcnt vmcnt(2)
	v_readfirstlane_b32 s20, v2
	v_readfirstlane_b32 s21, v3
	s_add_u32 s19, s20, 1
	s_addc_u32 s22, s21, 0
	s_add_u32 s4, s19, s16
	s_addc_u32 s5, s22, s17
	s_cmp_eq_u64 s[4:5], 0
	s_cselect_b32 s5, s22, s5
	s_cselect_b32 s4, s19, s4
	v_mov_b32_e32 v17, s5
	s_and_b64 s[16:17], s[4:5], s[20:21]
	v_mov_b32_e32 v16, s4
	s_mul_i32 s17, s17, 24
	s_mul_hi_u32 s19, s16, 24
	s_mul_i32 s16, s16, 24
	s_add_i32 s19, s19, s17
	s_waitcnt vmcnt(0)
	v_add_co_u32 v2, vcc_lo, v8, s16
	v_add_co_ci_u32_e64 v3, null, s19, v9, vcc_lo
	global_store_dwordx2 v[2:3], v[18:19], off
	s_waitcnt_vscnt null, 0x0
	global_atomic_cmpswap_x2 v[16:17], v11, v[16:19], s[6:7] offset:24 glc
	s_waitcnt vmcnt(0)
	v_cmp_ne_u64_e32 vcc_lo, v[16:17], v[18:19]
	s_and_b32 exec_lo, exec_lo, vcc_lo
	s_cbranch_execz .LBB1_144
; %bb.218:                              ;   in Loop: Header=BB1_145 Depth=1
	s_mov_b32 s16, 0
.LBB1_219:                              ;   Parent Loop BB1_145 Depth=1
                                        ; =>  This Inner Loop Header: Depth=2
	v_mov_b32_e32 v14, s4
	v_mov_b32_e32 v15, s5
	s_sleep 1
	global_store_dwordx2 v[2:3], v[16:17], off
	s_waitcnt_vscnt null, 0x0
	global_atomic_cmpswap_x2 v[8:9], v11, v[14:17], s[6:7] offset:24 glc
	s_waitcnt vmcnt(0)
	v_cmp_eq_u64_e32 vcc_lo, v[8:9], v[16:17]
	v_mov_b32_e32 v17, v9
	v_mov_b32_e32 v16, v8
	s_or_b32 s16, vcc_lo, s16
	s_andn2_b32 exec_lo, exec_lo, s16
	s_cbranch_execnz .LBB1_219
	s_branch .LBB1_144
.LBB1_220:
                                        ; implicit-def: $vgpr6_vgpr7
	s_cbranch_execnz .LBB1_222
	s_branch .LBB1_249
.LBB1_221:
	s_branch .LBB1_249
.LBB1_222:
	v_readfirstlane_b32 s4, v32
	v_mov_b32_e32 v10, 0
	v_mov_b32_e32 v11, 0
	v_cmp_eq_u32_e64 s4, s4, v32
	s_and_saveexec_b32 s5, s4
	s_cbranch_execz .LBB1_228
; %bb.223:
	v_mov_b32_e32 v2, 0
	s_mov_b32 s10, exec_lo
	global_load_dwordx2 v[8:9], v2, s[6:7] offset:24 glc dlc
	s_waitcnt vmcnt(0)
	buffer_gl1_inv
	buffer_gl0_inv
	s_clause 0x1
	global_load_dwordx2 v[6:7], v2, s[6:7] offset:40
	global_load_dwordx2 v[10:11], v2, s[6:7]
	s_waitcnt vmcnt(1)
	v_and_b32_e32 v3, v7, v9
	v_and_b32_e32 v6, v6, v8
	v_mul_lo_u32 v3, v3, 24
	v_mul_hi_u32 v7, v6, 24
	v_mul_lo_u32 v6, v6, 24
	v_add_nc_u32_e32 v3, v7, v3
	s_waitcnt vmcnt(0)
	v_add_co_u32 v6, vcc_lo, v10, v6
	v_add_co_ci_u32_e64 v7, null, v11, v3, vcc_lo
	global_load_dwordx2 v[6:7], v[6:7], off glc dlc
	s_waitcnt vmcnt(0)
	global_atomic_cmpswap_x2 v[10:11], v2, v[6:9], s[6:7] offset:24 glc
	s_waitcnt vmcnt(0)
	buffer_gl1_inv
	buffer_gl0_inv
	v_cmpx_ne_u64_e64 v[10:11], v[8:9]
	s_cbranch_execz .LBB1_227
; %bb.224:
	s_mov_b32 s11, 0
	.p2align	6
.LBB1_225:                              ; =>This Inner Loop Header: Depth=1
	s_sleep 1
	s_clause 0x1
	global_load_dwordx2 v[6:7], v2, s[6:7] offset:40
	global_load_dwordx2 v[12:13], v2, s[6:7]
	v_mov_b32_e32 v8, v10
	v_mov_b32_e32 v9, v11
	s_waitcnt vmcnt(1)
	v_and_b32_e32 v3, v6, v8
	v_and_b32_e32 v6, v7, v9
	s_waitcnt vmcnt(0)
	v_mad_u64_u32 v[10:11], null, v3, 24, v[12:13]
	v_mov_b32_e32 v3, v11
	v_mad_u64_u32 v[6:7], null, v6, 24, v[3:4]
	v_mov_b32_e32 v11, v6
	global_load_dwordx2 v[6:7], v[10:11], off glc dlc
	s_waitcnt vmcnt(0)
	global_atomic_cmpswap_x2 v[10:11], v2, v[6:9], s[6:7] offset:24 glc
	s_waitcnt vmcnt(0)
	buffer_gl1_inv
	buffer_gl0_inv
	v_cmp_eq_u64_e32 vcc_lo, v[10:11], v[8:9]
	s_or_b32 s11, vcc_lo, s11
	s_andn2_b32 exec_lo, exec_lo, s11
	s_cbranch_execnz .LBB1_225
; %bb.226:
	s_or_b32 exec_lo, exec_lo, s11
.LBB1_227:
	s_or_b32 exec_lo, exec_lo, s10
.LBB1_228:
	s_or_b32 exec_lo, exec_lo, s5
	v_mov_b32_e32 v2, 0
	v_readfirstlane_b32 s11, v11
	v_readfirstlane_b32 s10, v10
	s_mov_b32 s5, exec_lo
	s_clause 0x1
	global_load_dwordx2 v[12:13], v2, s[6:7] offset:40
	global_load_dwordx4 v[6:9], v2, s[6:7]
	s_waitcnt vmcnt(1)
	v_readfirstlane_b32 s12, v12
	v_readfirstlane_b32 s13, v13
	s_and_b64 s[12:13], s[12:13], s[10:11]
	s_mul_i32 s14, s13, 24
	s_mul_hi_u32 s15, s12, 24
	s_mul_i32 s16, s12, 24
	s_add_i32 s15, s15, s14
	s_waitcnt vmcnt(0)
	v_add_co_u32 v10, vcc_lo, v6, s16
	v_add_co_ci_u32_e64 v11, null, s15, v7, vcc_lo
	s_and_saveexec_b32 s14, s4
	s_cbranch_execz .LBB1_230
; %bb.229:
	v_mov_b32_e32 v12, s5
	v_mov_b32_e32 v13, v2
	;; [unrolled: 1-line block ×4, first 2 shown]
	global_store_dwordx4 v[10:11], v[12:15], off offset:8
.LBB1_230:
	s_or_b32 exec_lo, exec_lo, s14
	s_lshl_b64 s[12:13], s[12:13], 12
	v_and_or_b32 v0, 0xffffff1f, v0, 32
	v_add_co_u32 v8, vcc_lo, v8, s12
	v_add_co_ci_u32_e64 v9, null, s13, v9, vcc_lo
	s_mov_b32 s12, 0
	v_readfirstlane_b32 s16, v8
	v_add_co_u32 v8, vcc_lo, v8, v33
	s_mov_b32 s13, s12
	s_mov_b32 s14, s12
	;; [unrolled: 1-line block ×3, first 2 shown]
	v_mov_b32_e32 v3, v2
	v_readfirstlane_b32 s17, v9
	v_mov_b32_e32 v12, s12
	v_add_co_ci_u32_e64 v9, null, 0, v9, vcc_lo
	v_mov_b32_e32 v13, s13
	v_mov_b32_e32 v14, s14
	;; [unrolled: 1-line block ×3, first 2 shown]
	global_store_dwordx4 v33, v[0:3], s[16:17]
	global_store_dwordx4 v33, v[12:15], s[16:17] offset:16
	global_store_dwordx4 v33, v[12:15], s[16:17] offset:32
	;; [unrolled: 1-line block ×3, first 2 shown]
	s_and_saveexec_b32 s5, s4
	s_cbranch_execz .LBB1_238
; %bb.231:
	v_mov_b32_e32 v12, 0
	v_mov_b32_e32 v13, s10
	;; [unrolled: 1-line block ×3, first 2 shown]
	s_clause 0x1
	global_load_dwordx2 v[15:16], v12, s[6:7] offset:32 glc dlc
	global_load_dwordx2 v[0:1], v12, s[6:7] offset:40
	s_waitcnt vmcnt(0)
	v_readfirstlane_b32 s12, v0
	v_readfirstlane_b32 s13, v1
	s_and_b64 s[12:13], s[12:13], s[10:11]
	s_mul_i32 s13, s13, 24
	s_mul_hi_u32 s14, s12, 24
	s_mul_i32 s12, s12, 24
	s_add_i32 s14, s14, s13
	v_add_co_u32 v6, vcc_lo, v6, s12
	v_add_co_ci_u32_e64 v7, null, s14, v7, vcc_lo
	s_mov_b32 s12, exec_lo
	global_store_dwordx2 v[6:7], v[15:16], off
	s_waitcnt_vscnt null, 0x0
	global_atomic_cmpswap_x2 v[2:3], v12, v[13:16], s[6:7] offset:32 glc
	s_waitcnt vmcnt(0)
	v_cmpx_ne_u64_e64 v[2:3], v[15:16]
	s_cbranch_execz .LBB1_234
; %bb.232:
	s_mov_b32 s13, 0
.LBB1_233:                              ; =>This Inner Loop Header: Depth=1
	v_mov_b32_e32 v0, s10
	v_mov_b32_e32 v1, s11
	s_sleep 1
	global_store_dwordx2 v[6:7], v[2:3], off
	s_waitcnt_vscnt null, 0x0
	global_atomic_cmpswap_x2 v[0:1], v12, v[0:3], s[6:7] offset:32 glc
	s_waitcnt vmcnt(0)
	v_cmp_eq_u64_e32 vcc_lo, v[0:1], v[2:3]
	v_mov_b32_e32 v3, v1
	v_mov_b32_e32 v2, v0
	s_or_b32 s13, vcc_lo, s13
	s_andn2_b32 exec_lo, exec_lo, s13
	s_cbranch_execnz .LBB1_233
.LBB1_234:
	s_or_b32 exec_lo, exec_lo, s12
	v_mov_b32_e32 v3, 0
	s_mov_b32 s13, exec_lo
	s_mov_b32 s12, exec_lo
	v_mbcnt_lo_u32_b32 v2, s13, 0
	global_load_dwordx2 v[0:1], v3, s[6:7] offset:16
	v_cmpx_eq_u32_e32 0, v2
	s_cbranch_execz .LBB1_236
; %bb.235:
	s_bcnt1_i32_b32 s13, s13
	v_mov_b32_e32 v2, s13
	s_waitcnt vmcnt(0)
	global_atomic_add_x2 v[0:1], v[2:3], off offset:8
.LBB1_236:
	s_or_b32 exec_lo, exec_lo, s12
	s_waitcnt vmcnt(0)
	global_load_dwordx2 v[2:3], v[0:1], off offset:16
	s_waitcnt vmcnt(0)
	v_cmp_eq_u64_e32 vcc_lo, 0, v[2:3]
	s_cbranch_vccnz .LBB1_238
; %bb.237:
	global_load_dword v0, v[0:1], off offset:24
	v_mov_b32_e32 v1, 0
	s_waitcnt vmcnt(0)
	v_readfirstlane_b32 s12, v0
	s_waitcnt_vscnt null, 0x0
	global_store_dwordx2 v[2:3], v[0:1], off
	s_and_b32 m0, s12, 0x7fffff
	s_sendmsg sendmsg(MSG_INTERRUPT)
.LBB1_238:
	s_or_b32 exec_lo, exec_lo, s5
	s_branch .LBB1_242
	.p2align	6
.LBB1_239:                              ;   in Loop: Header=BB1_242 Depth=1
	s_or_b32 exec_lo, exec_lo, s5
	v_readfirstlane_b32 s5, v0
	s_cmp_eq_u32 s5, 0
	s_cbranch_scc1 .LBB1_241
; %bb.240:                              ;   in Loop: Header=BB1_242 Depth=1
	s_sleep 1
	s_cbranch_execnz .LBB1_242
	s_branch .LBB1_244
	.p2align	6
.LBB1_241:
	s_branch .LBB1_244
.LBB1_242:                              ; =>This Inner Loop Header: Depth=1
	v_mov_b32_e32 v0, 1
	s_and_saveexec_b32 s5, s4
	s_cbranch_execz .LBB1_239
; %bb.243:                              ;   in Loop: Header=BB1_242 Depth=1
	global_load_dword v0, v[10:11], off offset:20 glc dlc
	s_waitcnt vmcnt(0)
	buffer_gl1_inv
	buffer_gl0_inv
	v_and_b32_e32 v0, 1, v0
	s_branch .LBB1_239
.LBB1_244:
	global_load_dwordx2 v[6:7], v[8:9], off
	s_and_saveexec_b32 s12, s4
	s_cbranch_execz .LBB1_248
; %bb.245:
	v_mov_b32_e32 v10, 0
	s_clause 0x2
	global_load_dwordx2 v[0:1], v10, s[6:7] offset:40
	global_load_dwordx2 v[13:14], v10, s[6:7] offset:24 glc dlc
	global_load_dwordx2 v[2:3], v10, s[6:7]
	s_waitcnt vmcnt(2)
	v_readfirstlane_b32 s14, v0
	v_readfirstlane_b32 s15, v1
	s_add_u32 s13, s14, 1
	s_addc_u32 s16, s15, 0
	s_add_u32 s4, s13, s10
	s_addc_u32 s5, s16, s11
	s_cmp_eq_u64 s[4:5], 0
	s_cselect_b32 s5, s16, s5
	s_cselect_b32 s4, s13, s4
	v_mov_b32_e32 v12, s5
	s_and_b64 s[10:11], s[4:5], s[14:15]
	v_mov_b32_e32 v11, s4
	s_mul_i32 s11, s11, 24
	s_mul_hi_u32 s13, s10, 24
	s_mul_i32 s10, s10, 24
	s_add_i32 s13, s13, s11
	s_waitcnt vmcnt(0)
	v_add_co_u32 v8, vcc_lo, v2, s10
	v_add_co_ci_u32_e64 v9, null, s13, v3, vcc_lo
	global_store_dwordx2 v[8:9], v[13:14], off
	s_waitcnt_vscnt null, 0x0
	global_atomic_cmpswap_x2 v[2:3], v10, v[11:14], s[6:7] offset:24 glc
	s_waitcnt vmcnt(0)
	v_cmp_ne_u64_e32 vcc_lo, v[2:3], v[13:14]
	s_and_b32 exec_lo, exec_lo, vcc_lo
	s_cbranch_execz .LBB1_248
; %bb.246:
	s_mov_b32 s10, 0
.LBB1_247:                              ; =>This Inner Loop Header: Depth=1
	v_mov_b32_e32 v0, s4
	v_mov_b32_e32 v1, s5
	s_sleep 1
	global_store_dwordx2 v[8:9], v[2:3], off
	s_waitcnt_vscnt null, 0x0
	global_atomic_cmpswap_x2 v[0:1], v10, v[0:3], s[6:7] offset:24 glc
	s_waitcnt vmcnt(0)
	v_cmp_eq_u64_e32 vcc_lo, v[0:1], v[2:3]
	v_mov_b32_e32 v3, v1
	v_mov_b32_e32 v2, v0
	s_or_b32 s10, vcc_lo, s10
	s_andn2_b32 exec_lo, exec_lo, s10
	s_cbranch_execnz .LBB1_247
.LBB1_248:
	s_or_b32 exec_lo, exec_lo, s12
.LBB1_249:
	v_readfirstlane_b32 s4, v32
	v_mov_b32_e32 v10, 0
	v_mov_b32_e32 v11, 0
	v_cmp_eq_u32_e64 s4, s4, v32
	s_and_saveexec_b32 s5, s4
	s_cbranch_execz .LBB1_255
; %bb.250:
	s_waitcnt vmcnt(0)
	v_mov_b32_e32 v0, 0
	s_mov_b32 s10, exec_lo
	global_load_dwordx2 v[12:13], v0, s[6:7] offset:24 glc dlc
	s_waitcnt vmcnt(0)
	buffer_gl1_inv
	buffer_gl0_inv
	s_clause 0x1
	global_load_dwordx2 v[1:2], v0, s[6:7] offset:40
	global_load_dwordx2 v[8:9], v0, s[6:7]
	s_waitcnt vmcnt(1)
	v_and_b32_e32 v2, v2, v13
	v_and_b32_e32 v1, v1, v12
	v_mul_lo_u32 v2, v2, 24
	v_mul_hi_u32 v3, v1, 24
	v_mul_lo_u32 v1, v1, 24
	v_add_nc_u32_e32 v2, v3, v2
	s_waitcnt vmcnt(0)
	v_add_co_u32 v1, vcc_lo, v8, v1
	v_add_co_ci_u32_e64 v2, null, v9, v2, vcc_lo
	global_load_dwordx2 v[10:11], v[1:2], off glc dlc
	s_waitcnt vmcnt(0)
	global_atomic_cmpswap_x2 v[10:11], v0, v[10:13], s[6:7] offset:24 glc
	s_waitcnt vmcnt(0)
	buffer_gl1_inv
	buffer_gl0_inv
	v_cmpx_ne_u64_e64 v[10:11], v[12:13]
	s_cbranch_execz .LBB1_254
; %bb.251:
	s_mov_b32 s11, 0
	.p2align	6
.LBB1_252:                              ; =>This Inner Loop Header: Depth=1
	s_sleep 1
	s_clause 0x1
	global_load_dwordx2 v[1:2], v0, s[6:7] offset:40
	global_load_dwordx2 v[8:9], v0, s[6:7]
	v_mov_b32_e32 v13, v11
	v_mov_b32_e32 v12, v10
	s_waitcnt vmcnt(1)
	v_and_b32_e32 v1, v1, v12
	v_and_b32_e32 v2, v2, v13
	s_waitcnt vmcnt(0)
	v_mad_u64_u32 v[8:9], null, v1, 24, v[8:9]
	v_mov_b32_e32 v1, v9
	v_mad_u64_u32 v[1:2], null, v2, 24, v[1:2]
	v_mov_b32_e32 v9, v1
	global_load_dwordx2 v[10:11], v[8:9], off glc dlc
	s_waitcnt vmcnt(0)
	global_atomic_cmpswap_x2 v[10:11], v0, v[10:13], s[6:7] offset:24 glc
	s_waitcnt vmcnt(0)
	buffer_gl1_inv
	buffer_gl0_inv
	v_cmp_eq_u64_e32 vcc_lo, v[10:11], v[12:13]
	s_or_b32 s11, vcc_lo, s11
	s_andn2_b32 exec_lo, exec_lo, s11
	s_cbranch_execnz .LBB1_252
; %bb.253:
	s_or_b32 exec_lo, exec_lo, s11
.LBB1_254:
	s_or_b32 exec_lo, exec_lo, s10
.LBB1_255:
	s_or_b32 exec_lo, exec_lo, s5
	v_mov_b32_e32 v9, 0
	v_readfirstlane_b32 s11, v11
	v_readfirstlane_b32 s10, v10
	s_mov_b32 s5, exec_lo
	s_clause 0x1
	global_load_dwordx2 v[12:13], v9, s[6:7] offset:40
	global_load_dwordx4 v[0:3], v9, s[6:7]
	s_waitcnt vmcnt(1)
	v_readfirstlane_b32 s12, v12
	v_readfirstlane_b32 s13, v13
	s_and_b64 s[12:13], s[12:13], s[10:11]
	s_mul_i32 s14, s13, 24
	s_mul_hi_u32 s15, s12, 24
	s_mul_i32 s16, s12, 24
	s_add_i32 s15, s15, s14
	s_waitcnt vmcnt(0)
	v_add_co_u32 v10, vcc_lo, v0, s16
	v_add_co_ci_u32_e64 v11, null, s15, v1, vcc_lo
	s_and_saveexec_b32 s14, s4
	s_cbranch_execz .LBB1_257
; %bb.256:
	v_mov_b32_e32 v8, s5
	v_mov_b32_e32 v13, v9
	;; [unrolled: 1-line block ×5, first 2 shown]
	global_store_dwordx4 v[10:11], v[12:15], off offset:8
.LBB1_257:
	s_or_b32 exec_lo, exec_lo, s14
	s_lshl_b64 s[12:13], s[12:13], 12
	v_and_or_b32 v6, 0xffffff1f, v6, 32
	v_add_co_u32 v2, vcc_lo, v2, s12
	v_add_co_ci_u32_e64 v3, null, s13, v3, vcc_lo
	s_mov_b32 s12, 0
	v_add_co_u32 v12, vcc_lo, v2, v33
	s_mov_b32 s15, s12
	s_mov_b32 s13, s12
	;; [unrolled: 1-line block ×3, first 2 shown]
	v_mov_b32_e32 v8, 0x331
	v_readfirstlane_b32 s16, v2
	v_readfirstlane_b32 s17, v3
	v_mov_b32_e32 v17, s15
	v_add_co_ci_u32_e64 v13, null, 0, v3, vcc_lo
	v_mov_b32_e32 v16, s14
	v_mov_b32_e32 v15, s13
	;; [unrolled: 1-line block ×3, first 2 shown]
	global_store_dwordx4 v33, v[6:9], s[16:17]
	global_store_dwordx4 v33, v[14:17], s[16:17] offset:16
	global_store_dwordx4 v33, v[14:17], s[16:17] offset:32
	;; [unrolled: 1-line block ×3, first 2 shown]
	s_and_saveexec_b32 s5, s4
	s_cbranch_execz .LBB1_265
; %bb.258:
	v_mov_b32_e32 v8, 0
	v_mov_b32_e32 v14, s10
	;; [unrolled: 1-line block ×3, first 2 shown]
	s_clause 0x1
	global_load_dwordx2 v[16:17], v8, s[6:7] offset:32 glc dlc
	global_load_dwordx2 v[2:3], v8, s[6:7] offset:40
	s_waitcnt vmcnt(0)
	v_readfirstlane_b32 s12, v2
	v_readfirstlane_b32 s13, v3
	s_and_b64 s[12:13], s[12:13], s[10:11]
	s_mul_i32 s13, s13, 24
	s_mul_hi_u32 s14, s12, 24
	s_mul_i32 s12, s12, 24
	s_add_i32 s14, s14, s13
	v_add_co_u32 v6, vcc_lo, v0, s12
	v_add_co_ci_u32_e64 v7, null, s14, v1, vcc_lo
	s_mov_b32 s12, exec_lo
	global_store_dwordx2 v[6:7], v[16:17], off
	s_waitcnt_vscnt null, 0x0
	global_atomic_cmpswap_x2 v[2:3], v8, v[14:17], s[6:7] offset:32 glc
	s_waitcnt vmcnt(0)
	v_cmpx_ne_u64_e64 v[2:3], v[16:17]
	s_cbranch_execz .LBB1_261
; %bb.259:
	s_mov_b32 s13, 0
.LBB1_260:                              ; =>This Inner Loop Header: Depth=1
	v_mov_b32_e32 v0, s10
	v_mov_b32_e32 v1, s11
	s_sleep 1
	global_store_dwordx2 v[6:7], v[2:3], off
	s_waitcnt_vscnt null, 0x0
	global_atomic_cmpswap_x2 v[0:1], v8, v[0:3], s[6:7] offset:32 glc
	s_waitcnt vmcnt(0)
	v_cmp_eq_u64_e32 vcc_lo, v[0:1], v[2:3]
	v_mov_b32_e32 v3, v1
	v_mov_b32_e32 v2, v0
	s_or_b32 s13, vcc_lo, s13
	s_andn2_b32 exec_lo, exec_lo, s13
	s_cbranch_execnz .LBB1_260
.LBB1_261:
	s_or_b32 exec_lo, exec_lo, s12
	v_mov_b32_e32 v3, 0
	s_mov_b32 s13, exec_lo
	s_mov_b32 s12, exec_lo
	v_mbcnt_lo_u32_b32 v2, s13, 0
	global_load_dwordx2 v[0:1], v3, s[6:7] offset:16
	v_cmpx_eq_u32_e32 0, v2
	s_cbranch_execz .LBB1_263
; %bb.262:
	s_bcnt1_i32_b32 s13, s13
	v_mov_b32_e32 v2, s13
	s_waitcnt vmcnt(0)
	global_atomic_add_x2 v[0:1], v[2:3], off offset:8
.LBB1_263:
	s_or_b32 exec_lo, exec_lo, s12
	s_waitcnt vmcnt(0)
	global_load_dwordx2 v[2:3], v[0:1], off offset:16
	s_waitcnt vmcnt(0)
	v_cmp_eq_u64_e32 vcc_lo, 0, v[2:3]
	s_cbranch_vccnz .LBB1_265
; %bb.264:
	global_load_dword v0, v[0:1], off offset:24
	v_mov_b32_e32 v1, 0
	s_waitcnt vmcnt(0)
	v_readfirstlane_b32 s12, v0
	s_waitcnt_vscnt null, 0x0
	global_store_dwordx2 v[2:3], v[0:1], off
	s_and_b32 m0, s12, 0x7fffff
	s_sendmsg sendmsg(MSG_INTERRUPT)
.LBB1_265:
	s_or_b32 exec_lo, exec_lo, s5
	s_branch .LBB1_269
	.p2align	6
.LBB1_266:                              ;   in Loop: Header=BB1_269 Depth=1
	s_or_b32 exec_lo, exec_lo, s5
	v_readfirstlane_b32 s5, v0
	s_cmp_eq_u32 s5, 0
	s_cbranch_scc1 .LBB1_268
; %bb.267:                              ;   in Loop: Header=BB1_269 Depth=1
	s_sleep 1
	s_cbranch_execnz .LBB1_269
	s_branch .LBB1_271
	.p2align	6
.LBB1_268:
	s_branch .LBB1_271
.LBB1_269:                              ; =>This Inner Loop Header: Depth=1
	v_mov_b32_e32 v0, 1
	s_and_saveexec_b32 s5, s4
	s_cbranch_execz .LBB1_266
; %bb.270:                              ;   in Loop: Header=BB1_269 Depth=1
	global_load_dword v0, v[10:11], off offset:20 glc dlc
	s_waitcnt vmcnt(0)
	buffer_gl1_inv
	buffer_gl0_inv
	v_and_b32_e32 v0, 1, v0
	s_branch .LBB1_266
.LBB1_271:
	global_load_dwordx2 v[0:1], v[12:13], off
	s_and_saveexec_b32 s12, s4
	s_cbranch_execz .LBB1_275
; %bb.272:
	v_mov_b32_e32 v10, 0
	s_clause 0x2
	global_load_dwordx2 v[2:3], v10, s[6:7] offset:40
	global_load_dwordx2 v[13:14], v10, s[6:7] offset:24 glc dlc
	global_load_dwordx2 v[6:7], v10, s[6:7]
	s_waitcnt vmcnt(2)
	v_readfirstlane_b32 s14, v2
	v_readfirstlane_b32 s15, v3
	s_add_u32 s13, s14, 1
	s_addc_u32 s16, s15, 0
	s_add_u32 s4, s13, s10
	s_addc_u32 s5, s16, s11
	s_cmp_eq_u64 s[4:5], 0
	s_cselect_b32 s5, s16, s5
	s_cselect_b32 s4, s13, s4
	v_mov_b32_e32 v12, s5
	s_and_b64 s[10:11], s[4:5], s[14:15]
	v_mov_b32_e32 v11, s4
	s_mul_i32 s11, s11, 24
	s_mul_hi_u32 s13, s10, 24
	s_mul_i32 s10, s10, 24
	s_add_i32 s13, s13, s11
	s_waitcnt vmcnt(0)
	v_add_co_u32 v2, vcc_lo, v6, s10
	v_add_co_ci_u32_e64 v3, null, s13, v7, vcc_lo
	global_store_dwordx2 v[2:3], v[13:14], off
	s_waitcnt_vscnt null, 0x0
	global_atomic_cmpswap_x2 v[8:9], v10, v[11:14], s[6:7] offset:24 glc
	s_waitcnt vmcnt(0)
	v_cmp_ne_u64_e32 vcc_lo, v[8:9], v[13:14]
	s_and_b32 exec_lo, exec_lo, vcc_lo
	s_cbranch_execz .LBB1_275
; %bb.273:
	s_mov_b32 s10, 0
.LBB1_274:                              ; =>This Inner Loop Header: Depth=1
	v_mov_b32_e32 v6, s4
	v_mov_b32_e32 v7, s5
	s_sleep 1
	global_store_dwordx2 v[2:3], v[8:9], off
	s_waitcnt_vscnt null, 0x0
	global_atomic_cmpswap_x2 v[6:7], v10, v[6:9], s[6:7] offset:24 glc
	s_waitcnt vmcnt(0)
	v_cmp_eq_u64_e32 vcc_lo, v[6:7], v[8:9]
	v_mov_b32_e32 v9, v7
	v_mov_b32_e32 v8, v6
	s_or_b32 s10, vcc_lo, s10
	s_andn2_b32 exec_lo, exec_lo, s10
	s_cbranch_execnz .LBB1_274
.LBB1_275:
	s_or_b32 exec_lo, exec_lo, s12
	v_mov_b32_e32 v7, v5
	v_mov_b32_e32 v6, v4
	s_mov_b32 s4, 0
.LBB1_276:                              ; =>This Inner Loop Header: Depth=1
	global_load_ubyte v8, v[6:7], off
	v_add_co_u32 v2, vcc_lo, v6, 1
	v_add_co_ci_u32_e64 v3, null, 0, v7, vcc_lo
	v_mov_b32_e32 v7, v3
	v_mov_b32_e32 v6, v2
	s_waitcnt vmcnt(0)
	v_cmp_eq_u16_e32 vcc_lo, 0, v8
	s_or_b32 s4, vcc_lo, s4
	s_andn2_b32 exec_lo, exec_lo, s4
	s_cbranch_execnz .LBB1_276
; %bb.277:
	s_or_b32 exec_lo, exec_lo, s4
	s_mov_b32 s4, exec_lo
	v_cmpx_ne_u64_e32 0, v[4:5]
	s_xor_b32 s14, exec_lo, s4
	s_cbranch_execz .LBB1_363
; %bb.278:
	v_sub_nc_u32_e32 v26, v2, v4
	v_and_b32_e32 v34, 2, v0
	v_mov_b32_e32 v7, 0
	v_and_b32_e32 v0, -3, v0
	v_mov_b32_e32 v8, 2
	v_ashrrev_i32_e32 v27, 31, v26
	v_mov_b32_e32 v9, 1
	s_mov_b32 s16, 0
	s_mov_b32 s15, 0
	s_branch .LBB1_280
.LBB1_279:                              ;   in Loop: Header=BB1_280 Depth=1
	s_or_b32 exec_lo, exec_lo, s12
	v_sub_co_u32 v26, vcc_lo, v26, v28
	v_sub_co_ci_u32_e64 v27, null, v27, v29, vcc_lo
	v_add_co_u32 v4, s4, v4, v28
	v_add_co_ci_u32_e64 v5, null, v5, v29, s4
	v_cmp_eq_u64_e32 vcc_lo, 0, v[26:27]
	s_or_b32 s15, vcc_lo, s15
	s_andn2_b32 exec_lo, exec_lo, s15
	s_cbranch_execz .LBB1_362
.LBB1_280:                              ; =>This Loop Header: Depth=1
                                        ;     Child Loop BB1_283 Depth 2
                                        ;     Child Loop BB1_291 Depth 2
	;; [unrolled: 1-line block ×11, first 2 shown]
	v_cmp_gt_u64_e32 vcc_lo, 56, v[26:27]
	s_mov_b32 s5, exec_lo
	v_cndmask_b32_e32 v29, 0, v27, vcc_lo
	v_cndmask_b32_e32 v28, 56, v26, vcc_lo
	v_add_co_u32 v12, vcc_lo, v4, 8
	v_add_co_ci_u32_e64 v13, null, 0, v5, vcc_lo
	v_cmpx_gt_u64_e32 8, v[26:27]
	s_xor_b32 s5, exec_lo, s5
	s_cbranch_execz .LBB1_286
; %bb.281:                              ;   in Loop: Header=BB1_280 Depth=1
	v_mov_b32_e32 v2, 0
	v_mov_b32_e32 v3, 0
	s_mov_b32 s12, exec_lo
	v_cmpx_ne_u64_e32 0, v[26:27]
	s_cbranch_execz .LBB1_285
; %bb.282:                              ;   in Loop: Header=BB1_280 Depth=1
	v_lshlrev_b64 v[10:11], 3, v[28:29]
	v_mov_b32_e32 v2, 0
	v_mov_b32_e32 v12, v5
	;; [unrolled: 1-line block ×4, first 2 shown]
	s_mov_b64 s[10:11], 0
	s_mov_b32 s13, 0
	.p2align	6
.LBB1_283:                              ;   Parent Loop BB1_280 Depth=1
                                        ; =>  This Inner Loop Header: Depth=2
	global_load_ubyte v6, v[11:12], off
	v_mov_b32_e32 v14, s16
	v_add_co_u32 v11, vcc_lo, v11, 1
	v_add_co_ci_u32_e64 v12, null, 0, v12, vcc_lo
	s_waitcnt vmcnt(0)
	v_and_b32_e32 v13, 0xffff, v6
	v_lshlrev_b64 v[13:14], s10, v[13:14]
	s_add_u32 s10, s10, 8
	s_addc_u32 s11, s11, 0
	v_cmp_eq_u32_e64 s4, s10, v10
	v_or_b32_e32 v3, v14, v3
	v_or_b32_e32 v2, v13, v2
	s_or_b32 s13, s4, s13
	s_andn2_b32 exec_lo, exec_lo, s13
	s_cbranch_execnz .LBB1_283
; %bb.284:                              ;   in Loop: Header=BB1_280 Depth=1
	s_or_b32 exec_lo, exec_lo, s13
.LBB1_285:                              ;   in Loop: Header=BB1_280 Depth=1
	s_or_b32 exec_lo, exec_lo, s12
	v_mov_b32_e32 v13, v5
	v_mov_b32_e32 v12, v4
.LBB1_286:                              ;   in Loop: Header=BB1_280 Depth=1
	s_or_saveexec_b32 s4, s5
	v_mov_b32_e32 v6, 0
	s_xor_b32 exec_lo, exec_lo, s4
	s_cbranch_execz .LBB1_288
; %bb.287:                              ;   in Loop: Header=BB1_280 Depth=1
	global_load_dwordx2 v[2:3], v[4:5], off
	v_add_nc_u32_e32 v6, -8, v28
.LBB1_288:                              ;   in Loop: Header=BB1_280 Depth=1
	s_or_b32 exec_lo, exec_lo, s4
	v_add_co_u32 v14, s4, v12, 8
	v_add_co_ci_u32_e64 v15, null, 0, v13, s4
                                        ; implicit-def: $vgpr10_vgpr11
	s_mov_b32 s4, exec_lo
	v_cmpx_gt_u32_e32 8, v6
	s_xor_b32 s12, exec_lo, s4
	s_cbranch_execz .LBB1_294
; %bb.289:                              ;   in Loop: Header=BB1_280 Depth=1
	v_mov_b32_e32 v10, 0
	v_mov_b32_e32 v11, 0
	s_mov_b32 s13, exec_lo
	v_cmpx_ne_u32_e32 0, v6
	s_cbranch_execz .LBB1_293
; %bb.290:                              ;   in Loop: Header=BB1_280 Depth=1
	v_mov_b32_e32 v10, 0
	v_mov_b32_e32 v11, 0
	s_mov_b64 s[4:5], 0
	s_mov_b32 s17, 0
	s_mov_b64 s[10:11], 0
	.p2align	6
.LBB1_291:                              ;   Parent Loop BB1_280 Depth=1
                                        ; =>  This Inner Loop Header: Depth=2
	v_add_co_u32 v14, vcc_lo, v12, s10
	v_add_co_ci_u32_e64 v15, null, s11, v13, vcc_lo
	s_add_u32 s10, s10, 1
	s_addc_u32 s11, s11, 0
	v_cmp_eq_u32_e32 vcc_lo, s10, v6
	global_load_ubyte v14, v[14:15], off
	v_mov_b32_e32 v15, s16
	s_waitcnt vmcnt(0)
	v_and_b32_e32 v14, 0xffff, v14
	v_lshlrev_b64 v[14:15], s4, v[14:15]
	s_add_u32 s4, s4, 8
	s_addc_u32 s5, s5, 0
	s_or_b32 s17, vcc_lo, s17
	v_or_b32_e32 v11, v15, v11
	v_or_b32_e32 v10, v14, v10
	s_andn2_b32 exec_lo, exec_lo, s17
	s_cbranch_execnz .LBB1_291
; %bb.292:                              ;   in Loop: Header=BB1_280 Depth=1
	s_or_b32 exec_lo, exec_lo, s17
.LBB1_293:                              ;   in Loop: Header=BB1_280 Depth=1
	s_or_b32 exec_lo, exec_lo, s13
	v_mov_b32_e32 v15, v13
	v_mov_b32_e32 v14, v12
                                        ; implicit-def: $vgpr6
.LBB1_294:                              ;   in Loop: Header=BB1_280 Depth=1
	s_or_saveexec_b32 s4, s12
	v_mov_b32_e32 v18, 0
	s_xor_b32 exec_lo, exec_lo, s4
	s_cbranch_execz .LBB1_296
; %bb.295:                              ;   in Loop: Header=BB1_280 Depth=1
	global_load_dwordx2 v[10:11], v[12:13], off
	v_add_nc_u32_e32 v18, -8, v6
.LBB1_296:                              ;   in Loop: Header=BB1_280 Depth=1
	s_or_b32 exec_lo, exec_lo, s4
	v_add_co_u32 v16, s4, v14, 8
	v_add_co_ci_u32_e64 v17, null, 0, v15, s4
	s_mov_b32 s4, exec_lo
	v_cmpx_gt_u32_e32 8, v18
	s_xor_b32 s12, exec_lo, s4
	s_cbranch_execz .LBB1_302
; %bb.297:                              ;   in Loop: Header=BB1_280 Depth=1
	v_mov_b32_e32 v12, 0
	v_mov_b32_e32 v13, 0
	s_mov_b32 s13, exec_lo
	v_cmpx_ne_u32_e32 0, v18
	s_cbranch_execz .LBB1_301
; %bb.298:                              ;   in Loop: Header=BB1_280 Depth=1
	v_mov_b32_e32 v12, 0
	v_mov_b32_e32 v13, 0
	s_mov_b64 s[4:5], 0
	s_mov_b32 s17, 0
	s_mov_b64 s[10:11], 0
	.p2align	6
.LBB1_299:                              ;   Parent Loop BB1_280 Depth=1
                                        ; =>  This Inner Loop Header: Depth=2
	v_add_co_u32 v16, vcc_lo, v14, s10
	v_add_co_ci_u32_e64 v17, null, s11, v15, vcc_lo
	s_add_u32 s10, s10, 1
	s_addc_u32 s11, s11, 0
	v_cmp_eq_u32_e32 vcc_lo, s10, v18
	global_load_ubyte v6, v[16:17], off
	v_mov_b32_e32 v17, s16
	s_waitcnt vmcnt(0)
	v_and_b32_e32 v16, 0xffff, v6
	v_lshlrev_b64 v[16:17], s4, v[16:17]
	s_add_u32 s4, s4, 8
	s_addc_u32 s5, s5, 0
	s_or_b32 s17, vcc_lo, s17
	v_or_b32_e32 v13, v17, v13
	v_or_b32_e32 v12, v16, v12
	s_andn2_b32 exec_lo, exec_lo, s17
	s_cbranch_execnz .LBB1_299
; %bb.300:                              ;   in Loop: Header=BB1_280 Depth=1
	s_or_b32 exec_lo, exec_lo, s17
.LBB1_301:                              ;   in Loop: Header=BB1_280 Depth=1
	s_or_b32 exec_lo, exec_lo, s13
	v_mov_b32_e32 v17, v15
	v_mov_b32_e32 v16, v14
                                        ; implicit-def: $vgpr18
.LBB1_302:                              ;   in Loop: Header=BB1_280 Depth=1
	s_or_saveexec_b32 s4, s12
	v_mov_b32_e32 v6, 0
	s_xor_b32 exec_lo, exec_lo, s4
	s_cbranch_execz .LBB1_304
; %bb.303:                              ;   in Loop: Header=BB1_280 Depth=1
	global_load_dwordx2 v[12:13], v[14:15], off
	v_add_nc_u32_e32 v6, -8, v18
.LBB1_304:                              ;   in Loop: Header=BB1_280 Depth=1
	s_or_b32 exec_lo, exec_lo, s4
	v_add_co_u32 v18, s4, v16, 8
	v_add_co_ci_u32_e64 v19, null, 0, v17, s4
                                        ; implicit-def: $vgpr14_vgpr15
	s_mov_b32 s4, exec_lo
	v_cmpx_gt_u32_e32 8, v6
	s_xor_b32 s12, exec_lo, s4
	s_cbranch_execz .LBB1_310
; %bb.305:                              ;   in Loop: Header=BB1_280 Depth=1
	v_mov_b32_e32 v14, 0
	v_mov_b32_e32 v15, 0
	s_mov_b32 s13, exec_lo
	v_cmpx_ne_u32_e32 0, v6
	s_cbranch_execz .LBB1_309
; %bb.306:                              ;   in Loop: Header=BB1_280 Depth=1
	v_mov_b32_e32 v14, 0
	v_mov_b32_e32 v15, 0
	s_mov_b64 s[4:5], 0
	s_mov_b32 s17, 0
	s_mov_b64 s[10:11], 0
	.p2align	6
.LBB1_307:                              ;   Parent Loop BB1_280 Depth=1
                                        ; =>  This Inner Loop Header: Depth=2
	v_add_co_u32 v18, vcc_lo, v16, s10
	v_add_co_ci_u32_e64 v19, null, s11, v17, vcc_lo
	s_add_u32 s10, s10, 1
	s_addc_u32 s11, s11, 0
	v_cmp_eq_u32_e32 vcc_lo, s10, v6
	global_load_ubyte v18, v[18:19], off
	v_mov_b32_e32 v19, s16
	s_waitcnt vmcnt(0)
	v_and_b32_e32 v18, 0xffff, v18
	v_lshlrev_b64 v[18:19], s4, v[18:19]
	s_add_u32 s4, s4, 8
	s_addc_u32 s5, s5, 0
	s_or_b32 s17, vcc_lo, s17
	v_or_b32_e32 v15, v19, v15
	v_or_b32_e32 v14, v18, v14
	s_andn2_b32 exec_lo, exec_lo, s17
	s_cbranch_execnz .LBB1_307
; %bb.308:                              ;   in Loop: Header=BB1_280 Depth=1
	s_or_b32 exec_lo, exec_lo, s17
.LBB1_309:                              ;   in Loop: Header=BB1_280 Depth=1
	s_or_b32 exec_lo, exec_lo, s13
	v_mov_b32_e32 v19, v17
	v_mov_b32_e32 v18, v16
                                        ; implicit-def: $vgpr6
.LBB1_310:                              ;   in Loop: Header=BB1_280 Depth=1
	s_or_saveexec_b32 s4, s12
	v_mov_b32_e32 v22, 0
	s_xor_b32 exec_lo, exec_lo, s4
	s_cbranch_execz .LBB1_312
; %bb.311:                              ;   in Loop: Header=BB1_280 Depth=1
	global_load_dwordx2 v[14:15], v[16:17], off
	v_add_nc_u32_e32 v22, -8, v6
.LBB1_312:                              ;   in Loop: Header=BB1_280 Depth=1
	s_or_b32 exec_lo, exec_lo, s4
	v_add_co_u32 v20, s4, v18, 8
	v_add_co_ci_u32_e64 v21, null, 0, v19, s4
	s_mov_b32 s4, exec_lo
	v_cmpx_gt_u32_e32 8, v22
	s_xor_b32 s12, exec_lo, s4
	s_cbranch_execz .LBB1_318
; %bb.313:                              ;   in Loop: Header=BB1_280 Depth=1
	v_mov_b32_e32 v16, 0
	v_mov_b32_e32 v17, 0
	s_mov_b32 s13, exec_lo
	v_cmpx_ne_u32_e32 0, v22
	s_cbranch_execz .LBB1_317
; %bb.314:                              ;   in Loop: Header=BB1_280 Depth=1
	v_mov_b32_e32 v16, 0
	v_mov_b32_e32 v17, 0
	s_mov_b64 s[4:5], 0
	s_mov_b32 s17, 0
	s_mov_b64 s[10:11], 0
	.p2align	6
.LBB1_315:                              ;   Parent Loop BB1_280 Depth=1
                                        ; =>  This Inner Loop Header: Depth=2
	v_add_co_u32 v20, vcc_lo, v18, s10
	v_add_co_ci_u32_e64 v21, null, s11, v19, vcc_lo
	s_add_u32 s10, s10, 1
	s_addc_u32 s11, s11, 0
	v_cmp_eq_u32_e32 vcc_lo, s10, v22
	global_load_ubyte v6, v[20:21], off
	v_mov_b32_e32 v21, s16
	s_waitcnt vmcnt(0)
	v_and_b32_e32 v20, 0xffff, v6
	v_lshlrev_b64 v[20:21], s4, v[20:21]
	s_add_u32 s4, s4, 8
	s_addc_u32 s5, s5, 0
	s_or_b32 s17, vcc_lo, s17
	v_or_b32_e32 v17, v21, v17
	v_or_b32_e32 v16, v20, v16
	s_andn2_b32 exec_lo, exec_lo, s17
	s_cbranch_execnz .LBB1_315
; %bb.316:                              ;   in Loop: Header=BB1_280 Depth=1
	s_or_b32 exec_lo, exec_lo, s17
.LBB1_317:                              ;   in Loop: Header=BB1_280 Depth=1
	s_or_b32 exec_lo, exec_lo, s13
	v_mov_b32_e32 v21, v19
	v_mov_b32_e32 v20, v18
                                        ; implicit-def: $vgpr22
.LBB1_318:                              ;   in Loop: Header=BB1_280 Depth=1
	s_or_saveexec_b32 s4, s12
	v_mov_b32_e32 v6, 0
	s_xor_b32 exec_lo, exec_lo, s4
	s_cbranch_execz .LBB1_320
; %bb.319:                              ;   in Loop: Header=BB1_280 Depth=1
	global_load_dwordx2 v[16:17], v[18:19], off
	v_add_nc_u32_e32 v6, -8, v22
.LBB1_320:                              ;   in Loop: Header=BB1_280 Depth=1
	s_or_b32 exec_lo, exec_lo, s4
	v_add_co_u32 v22, s4, v20, 8
	v_add_co_ci_u32_e64 v23, null, 0, v21, s4
                                        ; implicit-def: $vgpr18_vgpr19
	s_mov_b32 s4, exec_lo
	v_cmpx_gt_u32_e32 8, v6
	s_xor_b32 s12, exec_lo, s4
	s_cbranch_execz .LBB1_326
; %bb.321:                              ;   in Loop: Header=BB1_280 Depth=1
	v_mov_b32_e32 v18, 0
	v_mov_b32_e32 v19, 0
	s_mov_b32 s13, exec_lo
	v_cmpx_ne_u32_e32 0, v6
	s_cbranch_execz .LBB1_325
; %bb.322:                              ;   in Loop: Header=BB1_280 Depth=1
	v_mov_b32_e32 v18, 0
	v_mov_b32_e32 v19, 0
	s_mov_b64 s[4:5], 0
	s_mov_b32 s17, 0
	s_mov_b64 s[10:11], 0
	.p2align	6
.LBB1_323:                              ;   Parent Loop BB1_280 Depth=1
                                        ; =>  This Inner Loop Header: Depth=2
	v_add_co_u32 v22, vcc_lo, v20, s10
	v_add_co_ci_u32_e64 v23, null, s11, v21, vcc_lo
	s_add_u32 s10, s10, 1
	s_addc_u32 s11, s11, 0
	v_cmp_eq_u32_e32 vcc_lo, s10, v6
	global_load_ubyte v22, v[22:23], off
	v_mov_b32_e32 v23, s16
	s_waitcnt vmcnt(0)
	v_and_b32_e32 v22, 0xffff, v22
	v_lshlrev_b64 v[22:23], s4, v[22:23]
	s_add_u32 s4, s4, 8
	s_addc_u32 s5, s5, 0
	s_or_b32 s17, vcc_lo, s17
	v_or_b32_e32 v19, v23, v19
	v_or_b32_e32 v18, v22, v18
	s_andn2_b32 exec_lo, exec_lo, s17
	s_cbranch_execnz .LBB1_323
; %bb.324:                              ;   in Loop: Header=BB1_280 Depth=1
	s_or_b32 exec_lo, exec_lo, s17
.LBB1_325:                              ;   in Loop: Header=BB1_280 Depth=1
	s_or_b32 exec_lo, exec_lo, s13
	v_mov_b32_e32 v23, v21
	v_mov_b32_e32 v22, v20
                                        ; implicit-def: $vgpr6
.LBB1_326:                              ;   in Loop: Header=BB1_280 Depth=1
	s_or_saveexec_b32 s4, s12
	v_mov_b32_e32 v24, 0
	s_xor_b32 exec_lo, exec_lo, s4
	s_cbranch_execz .LBB1_328
; %bb.327:                              ;   in Loop: Header=BB1_280 Depth=1
	global_load_dwordx2 v[18:19], v[20:21], off
	v_add_nc_u32_e32 v24, -8, v6
.LBB1_328:                              ;   in Loop: Header=BB1_280 Depth=1
	s_or_b32 exec_lo, exec_lo, s4
	s_mov_b32 s4, exec_lo
	v_cmpx_gt_u32_e32 8, v24
	s_xor_b32 s10, exec_lo, s4
	s_cbranch_execz .LBB1_334
; %bb.329:                              ;   in Loop: Header=BB1_280 Depth=1
	v_mov_b32_e32 v20, 0
	v_mov_b32_e32 v21, 0
	s_mov_b32 s11, exec_lo
	v_cmpx_ne_u32_e32 0, v24
	s_cbranch_execz .LBB1_333
; %bb.330:                              ;   in Loop: Header=BB1_280 Depth=1
	v_mov_b32_e32 v20, 0
	v_mov_b32_e32 v21, 0
	s_mov_b64 s[4:5], 0
	s_mov_b32 s12, 0
	.p2align	6
.LBB1_331:                              ;   Parent Loop BB1_280 Depth=1
                                        ; =>  This Inner Loop Header: Depth=2
	global_load_ubyte v6, v[22:23], off
	v_mov_b32_e32 v31, s16
	v_add_nc_u32_e32 v24, -1, v24
	v_add_co_u32 v22, vcc_lo, v22, 1
	v_add_co_ci_u32_e64 v23, null, 0, v23, vcc_lo
	v_cmp_eq_u32_e32 vcc_lo, 0, v24
	s_waitcnt vmcnt(0)
	v_and_b32_e32 v30, 0xffff, v6
	v_lshlrev_b64 v[30:31], s4, v[30:31]
	s_add_u32 s4, s4, 8
	s_addc_u32 s5, s5, 0
	s_or_b32 s12, vcc_lo, s12
	v_or_b32_e32 v21, v31, v21
	v_or_b32_e32 v20, v30, v20
	s_andn2_b32 exec_lo, exec_lo, s12
	s_cbranch_execnz .LBB1_331
; %bb.332:                              ;   in Loop: Header=BB1_280 Depth=1
	s_or_b32 exec_lo, exec_lo, s12
.LBB1_333:                              ;   in Loop: Header=BB1_280 Depth=1
	s_or_b32 exec_lo, exec_lo, s11
                                        ; implicit-def: $vgpr22_vgpr23
.LBB1_334:                              ;   in Loop: Header=BB1_280 Depth=1
	s_andn2_saveexec_b32 s4, s10
	s_cbranch_execz .LBB1_336
; %bb.335:                              ;   in Loop: Header=BB1_280 Depth=1
	global_load_dwordx2 v[20:21], v[22:23], off
.LBB1_336:                              ;   in Loop: Header=BB1_280 Depth=1
	s_or_b32 exec_lo, exec_lo, s4
	v_readfirstlane_b32 s4, v32
	v_mov_b32_e32 v30, 0
	v_mov_b32_e32 v31, 0
	v_cmp_eq_u32_e64 s4, s4, v32
	s_and_saveexec_b32 s5, s4
	s_cbranch_execz .LBB1_342
; %bb.337:                              ;   in Loop: Header=BB1_280 Depth=1
	global_load_dwordx2 v[24:25], v7, s[6:7] offset:24 glc dlc
	s_waitcnt vmcnt(0)
	buffer_gl1_inv
	buffer_gl0_inv
	s_clause 0x1
	global_load_dwordx2 v[22:23], v7, s[6:7] offset:40
	global_load_dwordx2 v[30:31], v7, s[6:7]
	s_mov_b32 s10, exec_lo
	s_waitcnt vmcnt(1)
	v_and_b32_e32 v6, v23, v25
	v_and_b32_e32 v22, v22, v24
	v_mul_lo_u32 v6, v6, 24
	v_mul_hi_u32 v23, v22, 24
	v_mul_lo_u32 v22, v22, 24
	v_add_nc_u32_e32 v6, v23, v6
	s_waitcnt vmcnt(0)
	v_add_co_u32 v22, vcc_lo, v30, v22
	v_add_co_ci_u32_e64 v23, null, v31, v6, vcc_lo
	global_load_dwordx2 v[22:23], v[22:23], off glc dlc
	s_waitcnt vmcnt(0)
	global_atomic_cmpswap_x2 v[30:31], v7, v[22:25], s[6:7] offset:24 glc
	s_waitcnt vmcnt(0)
	buffer_gl1_inv
	buffer_gl0_inv
	v_cmpx_ne_u64_e64 v[30:31], v[24:25]
	s_cbranch_execz .LBB1_341
; %bb.338:                              ;   in Loop: Header=BB1_280 Depth=1
	s_mov_b32 s11, 0
	.p2align	6
.LBB1_339:                              ;   Parent Loop BB1_280 Depth=1
                                        ; =>  This Inner Loop Header: Depth=2
	s_sleep 1
	s_clause 0x1
	global_load_dwordx2 v[22:23], v7, s[6:7] offset:40
	global_load_dwordx2 v[35:36], v7, s[6:7]
	v_mov_b32_e32 v24, v30
	v_mov_b32_e32 v25, v31
	s_waitcnt vmcnt(1)
	v_and_b32_e32 v6, v22, v24
	v_and_b32_e32 v22, v23, v25
	s_waitcnt vmcnt(0)
	v_mad_u64_u32 v[30:31], null, v6, 24, v[35:36]
	v_mov_b32_e32 v6, v31
	v_mad_u64_u32 v[22:23], null, v22, 24, v[6:7]
	v_mov_b32_e32 v31, v22
	global_load_dwordx2 v[22:23], v[30:31], off glc dlc
	s_waitcnt vmcnt(0)
	global_atomic_cmpswap_x2 v[30:31], v7, v[22:25], s[6:7] offset:24 glc
	s_waitcnt vmcnt(0)
	buffer_gl1_inv
	buffer_gl0_inv
	v_cmp_eq_u64_e32 vcc_lo, v[30:31], v[24:25]
	s_or_b32 s11, vcc_lo, s11
	s_andn2_b32 exec_lo, exec_lo, s11
	s_cbranch_execnz .LBB1_339
; %bb.340:                              ;   in Loop: Header=BB1_280 Depth=1
	s_or_b32 exec_lo, exec_lo, s11
.LBB1_341:                              ;   in Loop: Header=BB1_280 Depth=1
	s_or_b32 exec_lo, exec_lo, s10
.LBB1_342:                              ;   in Loop: Header=BB1_280 Depth=1
	s_or_b32 exec_lo, exec_lo, s5
	s_clause 0x1
	global_load_dwordx2 v[35:36], v7, s[6:7] offset:40
	global_load_dwordx4 v[22:25], v7, s[6:7]
	v_readfirstlane_b32 s11, v31
	v_readfirstlane_b32 s10, v30
	s_mov_b32 s5, exec_lo
	s_waitcnt vmcnt(1)
	v_readfirstlane_b32 s12, v35
	v_readfirstlane_b32 s13, v36
	s_and_b64 s[12:13], s[12:13], s[10:11]
	s_mul_i32 s17, s13, 24
	s_mul_hi_u32 s18, s12, 24
	s_mul_i32 s19, s12, 24
	s_add_i32 s18, s18, s17
	s_waitcnt vmcnt(0)
	v_add_co_u32 v30, vcc_lo, v22, s19
	v_add_co_ci_u32_e64 v31, null, s18, v23, vcc_lo
	s_and_saveexec_b32 s17, s4
	s_cbranch_execz .LBB1_344
; %bb.343:                              ;   in Loop: Header=BB1_280 Depth=1
	v_mov_b32_e32 v6, s5
	global_store_dwordx4 v[30:31], v[6:9], off offset:8
.LBB1_344:                              ;   in Loop: Header=BB1_280 Depth=1
	s_or_b32 exec_lo, exec_lo, s17
	v_cmp_gt_u64_e32 vcc_lo, 57, v[26:27]
	s_lshl_b64 s[12:13], s[12:13], 12
	v_and_b32_e32 v0, 0xffffff1f, v0
	v_lshl_add_u32 v35, v28, 2, 28
	v_cndmask_b32_e32 v6, 0, v34, vcc_lo
	v_add_co_u32 v24, vcc_lo, v24, s12
	v_add_co_ci_u32_e64 v25, null, s13, v25, vcc_lo
	v_or_b32_e32 v0, v0, v6
	v_readfirstlane_b32 s12, v24
	v_readfirstlane_b32 s13, v25
	v_and_or_b32 v0, 0x1e0, v35, v0
	global_store_dwordx4 v33, v[10:13], s[12:13] offset:16
	global_store_dwordx4 v33, v[14:17], s[12:13] offset:32
	global_store_dwordx4 v33, v[0:3], s[12:13]
	global_store_dwordx4 v33, v[18:21], s[12:13] offset:48
	s_and_saveexec_b32 s5, s4
	s_cbranch_execz .LBB1_352
; %bb.345:                              ;   in Loop: Header=BB1_280 Depth=1
	s_clause 0x1
	global_load_dwordx2 v[14:15], v7, s[6:7] offset:32 glc dlc
	global_load_dwordx2 v[0:1], v7, s[6:7] offset:40
	v_mov_b32_e32 v12, s10
	v_mov_b32_e32 v13, s11
	s_waitcnt vmcnt(0)
	v_readfirstlane_b32 s12, v0
	v_readfirstlane_b32 s13, v1
	s_and_b64 s[12:13], s[12:13], s[10:11]
	s_mul_i32 s13, s13, 24
	s_mul_hi_u32 s17, s12, 24
	s_mul_i32 s12, s12, 24
	s_add_i32 s17, s17, s13
	v_add_co_u32 v10, vcc_lo, v22, s12
	v_add_co_ci_u32_e64 v11, null, s17, v23, vcc_lo
	s_mov_b32 s12, exec_lo
	global_store_dwordx2 v[10:11], v[14:15], off
	s_waitcnt_vscnt null, 0x0
	global_atomic_cmpswap_x2 v[2:3], v7, v[12:15], s[6:7] offset:32 glc
	s_waitcnt vmcnt(0)
	v_cmpx_ne_u64_e64 v[2:3], v[14:15]
	s_cbranch_execz .LBB1_348
; %bb.346:                              ;   in Loop: Header=BB1_280 Depth=1
	s_mov_b32 s13, 0
.LBB1_347:                              ;   Parent Loop BB1_280 Depth=1
                                        ; =>  This Inner Loop Header: Depth=2
	v_mov_b32_e32 v0, s10
	v_mov_b32_e32 v1, s11
	s_sleep 1
	global_store_dwordx2 v[10:11], v[2:3], off
	s_waitcnt_vscnt null, 0x0
	global_atomic_cmpswap_x2 v[0:1], v7, v[0:3], s[6:7] offset:32 glc
	s_waitcnt vmcnt(0)
	v_cmp_eq_u64_e32 vcc_lo, v[0:1], v[2:3]
	v_mov_b32_e32 v3, v1
	v_mov_b32_e32 v2, v0
	s_or_b32 s13, vcc_lo, s13
	s_andn2_b32 exec_lo, exec_lo, s13
	s_cbranch_execnz .LBB1_347
.LBB1_348:                              ;   in Loop: Header=BB1_280 Depth=1
	s_or_b32 exec_lo, exec_lo, s12
	global_load_dwordx2 v[0:1], v7, s[6:7] offset:16
	s_mov_b32 s13, exec_lo
	s_mov_b32 s12, exec_lo
	v_mbcnt_lo_u32_b32 v2, s13, 0
	v_cmpx_eq_u32_e32 0, v2
	s_cbranch_execz .LBB1_350
; %bb.349:                              ;   in Loop: Header=BB1_280 Depth=1
	s_bcnt1_i32_b32 s13, s13
	v_mov_b32_e32 v6, s13
	s_waitcnt vmcnt(0)
	global_atomic_add_x2 v[0:1], v[6:7], off offset:8
.LBB1_350:                              ;   in Loop: Header=BB1_280 Depth=1
	s_or_b32 exec_lo, exec_lo, s12
	s_waitcnt vmcnt(0)
	global_load_dwordx2 v[2:3], v[0:1], off offset:16
	s_waitcnt vmcnt(0)
	v_cmp_eq_u64_e32 vcc_lo, 0, v[2:3]
	s_cbranch_vccnz .LBB1_352
; %bb.351:                              ;   in Loop: Header=BB1_280 Depth=1
	global_load_dword v6, v[0:1], off offset:24
	s_waitcnt vmcnt(0)
	v_readfirstlane_b32 s12, v6
	s_waitcnt_vscnt null, 0x0
	global_store_dwordx2 v[2:3], v[6:7], off
	s_and_b32 m0, s12, 0x7fffff
	s_sendmsg sendmsg(MSG_INTERRUPT)
.LBB1_352:                              ;   in Loop: Header=BB1_280 Depth=1
	s_or_b32 exec_lo, exec_lo, s5
	v_add_co_u32 v0, vcc_lo, v24, v33
	v_add_co_ci_u32_e64 v1, null, 0, v25, vcc_lo
	s_branch .LBB1_356
	.p2align	6
.LBB1_353:                              ;   in Loop: Header=BB1_356 Depth=2
	s_or_b32 exec_lo, exec_lo, s5
	v_readfirstlane_b32 s5, v2
	s_cmp_eq_u32 s5, 0
	s_cbranch_scc1 .LBB1_355
; %bb.354:                              ;   in Loop: Header=BB1_356 Depth=2
	s_sleep 1
	s_cbranch_execnz .LBB1_356
	s_branch .LBB1_358
	.p2align	6
.LBB1_355:                              ;   in Loop: Header=BB1_280 Depth=1
	s_branch .LBB1_358
.LBB1_356:                              ;   Parent Loop BB1_280 Depth=1
                                        ; =>  This Inner Loop Header: Depth=2
	v_mov_b32_e32 v2, 1
	s_and_saveexec_b32 s5, s4
	s_cbranch_execz .LBB1_353
; %bb.357:                              ;   in Loop: Header=BB1_356 Depth=2
	global_load_dword v2, v[30:31], off offset:20 glc dlc
	s_waitcnt vmcnt(0)
	buffer_gl1_inv
	buffer_gl0_inv
	v_and_b32_e32 v2, 1, v2
	s_branch .LBB1_353
.LBB1_358:                              ;   in Loop: Header=BB1_280 Depth=1
	global_load_dwordx2 v[0:1], v[0:1], off
	s_and_saveexec_b32 s12, s4
	s_cbranch_execz .LBB1_279
; %bb.359:                              ;   in Loop: Header=BB1_280 Depth=1
	s_clause 0x2
	global_load_dwordx2 v[2:3], v7, s[6:7] offset:40
	global_load_dwordx2 v[14:15], v7, s[6:7] offset:24 glc dlc
	global_load_dwordx2 v[10:11], v7, s[6:7]
	s_waitcnt vmcnt(2)
	v_readfirstlane_b32 s18, v2
	v_readfirstlane_b32 s19, v3
	s_add_u32 s13, s18, 1
	s_addc_u32 s17, s19, 0
	s_add_u32 s4, s13, s10
	s_addc_u32 s5, s17, s11
	s_cmp_eq_u64 s[4:5], 0
	s_cselect_b32 s5, s17, s5
	s_cselect_b32 s4, s13, s4
	v_mov_b32_e32 v13, s5
	s_and_b64 s[10:11], s[4:5], s[18:19]
	v_mov_b32_e32 v12, s4
	s_mul_i32 s11, s11, 24
	s_mul_hi_u32 s13, s10, 24
	s_mul_i32 s10, s10, 24
	s_add_i32 s13, s13, s11
	s_waitcnt vmcnt(0)
	v_add_co_u32 v2, vcc_lo, v10, s10
	v_add_co_ci_u32_e64 v3, null, s13, v11, vcc_lo
	global_store_dwordx2 v[2:3], v[14:15], off
	s_waitcnt_vscnt null, 0x0
	global_atomic_cmpswap_x2 v[12:13], v7, v[12:15], s[6:7] offset:24 glc
	s_waitcnt vmcnt(0)
	v_cmp_ne_u64_e32 vcc_lo, v[12:13], v[14:15]
	s_and_b32 exec_lo, exec_lo, vcc_lo
	s_cbranch_execz .LBB1_279
; %bb.360:                              ;   in Loop: Header=BB1_280 Depth=1
	s_mov_b32 s10, 0
.LBB1_361:                              ;   Parent Loop BB1_280 Depth=1
                                        ; =>  This Inner Loop Header: Depth=2
	v_mov_b32_e32 v10, s4
	v_mov_b32_e32 v11, s5
	s_sleep 1
	global_store_dwordx2 v[2:3], v[12:13], off
	s_waitcnt_vscnt null, 0x0
	global_atomic_cmpswap_x2 v[10:11], v7, v[10:13], s[6:7] offset:24 glc
	s_waitcnt vmcnt(0)
	v_cmp_eq_u64_e32 vcc_lo, v[10:11], v[12:13]
	v_mov_b32_e32 v13, v11
	v_mov_b32_e32 v12, v10
	s_or_b32 s10, vcc_lo, s10
	s_andn2_b32 exec_lo, exec_lo, s10
	s_cbranch_execnz .LBB1_361
	s_branch .LBB1_279
.LBB1_362:
	s_or_b32 exec_lo, exec_lo, s15
                                        ; implicit-def: $vgpr33
                                        ; implicit-def: $vgpr32
.LBB1_363:
	s_andn2_saveexec_b32 s14, s14
	s_cbranch_execz .LBB1_391
; %bb.364:
	v_readfirstlane_b32 s4, v32
	v_mov_b32_e32 v8, 0
	v_mov_b32_e32 v9, 0
	v_cmp_eq_u32_e64 s4, s4, v32
	s_and_saveexec_b32 s5, s4
	s_cbranch_execz .LBB1_370
; %bb.365:
	v_mov_b32_e32 v2, 0
	s_mov_b32 s10, exec_lo
	global_load_dwordx2 v[5:6], v2, s[6:7] offset:24 glc dlc
	s_waitcnt vmcnt(0)
	buffer_gl1_inv
	buffer_gl0_inv
	s_clause 0x1
	global_load_dwordx2 v[3:4], v2, s[6:7] offset:40
	global_load_dwordx2 v[7:8], v2, s[6:7]
	s_waitcnt vmcnt(1)
	v_and_b32_e32 v4, v4, v6
	v_and_b32_e32 v3, v3, v5
	v_mul_lo_u32 v4, v4, 24
	v_mul_hi_u32 v9, v3, 24
	v_mul_lo_u32 v3, v3, 24
	v_add_nc_u32_e32 v4, v9, v4
	s_waitcnt vmcnt(0)
	v_add_co_u32 v3, vcc_lo, v7, v3
	v_add_co_ci_u32_e64 v4, null, v8, v4, vcc_lo
	global_load_dwordx2 v[3:4], v[3:4], off glc dlc
	s_waitcnt vmcnt(0)
	global_atomic_cmpswap_x2 v[8:9], v2, v[3:6], s[6:7] offset:24 glc
	s_waitcnt vmcnt(0)
	buffer_gl1_inv
	buffer_gl0_inv
	v_cmpx_ne_u64_e64 v[8:9], v[5:6]
	s_cbranch_execz .LBB1_369
; %bb.366:
	s_mov_b32 s11, 0
	.p2align	6
.LBB1_367:                              ; =>This Inner Loop Header: Depth=1
	s_sleep 1
	s_clause 0x1
	global_load_dwordx2 v[3:4], v2, s[6:7] offset:40
	global_load_dwordx2 v[10:11], v2, s[6:7]
	v_mov_b32_e32 v5, v8
	v_mov_b32_e32 v6, v9
	s_waitcnt vmcnt(1)
	v_and_b32_e32 v3, v3, v5
	v_and_b32_e32 v4, v4, v6
	s_waitcnt vmcnt(0)
	v_mad_u64_u32 v[7:8], null, v3, 24, v[10:11]
	v_mov_b32_e32 v3, v8
	v_mad_u64_u32 v[3:4], null, v4, 24, v[3:4]
	v_mov_b32_e32 v8, v3
	global_load_dwordx2 v[3:4], v[7:8], off glc dlc
	s_waitcnt vmcnt(0)
	global_atomic_cmpswap_x2 v[8:9], v2, v[3:6], s[6:7] offset:24 glc
	s_waitcnt vmcnt(0)
	buffer_gl1_inv
	buffer_gl0_inv
	v_cmp_eq_u64_e32 vcc_lo, v[8:9], v[5:6]
	s_or_b32 s11, vcc_lo, s11
	s_andn2_b32 exec_lo, exec_lo, s11
	s_cbranch_execnz .LBB1_367
; %bb.368:
	s_or_b32 exec_lo, exec_lo, s11
.LBB1_369:
	s_or_b32 exec_lo, exec_lo, s10
.LBB1_370:
	s_or_b32 exec_lo, exec_lo, s5
	v_mov_b32_e32 v2, 0
	v_readfirstlane_b32 s11, v9
	v_readfirstlane_b32 s10, v8
	s_mov_b32 s5, exec_lo
	s_clause 0x1
	global_load_dwordx2 v[10:11], v2, s[6:7] offset:40
	global_load_dwordx4 v[4:7], v2, s[6:7]
	s_waitcnt vmcnt(1)
	v_readfirstlane_b32 s12, v10
	v_readfirstlane_b32 s13, v11
	s_and_b64 s[12:13], s[12:13], s[10:11]
	s_mul_i32 s15, s13, 24
	s_mul_hi_u32 s16, s12, 24
	s_mul_i32 s17, s12, 24
	s_add_i32 s16, s16, s15
	s_waitcnt vmcnt(0)
	v_add_co_u32 v8, vcc_lo, v4, s17
	v_add_co_ci_u32_e64 v9, null, s16, v5, vcc_lo
	s_and_saveexec_b32 s15, s4
	s_cbranch_execz .LBB1_372
; %bb.371:
	v_mov_b32_e32 v10, s5
	v_mov_b32_e32 v11, v2
	;; [unrolled: 1-line block ×4, first 2 shown]
	global_store_dwordx4 v[8:9], v[10:13], off offset:8
.LBB1_372:
	s_or_b32 exec_lo, exec_lo, s15
	s_lshl_b64 s[12:13], s[12:13], 12
	s_mov_b32 s16, 0
	v_add_co_u32 v6, vcc_lo, v6, s12
	v_add_co_ci_u32_e64 v7, null, s13, v7, vcc_lo
	s_mov_b32 s17, s16
	v_readfirstlane_b32 s12, v6
	v_add_co_u32 v6, vcc_lo, v6, v33
	s_mov_b32 s18, s16
	s_mov_b32 s19, s16
	v_and_or_b32 v0, 0xffffff1f, v0, 32
	v_mov_b32_e32 v3, v2
	v_readfirstlane_b32 s13, v7
	v_mov_b32_e32 v10, s16
	v_add_co_ci_u32_e64 v7, null, 0, v7, vcc_lo
	v_mov_b32_e32 v11, s17
	v_mov_b32_e32 v12, s18
	;; [unrolled: 1-line block ×3, first 2 shown]
	global_store_dwordx4 v33, v[0:3], s[12:13]
	global_store_dwordx4 v33, v[10:13], s[12:13] offset:16
	global_store_dwordx4 v33, v[10:13], s[12:13] offset:32
	;; [unrolled: 1-line block ×3, first 2 shown]
	s_and_saveexec_b32 s5, s4
	s_cbranch_execz .LBB1_380
; %bb.373:
	v_mov_b32_e32 v10, 0
	v_mov_b32_e32 v11, s10
	;; [unrolled: 1-line block ×3, first 2 shown]
	s_clause 0x1
	global_load_dwordx2 v[13:14], v10, s[6:7] offset:32 glc dlc
	global_load_dwordx2 v[0:1], v10, s[6:7] offset:40
	s_waitcnt vmcnt(0)
	v_readfirstlane_b32 s12, v0
	v_readfirstlane_b32 s13, v1
	s_and_b64 s[12:13], s[12:13], s[10:11]
	s_mul_i32 s13, s13, 24
	s_mul_hi_u32 s15, s12, 24
	s_mul_i32 s12, s12, 24
	s_add_i32 s15, s15, s13
	v_add_co_u32 v4, vcc_lo, v4, s12
	v_add_co_ci_u32_e64 v5, null, s15, v5, vcc_lo
	s_mov_b32 s12, exec_lo
	global_store_dwordx2 v[4:5], v[13:14], off
	s_waitcnt_vscnt null, 0x0
	global_atomic_cmpswap_x2 v[2:3], v10, v[11:14], s[6:7] offset:32 glc
	s_waitcnt vmcnt(0)
	v_cmpx_ne_u64_e64 v[2:3], v[13:14]
	s_cbranch_execz .LBB1_376
; %bb.374:
	s_mov_b32 s13, 0
.LBB1_375:                              ; =>This Inner Loop Header: Depth=1
	v_mov_b32_e32 v0, s10
	v_mov_b32_e32 v1, s11
	s_sleep 1
	global_store_dwordx2 v[4:5], v[2:3], off
	s_waitcnt_vscnt null, 0x0
	global_atomic_cmpswap_x2 v[0:1], v10, v[0:3], s[6:7] offset:32 glc
	s_waitcnt vmcnt(0)
	v_cmp_eq_u64_e32 vcc_lo, v[0:1], v[2:3]
	v_mov_b32_e32 v3, v1
	v_mov_b32_e32 v2, v0
	s_or_b32 s13, vcc_lo, s13
	s_andn2_b32 exec_lo, exec_lo, s13
	s_cbranch_execnz .LBB1_375
.LBB1_376:
	s_or_b32 exec_lo, exec_lo, s12
	v_mov_b32_e32 v3, 0
	s_mov_b32 s13, exec_lo
	s_mov_b32 s12, exec_lo
	v_mbcnt_lo_u32_b32 v2, s13, 0
	global_load_dwordx2 v[0:1], v3, s[6:7] offset:16
	v_cmpx_eq_u32_e32 0, v2
	s_cbranch_execz .LBB1_378
; %bb.377:
	s_bcnt1_i32_b32 s13, s13
	v_mov_b32_e32 v2, s13
	s_waitcnt vmcnt(0)
	global_atomic_add_x2 v[0:1], v[2:3], off offset:8
.LBB1_378:
	s_or_b32 exec_lo, exec_lo, s12
	s_waitcnt vmcnt(0)
	global_load_dwordx2 v[2:3], v[0:1], off offset:16
	s_waitcnt vmcnt(0)
	v_cmp_eq_u64_e32 vcc_lo, 0, v[2:3]
	s_cbranch_vccnz .LBB1_380
; %bb.379:
	global_load_dword v0, v[0:1], off offset:24
	v_mov_b32_e32 v1, 0
	s_waitcnt vmcnt(0)
	v_readfirstlane_b32 s12, v0
	s_waitcnt_vscnt null, 0x0
	global_store_dwordx2 v[2:3], v[0:1], off
	s_and_b32 m0, s12, 0x7fffff
	s_sendmsg sendmsg(MSG_INTERRUPT)
.LBB1_380:
	s_or_b32 exec_lo, exec_lo, s5
	s_branch .LBB1_384
	.p2align	6
.LBB1_381:                              ;   in Loop: Header=BB1_384 Depth=1
	s_or_b32 exec_lo, exec_lo, s5
	v_readfirstlane_b32 s5, v0
	s_cmp_eq_u32 s5, 0
	s_cbranch_scc1 .LBB1_383
; %bb.382:                              ;   in Loop: Header=BB1_384 Depth=1
	s_sleep 1
	s_cbranch_execnz .LBB1_384
	s_branch .LBB1_386
	.p2align	6
.LBB1_383:
	s_branch .LBB1_386
.LBB1_384:                              ; =>This Inner Loop Header: Depth=1
	v_mov_b32_e32 v0, 1
	s_and_saveexec_b32 s5, s4
	s_cbranch_execz .LBB1_381
; %bb.385:                              ;   in Loop: Header=BB1_384 Depth=1
	global_load_dword v0, v[8:9], off offset:20 glc dlc
	s_waitcnt vmcnt(0)
	buffer_gl1_inv
	buffer_gl0_inv
	v_and_b32_e32 v0, 1, v0
	s_branch .LBB1_381
.LBB1_386:
	global_load_dwordx2 v[0:1], v[6:7], off
	s_and_saveexec_b32 s12, s4
	s_cbranch_execz .LBB1_390
; %bb.387:
	v_mov_b32_e32 v8, 0
	s_clause 0x2
	global_load_dwordx2 v[2:3], v8, s[6:7] offset:40
	global_load_dwordx2 v[11:12], v8, s[6:7] offset:24 glc dlc
	global_load_dwordx2 v[4:5], v8, s[6:7]
	s_waitcnt vmcnt(2)
	v_readfirstlane_b32 s16, v2
	v_readfirstlane_b32 s17, v3
	s_add_u32 s13, s16, 1
	s_addc_u32 s15, s17, 0
	s_add_u32 s4, s13, s10
	s_addc_u32 s5, s15, s11
	s_cmp_eq_u64 s[4:5], 0
	s_cselect_b32 s5, s15, s5
	s_cselect_b32 s4, s13, s4
	v_mov_b32_e32 v10, s5
	s_and_b64 s[10:11], s[4:5], s[16:17]
	v_mov_b32_e32 v9, s4
	s_mul_i32 s11, s11, 24
	s_mul_hi_u32 s13, s10, 24
	s_mul_i32 s10, s10, 24
	s_add_i32 s13, s13, s11
	s_waitcnt vmcnt(0)
	v_add_co_u32 v6, vcc_lo, v4, s10
	v_add_co_ci_u32_e64 v7, null, s13, v5, vcc_lo
	global_store_dwordx2 v[6:7], v[11:12], off
	s_waitcnt_vscnt null, 0x0
	global_atomic_cmpswap_x2 v[4:5], v8, v[9:12], s[6:7] offset:24 glc
	s_waitcnt vmcnt(0)
	v_cmp_ne_u64_e32 vcc_lo, v[4:5], v[11:12]
	s_and_b32 exec_lo, exec_lo, vcc_lo
	s_cbranch_execz .LBB1_390
; %bb.388:
	s_mov_b32 s10, 0
.LBB1_389:                              ; =>This Inner Loop Header: Depth=1
	v_mov_b32_e32 v2, s4
	v_mov_b32_e32 v3, s5
	s_sleep 1
	global_store_dwordx2 v[6:7], v[4:5], off
	s_waitcnt_vscnt null, 0x0
	global_atomic_cmpswap_x2 v[2:3], v8, v[2:5], s[6:7] offset:24 glc
	s_waitcnt vmcnt(0)
	v_cmp_eq_u64_e32 vcc_lo, v[2:3], v[4:5]
	v_mov_b32_e32 v5, v3
	v_mov_b32_e32 v4, v2
	s_or_b32 s10, vcc_lo, s10
	s_andn2_b32 exec_lo, exec_lo, s10
	s_cbranch_execnz .LBB1_389
.LBB1_390:
	s_or_b32 exec_lo, exec_lo, s12
.LBB1_391:
	s_or_b32 exec_lo, exec_lo, s14
	s_getpc_b64 s[4:5]
	s_add_u32 s4, s4, .str.3@rel32@lo+4
	s_addc_u32 s5, s5, .str.3@rel32@hi+12
	s_getpc_b64 s[6:7]
	s_add_u32 s6, s6, .str.3@rel32@lo+32
	s_addc_u32 s7, s7, .str.3@rel32@hi+40
	s_sub_i32 s10, s6, s4
	s_getpc_b64 s[6:7]
	s_add_u32 s6, s6, __ockl_fprintf_append_string_n@rel32@lo+4
	s_addc_u32 s7, s7, __ockl_fprintf_append_string_n@rel32@hi+12
	s_ashr_i32 s11, s10, 31
	v_mov_b32_e32 v2, s4
	v_mov_b32_e32 v3, s5
	;; [unrolled: 1-line block ×5, first 2 shown]
	s_swappc_b64 s[30:31], s[6:7]
	s_trap 2
.Lfunc_end1:
	.size	__assert_fail, .Lfunc_end1-__assert_fail
                                        ; -- End function
	.set .L__assert_fail.num_vgpr, max(40, .L__ockl_fprintf_append_string_n.num_vgpr)
	.set .L__assert_fail.num_agpr, max(0, .L__ockl_fprintf_append_string_n.num_agpr)
	.set .L__assert_fail.numbered_sgpr, max(34, .L__ockl_fprintf_append_string_n.numbered_sgpr)
	.set .L__assert_fail.num_named_barrier, max(0, .L__ockl_fprintf_append_string_n.num_named_barrier)
	.set .L__assert_fail.private_seg_size, 64+max(.L__ockl_fprintf_append_string_n.private_seg_size)
	.set .L__assert_fail.uses_vcc, or(1, .L__ockl_fprintf_append_string_n.uses_vcc)
	.set .L__assert_fail.uses_flat_scratch, or(0, .L__ockl_fprintf_append_string_n.uses_flat_scratch)
	.set .L__assert_fail.has_dyn_sized_stack, or(0, .L__ockl_fprintf_append_string_n.has_dyn_sized_stack)
	.set .L__assert_fail.has_recursion, or(0, .L__ockl_fprintf_append_string_n.has_recursion)
	.set .L__assert_fail.has_indirect_call, or(0, .L__ockl_fprintf_append_string_n.has_indirect_call)
	.section	.AMDGPU.csdata,"",@progbits
; Function info:
; codeLenInByte = 15432
; TotalNumSgprs: 36
; NumVgprs: 40
; ScratchSize: 64
; MemoryBound: 0
	.text
	.p2align	2                               ; -- Begin function _ZN12_GLOBAL__N_17runRingI11rccl_float87FuncSumIS1_E11ProtoSimpleILi1ELi1ELi0ELi1ELi0ELi0EELi0ELi1ELi0EEEviiP15ncclDevWorkColl
	.type	_ZN12_GLOBAL__N_17runRingI11rccl_float87FuncSumIS1_E11ProtoSimpleILi1ELi1ELi0ELi1ELi0ELi0EELi0ELi1ELi0EEEviiP15ncclDevWorkColl,@function
_ZN12_GLOBAL__N_17runRingI11rccl_float87FuncSumIS1_E11ProtoSimpleILi1ELi1ELi0ELi1ELi0ELi0EELi0ELi1ELi0EEEviiP15ncclDevWorkColl: ; @_ZN12_GLOBAL__N_17runRingI11rccl_float87FuncSumIS1_E11ProtoSimpleILi1ELi1ELi0ELi1ELi0ELi0EELi0ELi1ELi0EEEviiP15ncclDevWorkColl
; %bb.0:
	s_waitcnt vmcnt(0) expcnt(0) lgkmcnt(0)
	s_mov_b32 s47, s33
	s_mov_b32 s33, s32
	s_or_saveexec_b32 s4, -1
	buffer_store_dword v60, off, s[0:3], s33 offset:48 ; 4-byte Folded Spill
	s_mov_b32 exec_lo, s4
	s_addk_i32 s32, 0x800
	buffer_store_dword v40, off, s[0:3], s33 offset:44 ; 4-byte Folded Spill
	buffer_store_dword v41, off, s[0:3], s33 offset:40 ; 4-byte Folded Spill
	;; [unrolled: 1-line block ×11, first 2 shown]
	buffer_store_dword v59, off, s[0:3], s33 ; 4-byte Folded Spill
	v_writelane_b32 v60, s30, 0
	v_writelane_b32 v60, s31, 1
	s_trap 2
	ds_read_b64 v[14:15], v0
	ds_read_b32 v6, v0
	flat_load_dwordx2 v[8:9], v[2:3]
                                        ; implicit-def: $vgpr28_vgpr29
                                        ; implicit-def: $vgpr18_vgpr19
	s_waitcnt lgkmcnt(2)
	v_ashrrev_i32_e32 v5, 31, v15
	v_mov_b32_e32 v4, v15
	v_lshlrev_b64 v[4:5], 2, v[4:5]
	v_add_co_u32 v4, vcc_lo, v14, v4
	v_add_co_ci_u32_e64 v5, null, v15, v5, vcc_lo
	v_add_co_u32 v4, vcc_lo, -4, v4
	v_add_co_ci_u32_e64 v5, null, -1, v5, vcc_lo
	flat_load_ushort v16, v[2:3] offset:8
	flat_load_dword v36, v[4:5]
                                        ; implicit-def: $vgpr4_vgpr5
	s_waitcnt vmcnt(2) lgkmcnt(2)
	v_mov_b32_e32 v15, v9
	v_cmp_ne_u32_sdwa s4, v6, v8 src0_sel:DWORD src1_sel:BYTE_0
	s_and_saveexec_b32 s5, s4
	s_xor_b32 s4, exec_lo, s5
	s_cbranch_execz .LBB2_6
; %bb.1:
	v_not_b32_sdwa v9, v8 dst_sel:DWORD dst_unused:UNUSED_PAD src0_sel:BYTE_0
	v_cmp_ne_u32_sdwa s5, v6, v8 src0_sel:DWORD src1_sel:BYTE_1
                                        ; implicit-def: $vgpr28_vgpr29
                                        ; implicit-def: $vgpr4_vgpr5
                                        ; implicit-def: $vgpr18_vgpr19
	s_and_saveexec_b32 s6, s5
	s_xor_b32 s5, exec_lo, s6
	s_cbranch_execz .LBB2_3
; %bb.2:
	s_clause 0x1
	flat_load_dwordx4 v[10:13], v[2:3] offset:72
	flat_load_dwordx2 v[4:5], v[2:3] offset:96
	v_add_nc_u32_e32 v6, v6, v9
                                        ; implicit-def: $vgpr8
                                        ; implicit-def: $vgpr9
	v_ashrrev_i32_e32 v7, 31, v6
	s_waitcnt vmcnt(1) lgkmcnt(1)
	v_mul_lo_u32 v7, v12, v7
	v_mad_u64_u32 v[18:19], null, v12, v6, v[10:11]
	v_mul_lo_u32 v6, v13, v6
	s_waitcnt vmcnt(0) lgkmcnt(0)
	v_lshrrev_b64 v[28:29], 12, v[4:5]
	v_mov_b32_e32 v4, v12
	v_mov_b32_e32 v5, v13
	v_add3_u32 v19, v6, v19, v7
.LBB2_3:
	s_andn2_saveexec_b32 s5, s5
	s_cbranch_execz .LBB2_5
; %bb.4:
	s_clause 0x1
	flat_load_dwordx4 v[10:13], v[2:3] offset:72
	flat_load_dwordx4 v[4:7], v[2:3] offset:88
	s_waitcnt vmcnt(0) lgkmcnt(0)
	v_add_nc_u32_sdwa v6, v8, v9 dst_sel:DWORD dst_unused:UNUSED_PAD src0_sel:BYTE_1 src1_sel:DWORD
	v_ashrrev_i32_e32 v8, 31, v6
	v_mul_lo_u32 v8, v12, v8
	v_mad_u64_u32 v[18:19], null, v12, v6, v[10:11]
	v_mul_lo_u32 v6, v13, v6
	v_lshrrev_b32_e32 v28, 1, v7
	v_add3_u32 v19, v6, v19, v8
.LBB2_5:
	s_or_b32 exec_lo, exec_lo, s5
.LBB2_6:
	s_andn2_saveexec_b32 s4, s4
	s_cbranch_execz .LBB2_8
; %bb.7:
	s_clause 0x1
	flat_load_dwordx2 v[6:7], v[2:3] offset:96
	flat_load_dwordx2 v[4:5], v[2:3] offset:72
	v_mov_b32_e32 v18, 0
	v_mov_b32_e32 v19, 0
	s_waitcnt vmcnt(1) lgkmcnt(1)
	v_lshlrev_b64 v[28:29], 9, v[6:7]
.LBB2_8:
	s_or_b32 exec_lo, exec_lo, s4
	s_trap 2
	ds_read_b64 v[6:7], v0
	s_mov_b32 s5, exec_lo
	s_waitcnt lgkmcnt(0)
	v_cmp_ne_u32_e32 vcc_lo, -1, v6
	v_cndmask_b32_e64 v38, 0, 1, vcc_lo
	v_cmp_ne_u32_e32 vcc_lo, -1, v7
	v_add_co_ci_u32_e64 v6, null, 0, v38, vcc_lo
	v_lshlrev_b32_e32 v7, 1, v6
	v_cmpx_le_u32_e64 v7, v1
	s_xor_b32 s15, exec_lo, s5
	s_cbranch_execz .LBB2_2569
; %bb.9:
	s_clause 0x1
	flat_load_dwordx4 v[10:13], v[2:3] offset:16
	flat_load_dwordx2 v[29:30], v[2:3] offset:104
	s_trap 2
	s_load_dword s4, s[8:9], 0x0
	v_mov_b32_e32 v2, 0
	v_mov_b32_e32 v69, 4
	s_waitcnt lgkmcnt(0)
	s_cmp_lt_u32 s12, s4
	s_cselect_b32 s4, 12, 18
	s_add_u32 s4, s8, s4
	s_addc_u32 s5, s9, 0
	global_load_ushort v68, v2, s[4:5]
	ds_read_b32 v2, v0
	s_mov_b32 s5, exec_lo
	s_waitcnt lgkmcnt(0)
	v_readfirstlane_b32 s16, v2
	v_cmpx_ge_i32_e64 v0, v38
	s_cbranch_execz .LBB2_19
; %bb.10:
	v_cmp_ge_u32_e64 s4, v0, v6
                                        ; implicit-def: $vgpr69
	s_and_saveexec_b32 s6, s4
	s_xor_b32 s4, exec_lo, s6
	s_cbranch_execz .LBB2_16
; %bb.11:
	v_cndmask_b32_e64 v2, 0, 1, vcc_lo
	s_mov_b32 s6, exec_lo
	v_sub_nc_u32_e32 v2, v1, v2
	v_cmpx_ge_u32_e64 v0, v2
	s_xor_b32 s6, exec_lo, s6
; %bb.12:
                                        ; implicit-def: $vgpr6
; %bb.13:
	s_or_saveexec_b32 s6, s6
	v_mov_b32_e32 v69, 16
	s_xor_b32 exec_lo, exec_lo, s6
; %bb.14:
	v_sub_nc_u32_e32 v2, v1, v6
	v_cmp_lt_i32_e32 vcc_lo, v0, v2
	v_cndmask_b32_e64 v69, 32, 0, vcc_lo
; %bb.15:
	s_or_b32 exec_lo, exec_lo, s6
.LBB2_16:
	s_andn2_saveexec_b32 s4, s4
; %bb.17:
	v_mov_b32_e32 v69, 8
; %bb.18:
	s_or_b32 exec_lo, exec_lo, s4
.LBB2_19:
	s_or_b32 exec_lo, exec_lo, s5
	v_and_b32_e32 v2, 36, v69
	v_mov_b32_e32 v32, -1
	v_cmp_ne_u32_e32 vcc_lo, 0, v2
	s_and_saveexec_b32 s4, vcc_lo
	s_cbranch_execz .LBB2_21
; %bb.20:
	s_trap 2
	ds_read_b32 v32, v0
.LBB2_21:
	s_or_b32 exec_lo, exec_lo, s4
	v_and_b32_e32 v2, 24, v69
	s_mov_b32 s5, exec_lo
	v_cmpx_ne_u32_e32 0, v2
	s_cbranch_execz .LBB2_23
; %bb.22:
	s_trap 2
	s_waitcnt lgkmcnt(0)
	ds_read_b32 v32, v0
.LBB2_23:
	s_or_b32 exec_lo, exec_lo, s5
	s_waitcnt vmcnt(4)
	v_lshrrev_b64 v[2:3], 31, v[15:16]
	v_mov_b32_e32 v20, 0
	v_mov_b32_e32 v6, 0
	;; [unrolled: 1-line block ×3, first 2 shown]
	s_waitcnt lgkmcnt(0)
	v_ashrrev_i32_e32 v33, 31, v32
	v_mov_b32_e32 v7, 0
	v_and_b32_e32 v2, 3, v2
                                        ; implicit-def: $vgpr70
                                        ; implicit-def: $vgpr26_vgpr27
                                        ; implicit-def: $vgpr24_vgpr25
                                        ; implicit-def: $vgpr22_vgpr23
	v_and_b32_e32 v37, 0xffff, v2
                                        ; implicit-def: $vgpr2_vgpr3
	s_and_saveexec_b32 s4, vcc_lo
	s_cbranch_execz .LBB2_33
; %bb.24:
	s_trap 2
	ds_read_b64 v[2:3], v0
	v_lshlrev_b64 v[6:7], 3, v[32:33]
	s_waitcnt lgkmcnt(0)
	v_add_co_u32 v2, vcc_lo, v2, v6
	v_add_co_ci_u32_e64 v3, null, v3, v7, vcc_lo
	flat_load_dwordx2 v[2:3], v[2:3]
	s_waitcnt vmcnt(0) lgkmcnt(0)
	v_mad_u64_u32 v[16:17], null, 0xa8, v37, v[2:3]
	flat_load_dword v2, v[16:17] offset:640
	s_waitcnt vmcnt(0) lgkmcnt(0)
	v_cmp_eq_u32_e32 vcc_lo, 1, v2
                                        ; implicit-def: $vgpr2_vgpr3
	s_and_saveexec_b32 s5, vcc_lo
	s_cbranch_execz .LBB2_26
; %bb.25:
	flat_load_dwordx2 v[2:3], v[16:17] offset:648
	v_or_b32_e32 v69, 0x2000, v69
	s_waitcnt vmcnt(0) lgkmcnt(0)
	flat_load_dwordx2 v[6:7], v[2:3]
	s_trap 2
	s_waitcnt vmcnt(0) lgkmcnt(0)
	ds_write_b64 v0, v[6:7]
	flat_load_dwordx2 v[6:7], v[2:3] offset:8
	s_waitcnt vmcnt(0) lgkmcnt(0)
	ds_write_b64 v0, v[6:7]
	flat_load_dwordx2 v[6:7], v[2:3] offset:16
	s_waitcnt vmcnt(0) lgkmcnt(0)
	ds_write_b64 v0, v[6:7]
.LBB2_26:
	s_or_b32 exec_lo, exec_lo, s5
	flat_load_dwordx2 v[8:9], v[16:17] offset:608
	v_and_b32_e32 v6, 32, v69
	s_mov_b32 s5, exec_lo
                                        ; implicit-def: $vgpr22_vgpr23
	v_cmpx_ne_u32_e32 0, v6
	s_cbranch_execz .LBB2_28
; %bb.27:
	flat_load_dwordx2 v[22:23], v[16:17] offset:560
	s_waitcnt vmcnt(0) lgkmcnt(0)
	s_waitcnt_vscnt null, 0x0
	flat_store_dwordx2 v[22:23], v[8:9]
.LBB2_28:
	s_or_b32 exec_lo, exec_lo, s5
	v_and_b32_e32 v24, 4, v69
	v_add_co_u32 v20, vcc_lo, 0x1f8, v16
	v_mov_b32_e32 v6, 0
	v_add_co_ci_u32_e64 v21, null, 0, v17, vcc_lo
	v_mov_b32_e32 v7, 0
	v_cmp_ne_u32_e32 vcc_lo, 0, v24
                                        ; implicit-def: $vgpr70
                                        ; implicit-def: $vgpr26_vgpr27
                                        ; implicit-def: $vgpr24_vgpr25
	s_and_saveexec_b32 s5, vcc_lo
	s_cbranch_execz .LBB2_32
; %bb.29:
	v_and_b32_e32 v6, 0x800, v69
	s_mov_b32 s6, exec_lo
	v_cmpx_eq_u32_e32 0, v6
	s_cbranch_execz .LBB2_31
; %bb.30:
	s_trap 2
	ds_write_b64 v0, v[20:21]
.LBB2_31:
	s_or_b32 exec_lo, exec_lo, s6
	flat_load_dwordx2 v[22:23], v[16:17] offset:552
	s_waitcnt vmcnt(0) lgkmcnt(0)
	flat_load_dwordx2 v[26:27], v[22:23] glc dlc
	s_clause 0x2
	flat_load_dwordx2 v[6:7], v[16:17] offset:600
	flat_load_dword v70, v[16:17] offset:576
	flat_load_dwordx2 v[24:25], v[16:17] offset:520
	v_or_b32_e32 v16, 0x100, v69
	s_waitcnt vmcnt(2) lgkmcnt(2)
	v_cmp_eq_u64_e32 vcc_lo, 0, v[6:7]
	v_cndmask_b32_e32 v69, v16, v69, vcc_lo
.LBB2_32:
	s_or_b32 exec_lo, exec_lo, s5
.LBB2_33:
	s_or_b32 exec_lo, exec_lo, s4
	v_and_b32_e32 v16, 24, v69
	s_mov_b32 s4, exec_lo
                                        ; implicit-def: $vgpr34_vgpr35
	v_cmpx_ne_u32_e32 0, v16
	s_cbranch_execz .LBB2_41
; %bb.34:
	s_trap 2
	ds_read_b64 v[6:7], v0
	s_waitcnt vmcnt(0) lgkmcnt(1)
	v_lshlrev_b64 v[8:9], 3, v[32:33]
	v_or_b32_e32 v16, 0x100, v69
	s_mov_b32 s5, exec_lo
                                        ; implicit-def: $vgpr34_vgpr35
	s_waitcnt lgkmcnt(0)
	v_add_co_u32 v6, vcc_lo, v6, v8
	v_add_co_ci_u32_e64 v7, null, v7, v9, vcc_lo
	flat_load_dwordx2 v[6:7], v[6:7]
	s_waitcnt vmcnt(0) lgkmcnt(0)
	v_mad_u64_u32 v[20:21], null, 0xa8, v37, v[6:7]
	flat_load_dwordx4 v[6:9], v[20:21] offset:96
	s_waitcnt vmcnt(0) lgkmcnt(0)
	v_cmp_eq_u64_e32 vcc_lo, 0, v[6:7]
	v_cndmask_b32_e32 v69, v16, v69, vcc_lo
	v_and_b32_e32 v16, 16, v69
	v_cmpx_ne_u32_e32 0, v16
	s_cbranch_execz .LBB2_36
; %bb.35:
	s_clause 0x2
	flat_load_dwordx2 v[22:23], v[20:21] offset:48
	flat_load_dwordx2 v[34:35], v[20:21] offset:120
	;; [unrolled: 1-line block ×3, first 2 shown]
.LBB2_36:
	s_or_b32 exec_lo, exec_lo, s5
	v_and_b32_e32 v16, 8, v69
	s_mov_b32 s5, exec_lo
	v_cmpx_ne_u32_e32 0, v16
	s_cbranch_execz .LBB2_40
; %bb.37:
	v_and_b32_e32 v16, 0x800, v69
	s_mov_b32 s6, exec_lo
	v_cmpx_eq_u32_e32 0, v16
	s_cbranch_execz .LBB2_39
; %bb.38:
	s_trap 2
	ds_write_b64 v0, v[20:21]
.LBB2_39:
	s_or_b32 exec_lo, exec_lo, s6
	s_waitcnt vmcnt(2) lgkmcnt(2)
	flat_load_dwordx2 v[22:23], v[20:21] offset:56
	s_waitcnt vmcnt(0) lgkmcnt(0)
	flat_load_dwordx2 v[26:27], v[22:23] glc dlc
	s_clause 0x1
	flat_load_dword v70, v[20:21] offset:72
	flat_load_dwordx2 v[24:25], v[20:21] offset:16
.LBB2_40:
	s_or_b32 exec_lo, exec_lo, s5
.LBB2_41:
	s_or_b32 exec_lo, exec_lo, s4
	v_cmp_eq_u32_e64 s4, 0, v0
	s_and_saveexec_b32 s5, s4
	s_cbranch_execz .LBB2_43
; %bb.42:
	v_mov_b32_e32 v16, 0
	s_waitcnt vmcnt(2)
	ds_write2_b64 v0, v[12:13], v[10:11] offset1:1
	s_trap 2
	v_mov_b32_e32 v17, v16
	ds_write_b64 v0, v[16:17]
	s_waitcnt vmcnt(1)
	ds_write_b64 v0, v[29:30]
.LBB2_43:
	s_or_b32 exec_lo, exec_lo, s5
	s_waitcnt vmcnt(2)
	v_bfe_u32 v10, v15, 1, 30
	v_and_b32_e32 v32, 0x3ffffe00, v28
	v_mov_b32_e32 v33, 0
                                        ; implicit-def: $vgpr28_vgpr29
	s_mov_b32 s5, exec_lo
	v_cmpx_ne_u32_e64 v36, v10
	s_xor_b32 s17, exec_lo, s5
	s_cbranch_execz .LBB2_2361
; %bb.44:
                                        ; implicit-def: $vgpr28_vgpr29
	s_mov_b32 s5, exec_lo
	v_cmpx_ne_u32_e64 v14, v10
	s_xor_b32 s18, exec_lo, s5
	s_cbranch_execz .LBB2_1208
; %bb.45:
	s_waitcnt vmcnt(1)
	v_mov_b32_e32 v28, 0
	v_mov_b32_e32 v29, 0
	s_mov_b32 s19, exec_lo
	v_cmpx_ne_u64_e32 0, v[4:5]
	s_cbranch_execz .LBB2_1207
; %bb.46:
	v_ashrrev_i32_e32 v10, 31, v0
	v_and_b32_e32 v11, 31, v31
	v_lshrrev_b32_e32 v71, 5, v1
	v_lshlrev_b32_e32 v80, 4, v0
	s_ashr_i32 s7, s16, 31
	v_lshrrev_b32_e32 v10, 27, v10
	v_cmp_eq_u32_e32 vcc_lo, 32, v1
	s_lshr_b32 s7, s7, 24
	s_waitcnt lgkmcnt(1)
	v_cmp_eq_u64_e64 s12, 0, v[34:35]
	v_mov_b32_e32 v28, 0
	v_add_nc_u32_e32 v10, v0, v10
	v_cmp_ge_i32_e64 s5, v0, v1
	v_ashrrev_i32_e32 v30, 31, v70
	v_cmp_ne_u32_e64 s6, 32, v1
	s_waitcnt vmcnt(0)
	v_cmp_ne_u32_sdwa s20, v1, v68 src0_sel:DWORD src1_sel:WORD_0
	v_and_b32_e32 v12, 0xffffffe0, v10
	v_ashrrev_i32_e32 v10, 5, v10
	v_mov_b32_e32 v36, 0
	v_and_b32_e32 v81, 0x1fe0, v1
	s_add_i32 s13, s16, s7
	v_sub_nc_u32_e32 v82, v0, v12
	v_cmp_eq_u32_e64 s7, 0, v11
	v_ashrrev_i32_e32 v83, 31, v80
	v_lshlrev_b32_e32 v84, 9, v71
	v_lshlrev_b32_e32 v85, 8, v71
	v_cmp_le_i32_e64 s10, v82, v38
	v_cmp_lt_i32_e64 s11, v82, v38
	v_mov_b32_e32 v38, 0
	v_sub_nc_u32_e32 v86, 0, v10
	v_mov_b32_e32 v39, 0
	v_mov_b32_e32 v87, 1
	v_mov_b32_e32 v96, 0x90
	v_mov_b32_e32 v97, 0x7f
	v_mov_b32_e32 v98, 0x80
	v_mov_b32_e32 v99, 0xffff
	v_mov_b32_e32 v100, 24
	v_mov_b32_e32 v101, 0xff
	v_mov_b32_e32 v29, 0
	v_mov_b32_e32 v102, 7
	s_ashr_i32 s22, s13, 8
	s_mov_b32 s21, 0
	s_xor_b32 s23, vcc_lo, -1
	s_trap 2
	s_branch .LBB2_49
.LBB2_47:                               ;   in Loop: Header=BB2_49 Depth=1
	s_or_b32 exec_lo, exec_lo, s13
.LBB2_48:                               ;   in Loop: Header=BB2_49 Depth=1
	s_or_b32 exec_lo, exec_lo, s14
	v_add_co_u32 v38, vcc_lo, v38, v32
	v_add_co_ci_u32_e64 v39, null, 0, v39, vcc_lo
	v_cmp_ge_u64_e32 vcc_lo, v[38:39], v[4:5]
	s_or_b32 s21, vcc_lo, s21
	s_andn2_b32 exec_lo, exec_lo, s21
	s_cbranch_execz .LBB2_1206
.LBB2_49:                               ; =>This Loop Header: Depth=1
                                        ;     Child Loop BB2_58 Depth 2
                                        ;     Child Loop BB2_86 Depth 2
	;; [unrolled: 1-line block ×10, first 2 shown]
	v_sub_co_u32 v10, vcc_lo, v4, v38
	v_sub_co_ci_u32_e64 v11, null, v5, v39, vcc_lo
	v_cmp_lt_u64_e32 vcc_lo, v[32:33], v[10:11]
	v_cndmask_b32_e32 v48, v10, v32, vcc_lo
	v_cndmask_b32_e64 v49, v11, 0, vcc_lo
	v_add_nc_u32_e32 v10, 15, v48
	v_cmp_eq_u64_e32 vcc_lo, 0, v[48:49]
	v_and_b32_e32 v10, 0x7ffffff0, v10
	s_or_b32 s24, s5, vcc_lo
	s_xor_b32 s13, s24, -1
	v_max_i32_e32 v49, s22, v10
	v_mov_b32_e32 v10, 0
	s_and_saveexec_b32 s25, s13
	s_cbranch_execz .LBB2_1154
; %bb.50:                               ;   in Loop: Header=BB2_49 Depth=1
	s_and_saveexec_b32 s13, s4
	s_cbranch_execz .LBB2_52
; %bb.51:                               ;   in Loop: Header=BB2_49 Depth=1
	s_trap 2
	ds_read_b64 v[10:11], v0
	v_mov_b32_e32 v37, v36
	s_waitcnt lgkmcnt(0)
	v_add_co_u32 v10, vcc_lo, v10, v18
	v_add_co_ci_u32_e64 v11, null, v11, v19, vcc_lo
	v_add_co_u32 v10, vcc_lo, v10, v38
	v_add_co_ci_u32_e64 v11, null, v11, v39, vcc_lo
	ds_write_b64 v0, v[10:11]
	ds_write_b64 v0, v[36:37]
.LBB2_52:                               ;   in Loop: Header=BB2_49 Depth=1
	s_or_b32 exec_lo, exec_lo, s13
	v_and_b32_e32 v10, 12, v69
	v_min_u32_e32 v49, v49, v48
	s_mov_b32 s14, exec_lo
	v_cmpx_ne_u32_e32 0, v10
	s_cbranch_execz .LBB2_78
; %bb.53:                               ;   in Loop: Header=BB2_49 Depth=1
	v_and_b32_e32 v14, 8, v69
	s_mov_b32 s26, exec_lo
	s_waitcnt vmcnt(0)
	v_add_co_u32 v12, vcc_lo, v26, v14
	v_add_co_ci_u32_e64 v13, null, 0, v27, vcc_lo
	s_waitcnt lgkmcnt(0)
	v_add_co_u32 v10, vcc_lo, v8, 1
	v_add_co_ci_u32_e64 v11, null, 0, v9, vcc_lo
	v_cmpx_lt_u64_e64 v[12:13], v[10:11]
	s_cbranch_execz .LBB2_65
; %bb.54:                               ;   in Loop: Header=BB2_49 Depth=1
	v_and_b32_e32 v9, 64, v69
	s_mov_b32 s27, 0
	s_mov_b32 s41, 0
                                        ; implicit-def: $sgpr28
                                        ; implicit-def: $sgpr29
                                        ; implicit-def: $sgpr40
	v_cmp_eq_u32_e32 vcc_lo, 0, v9
	s_branch .LBB2_58
.LBB2_55:                               ;   in Loop: Header=BB2_58 Depth=2
	s_waitcnt vmcnt(0) lgkmcnt(0)
	v_add_co_u32 v12, s13, v26, v14
	v_add_co_ci_u32_e64 v13, null, 0, v27, s13
	s_or_b32 s44, s44, exec_lo
	v_cmp_ge_u64_e64 s13, v[12:13], v[10:11]
	s_orn2_b32 s43, s13, exec_lo
.LBB2_56:                               ;   in Loop: Header=BB2_58 Depth=2
	s_or_b32 exec_lo, exec_lo, s46
	s_andn2_b32 s13, s40, exec_lo
	s_and_b32 s40, s44, exec_lo
	s_andn2_b32 s29, s29, exec_lo
	s_and_b32 s43, s43, exec_lo
	s_or_b32 s40, s13, s40
	s_or_b32 s29, s29, s43
.LBB2_57:                               ;   in Loop: Header=BB2_58 Depth=2
	s_or_b32 exec_lo, exec_lo, s42
	s_and_b32 s13, exec_lo, s29
	s_or_b32 s27, s13, s27
	s_andn2_b32 s13, s28, exec_lo
	s_and_b32 s28, s40, exec_lo
	s_or_b32 s28, s13, s28
	s_andn2_b32 exec_lo, exec_lo, s27
	s_cbranch_execz .LBB2_62
.LBB2_58:                               ;   Parent Loop BB2_49 Depth=1
                                        ; =>  This Inner Loop Header: Depth=2
	s_sleep 1
	s_waitcnt vmcnt(0) lgkmcnt(0)
	flat_load_dwordx2 v[26:27], v[22:23] glc dlc
	s_or_b32 s40, s40, exec_lo
	s_or_b32 s29, s29, exec_lo
                                        ; implicit-def: $vgpr9
	s_and_saveexec_b32 s42, vcc_lo
	s_cbranch_execz .LBB2_57
; %bb.59:                               ;   in Loop: Header=BB2_58 Depth=2
	s_cmpk_lt_i32 s41, 0x270f
	s_mov_b32 s43, -1
	s_cselect_b32 s45, -1, 0
	s_cmpk_gt_i32 s41, 0x270e
	s_cbranch_scc0 .LBB2_61
; %bb.60:                               ;   in Loop: Header=BB2_58 Depth=2
	s_trap 2
	ds_read_b64 v[12:13], v0
	s_andn2_b32 s41, s45, exec_lo
	s_mov_b32 s44, 0
	s_waitcnt vmcnt(0) lgkmcnt(0)
	s_waitcnt_vscnt null, 0x0
	flat_load_dword v9, v[12:13] glc dlc
	s_waitcnt vmcnt(0) lgkmcnt(0)
	buffer_gl1_inv
	buffer_gl0_inv
	v_cmp_eq_u32_e64 s13, 0, v9
	s_and_b32 s13, s13, exec_lo
	s_or_b32 s45, s41, s13
	s_mov_b32 s41, 0
	s_and_saveexec_b32 s46, s45
	s_cbranch_execz .LBB2_56
	s_branch .LBB2_55
.LBB2_61:                               ;   in Loop: Header=BB2_58 Depth=2
	s_add_i32 s41, s41, 1
	s_mov_b32 s44, -1
                                        ; implicit-def: $vgpr9
	s_and_saveexec_b32 s46, s45
	s_cbranch_execz .LBB2_56
	s_branch .LBB2_55
.LBB2_62:                               ;   in Loop: Header=BB2_49 Depth=1
	s_or_b32 exec_lo, exec_lo, s27
	s_xor_b32 s13, s28, -1
	s_and_saveexec_b32 s27, s13
	s_xor_b32 s13, exec_lo, s27
	s_cbranch_execz .LBB2_64
; %bb.63:                               ;   in Loop: Header=BB2_49 Depth=1
	v_or_b32_e32 v69, 64, v69
	s_waitcnt vmcnt(0) lgkmcnt(0)
	s_waitcnt_vscnt null, 0x0
	ds_write_b32 v0, v9
	s_trap 2
.LBB2_64:                               ;   in Loop: Header=BB2_49 Depth=1
	s_or_b32 exec_lo, exec_lo, s13
.LBB2_65:                               ;   in Loop: Header=BB2_49 Depth=1
	s_or_b32 exec_lo, exec_lo, s26
	v_and_b32_e32 v9, 0x108, v69
	v_and_b32_e32 v15, 7, v8
	s_mov_b32 s13, exec_lo
	;;#ASMSTART
	s_wakeup
	;;#ASMEND
	v_cmpx_ne_u32_e32 0x108, v9
	s_xor_b32 s13, exec_lo, s13
                                        ; implicit-def: $vgpr16
; %bb.66:                               ;   in Loop: Header=BB2_49 Depth=1
	v_mov_b32_e32 v16, v36
; %bb.67:                               ;   in Loop: Header=BB2_49 Depth=1
	s_andn2_saveexec_b32 s13, s13
	s_cbranch_execz .LBB2_69
; %bb.68:                               ;   in Loop: Header=BB2_49 Depth=1
	v_mad_u64_u32 v[8:9], null, v15, 24, v[6:7]
	v_mov_b32_e32 v50, v36
	v_mov_b32_e32 v16, v36
	flat_store_dwordx2 v[8:9], v[49:50] offset:8
.LBB2_69:                               ;   in Loop: Header=BB2_49 Depth=1
	s_or_b32 exec_lo, exec_lo, s13
	v_and_b32_e32 v8, 0x100, v69
	s_mov_b32 s13, -1
	v_cmp_ne_u32_e32 vcc_lo, 0, v8
                                        ; implicit-def: $vgpr8_vgpr9
	s_and_saveexec_b32 s26, vcc_lo
	s_cbranch_execz .LBB2_73
; %bb.70:                               ;   in Loop: Header=BB2_49 Depth=1
	v_mad_u64_u32 v[12:13], null, v15, 24, v[6:7]
	v_mov_b32_e32 v8, v13
	v_mad_u64_u32 v[8:9], null, v16, 24, v[8:9]
	v_mov_b32_e32 v13, v8
	flat_load_dword v8, v[12:13]
	s_waitcnt vmcnt(0) lgkmcnt(0)
	v_cmp_eq_u32_e64 s13, 1, v8
	v_cmp_ne_u32_e32 vcc_lo, 1, v8
                                        ; implicit-def: $vgpr8_vgpr9
	s_and_saveexec_b32 s27, s13
	s_cbranch_execz .LBB2_72
; %bb.71:                               ;   in Loop: Header=BB2_49 Depth=1
	flat_load_dword v8, v[12:13] offset:4 glc dlc
	s_waitcnt vmcnt(0) lgkmcnt(0)
	v_ashrrev_i32_e32 v9, 31, v8
.LBB2_72:                               ;   in Loop: Header=BB2_49 Depth=1
	s_or_b32 exec_lo, exec_lo, s27
	s_orn2_b32 s13, vcc_lo, exec_lo
.LBB2_73:                               ;   in Loop: Header=BB2_49 Depth=1
	s_or_b32 exec_lo, exec_lo, s26
	s_and_saveexec_b32 s26, s13
; %bb.74:                               ;   in Loop: Header=BB2_49 Depth=1
	v_mul_lo_u32 v12, v16, v70
	v_mul_lo_u32 v13, v15, v30
	v_mad_u64_u32 v[8:9], null, v15, v70, 0
	v_add3_u32 v9, v9, v13, v12
; %bb.75:                               ;   in Loop: Header=BB2_49 Depth=1
	s_or_b32 exec_lo, exec_lo, s26
	v_cmp_eq_u32_e32 vcc_lo, 0, v14
	v_and_b32_e32 v13, 0x2000, v69
	s_mov_b32 s13, exec_lo
	v_cndmask_b32_e32 v12, 0xc8, v96, vcc_lo
	v_add_co_u32 v8, vcc_lo, v24, v8
	v_add_co_ci_u32_e64 v9, null, v25, v9, vcc_lo
	v_add_nc_u32_e32 v12, v0, v12
	ds_write_b64 v12, v[8:9] offset:584
	v_cmpx_ne_u32_e32 0, v13
	s_cbranch_execz .LBB2_77
; %bb.76:                               ;   in Loop: Header=BB2_49 Depth=1
	ds_read_b64 v[8:9], v0 offset:872
	s_waitcnt lgkmcnt(0)
	v_add_co_u32 v8, vcc_lo, v8, 1
	v_add_co_ci_u32_e64 v9, null, 0, v9, vcc_lo
	ds_write_b64 v0, v[8:9] offset:872
.LBB2_77:                               ;   in Loop: Header=BB2_49 Depth=1
	s_or_b32 exec_lo, exec_lo, s13
	v_mov_b32_e32 v8, v10
	v_mov_b32_e32 v9, v11
.LBB2_78:                               ;   in Loop: Header=BB2_49 Depth=1
	s_or_b32 exec_lo, exec_lo, s14
	s_and_saveexec_b32 s13, s6
	s_cbranch_execz .LBB2_97
; %bb.79:                               ;   in Loop: Header=BB2_49 Depth=1
	s_and_saveexec_b32 s14, s20
	s_xor_b32 s14, exec_lo, s14
	s_cbranch_execz .LBB2_94
; %bb.80:                               ;   in Loop: Header=BB2_49 Depth=1
	s_and_saveexec_b32 s26, s7
	s_cbranch_execz .LBB2_93
; %bb.81:                               ;   in Loop: Header=BB2_49 Depth=1
	s_mov_b32 s28, exec_lo
	s_mov_b32 s27, exec_lo
	v_mbcnt_lo_u32_b32 v10, s28, 0
	s_waitcnt vmcnt(0) lgkmcnt(0)
	s_waitcnt_vscnt null, 0x0
	buffer_gl1_inv
	buffer_gl0_inv
	v_cmpx_eq_u32_e32 0, v10
	s_cbranch_execz .LBB2_83
; %bb.82:                               ;   in Loop: Header=BB2_49 Depth=1
	s_bcnt1_i32_b32 s28, s28
	v_mov_b32_e32 v11, v36
	v_mov_b32_e32 v10, s28
	ds_add_u64 v0, v[10:11]
	s_trap 2
.LBB2_83:                               ;   in Loop: Header=BB2_49 Depth=1
	s_or_b32 exec_lo, exec_lo, s27
	s_trap 2
	ds_read_b64 v[10:11], v0
	s_waitcnt lgkmcnt(0)
	buffer_gl0_inv
	v_add_co_u32 v28, vcc_lo, v28, v71
	v_add_co_ci_u32_e64 v29, null, 0, v29, vcc_lo
	s_mov_b32 s27, exec_lo
	v_cmpx_lt_u64_e64 v[10:11], v[28:29]
	s_cbranch_execz .LBB2_92
; %bb.84:                               ;   in Loop: Header=BB2_49 Depth=1
	s_mov_b32 s28, 0
	s_mov_b32 s41, 0
                                        ; implicit-def: $sgpr29
                                        ; implicit-def: $sgpr40
	s_inst_prefetch 0x1
	s_branch .LBB2_86
	.p2align	6
.LBB2_85:                               ;   in Loop: Header=BB2_86 Depth=2
	s_or_b32 exec_lo, exec_lo, s43
	s_and_b32 s42, exec_lo, s44
	s_or_b32 s28, s42, s28
	s_andn2_b32 s29, s29, exec_lo
	s_and_b32 s42, s40, exec_lo
	s_or_b32 s29, s29, s42
	s_andn2_b32 exec_lo, exec_lo, s28
	s_cbranch_execz .LBB2_90
.LBB2_86:                               ;   Parent Loop BB2_49 Depth=1
                                        ; =>  This Inner Loop Header: Depth=2
	s_add_i32 s41, s41, 1
	s_cmpk_lg_i32 s41, 0x2710
	s_cselect_b32 s42, -1, 0
	s_and_b32 vcc_lo, exec_lo, s42
	s_cbranch_vccz .LBB2_88
; %bb.87:                               ;   in Loop: Header=BB2_86 Depth=2
	s_mov_b32 s44, -1
	s_or_b32 s40, s40, exec_lo
	s_and_saveexec_b32 s43, s42
	s_cbranch_execz .LBB2_85
	s_branch .LBB2_89
	.p2align	6
.LBB2_88:                               ;   in Loop: Header=BB2_86 Depth=2
	s_trap 2
	ds_read_b64 v[10:11], v0
	s_andn2_b32 s42, s42, exec_lo
	s_mov_b32 s41, 0
	s_waitcnt lgkmcnt(0)
	flat_load_dword v10, v[10:11] glc dlc
	s_waitcnt vmcnt(0) lgkmcnt(0)
	buffer_gl1_inv
	buffer_gl0_inv
	v_cmp_eq_u32_e32 vcc_lo, 0, v10
	s_and_b32 s43, vcc_lo, exec_lo
	s_or_b32 s42, s42, s43
	s_mov_b32 s44, -1
	s_or_b32 s40, s40, exec_lo
	s_and_saveexec_b32 s43, s42
	s_cbranch_execz .LBB2_85
.LBB2_89:                               ;   in Loop: Header=BB2_86 Depth=2
	s_sleep 1
	s_trap 2
	ds_read_b64 v[10:11], v0
	s_waitcnt lgkmcnt(0)
	buffer_gl0_inv
	s_andn2_b32 s40, s40, exec_lo
	v_cmp_ge_u64_e32 vcc_lo, v[10:11], v[28:29]
	s_orn2_b32 s44, vcc_lo, exec_lo
	s_branch .LBB2_85
.LBB2_90:                               ;   in Loop: Header=BB2_49 Depth=1
	s_inst_prefetch 0x2
	s_or_b32 exec_lo, exec_lo, s28
	s_and_saveexec_b32 s28, s29
	s_xor_b32 s28, exec_lo, s28
	s_cbranch_execz .LBB2_92
; %bb.91:                               ;   in Loop: Header=BB2_49 Depth=1
	ds_write_b32 v0, v87
	s_trap 2
.LBB2_92:                               ;   in Loop: Header=BB2_49 Depth=1
	s_or_b32 exec_lo, exec_lo, s27
	;;#ASMSTART
	s_wakeup
	;;#ASMEND
.LBB2_93:                               ;   in Loop: Header=BB2_49 Depth=1
	s_or_b32 exec_lo, exec_lo, s26
.LBB2_94:                               ;   in Loop: Header=BB2_49 Depth=1
	s_andn2_saveexec_b32 s14, s14
	s_cbranch_execz .LBB2_96
; %bb.95:                               ;   in Loop: Header=BB2_49 Depth=1
	s_waitcnt vmcnt(0) lgkmcnt(0)
	s_waitcnt_vscnt null, 0x0
	buffer_gl1_inv
	buffer_gl0_inv
	s_barrier
.LBB2_96:                               ;   in Loop: Header=BB2_49 Depth=1
	s_or_b32 exec_lo, exec_lo, s14
.LBB2_97:                               ;   in Loop: Header=BB2_49 Depth=1
	s_or_b32 exec_lo, exec_lo, s13
	s_trap 2
	ds_read_b32 v10, v0
	v_and_b32_e32 v11, 0x4000, v69
	v_cmp_ne_u32_e32 vcc_lo, 0, v11
	s_and_b32 s14, s23, vcc_lo
	s_and_saveexec_b32 s13, s14
	s_cbranch_execz .LBB2_116
; %bb.98:                               ;   in Loop: Header=BB2_49 Depth=1
	s_and_saveexec_b32 s14, s20
	s_xor_b32 s14, exec_lo, s14
	s_cbranch_execz .LBB2_113
; %bb.99:                               ;   in Loop: Header=BB2_49 Depth=1
	s_and_saveexec_b32 s26, s7
	s_cbranch_execz .LBB2_112
; %bb.100:                              ;   in Loop: Header=BB2_49 Depth=1
	s_mov_b32 s28, exec_lo
	s_mov_b32 s27, exec_lo
	v_mbcnt_lo_u32_b32 v11, s28, 0
	s_waitcnt vmcnt(0) lgkmcnt(0)
	s_waitcnt_vscnt null, 0x0
	buffer_gl1_inv
	buffer_gl0_inv
	v_cmpx_eq_u32_e32 0, v11
	s_cbranch_execz .LBB2_102
; %bb.101:                              ;   in Loop: Header=BB2_49 Depth=1
	s_bcnt1_i32_b32 s28, s28
	v_mov_b32_e32 v12, v36
	v_mov_b32_e32 v11, s28
	ds_add_u64 v0, v[11:12]
	s_trap 2
.LBB2_102:                              ;   in Loop: Header=BB2_49 Depth=1
	s_or_b32 exec_lo, exec_lo, s27
	s_trap 2
	ds_read_b64 v[11:12], v0
	s_waitcnt lgkmcnt(0)
	buffer_gl0_inv
	v_add_co_u32 v28, vcc_lo, v28, v71
	v_add_co_ci_u32_e64 v29, null, 0, v29, vcc_lo
	s_mov_b32 s27, exec_lo
	v_cmpx_lt_u64_e64 v[11:12], v[28:29]
	s_cbranch_execz .LBB2_111
; %bb.103:                              ;   in Loop: Header=BB2_49 Depth=1
	s_mov_b32 s28, 0
	s_mov_b32 s41, 0
                                        ; implicit-def: $sgpr29
                                        ; implicit-def: $sgpr40
	s_inst_prefetch 0x1
	s_branch .LBB2_105
	.p2align	6
.LBB2_104:                              ;   in Loop: Header=BB2_105 Depth=2
	s_or_b32 exec_lo, exec_lo, s43
	s_and_b32 s42, exec_lo, s44
	s_or_b32 s28, s42, s28
	s_andn2_b32 s29, s29, exec_lo
	s_and_b32 s42, s40, exec_lo
	s_or_b32 s29, s29, s42
	s_andn2_b32 exec_lo, exec_lo, s28
	s_cbranch_execz .LBB2_109
.LBB2_105:                              ;   Parent Loop BB2_49 Depth=1
                                        ; =>  This Inner Loop Header: Depth=2
	s_add_i32 s41, s41, 1
	s_cmpk_lg_i32 s41, 0x2710
	s_cselect_b32 s42, -1, 0
	s_and_b32 vcc_lo, exec_lo, s42
	s_cbranch_vccz .LBB2_107
; %bb.106:                              ;   in Loop: Header=BB2_105 Depth=2
	s_mov_b32 s44, -1
	s_or_b32 s40, s40, exec_lo
	s_and_saveexec_b32 s43, s42
	s_cbranch_execz .LBB2_104
	s_branch .LBB2_108
	.p2align	6
.LBB2_107:                              ;   in Loop: Header=BB2_105 Depth=2
	s_trap 2
	ds_read_b64 v[11:12], v0
	s_andn2_b32 s42, s42, exec_lo
	s_mov_b32 s41, 0
	s_waitcnt lgkmcnt(0)
	flat_load_dword v11, v[11:12] glc dlc
	s_waitcnt vmcnt(0) lgkmcnt(0)
	buffer_gl1_inv
	buffer_gl0_inv
	v_cmp_eq_u32_e32 vcc_lo, 0, v11
	s_and_b32 s43, vcc_lo, exec_lo
	s_or_b32 s42, s42, s43
	s_mov_b32 s44, -1
	s_or_b32 s40, s40, exec_lo
	s_and_saveexec_b32 s43, s42
	s_cbranch_execz .LBB2_104
.LBB2_108:                              ;   in Loop: Header=BB2_105 Depth=2
	s_sleep 1
	s_trap 2
	ds_read_b64 v[11:12], v0
	s_waitcnt lgkmcnt(0)
	buffer_gl0_inv
	s_andn2_b32 s40, s40, exec_lo
	v_cmp_ge_u64_e32 vcc_lo, v[11:12], v[28:29]
	s_orn2_b32 s44, vcc_lo, exec_lo
	s_branch .LBB2_104
.LBB2_109:                              ;   in Loop: Header=BB2_49 Depth=1
	s_inst_prefetch 0x2
	s_or_b32 exec_lo, exec_lo, s28
	s_and_saveexec_b32 s28, s29
	s_xor_b32 s28, exec_lo, s28
	s_cbranch_execz .LBB2_111
; %bb.110:                              ;   in Loop: Header=BB2_49 Depth=1
	ds_write_b32 v0, v87
	s_trap 2
.LBB2_111:                              ;   in Loop: Header=BB2_49 Depth=1
	s_or_b32 exec_lo, exec_lo, s27
	;;#ASMSTART
	s_wakeup
	;;#ASMEND
.LBB2_112:                              ;   in Loop: Header=BB2_49 Depth=1
	s_or_b32 exec_lo, exec_lo, s26
.LBB2_113:                              ;   in Loop: Header=BB2_49 Depth=1
	s_andn2_saveexec_b32 s14, s14
	s_cbranch_execz .LBB2_115
; %bb.114:                              ;   in Loop: Header=BB2_49 Depth=1
	s_waitcnt vmcnt(0) lgkmcnt(0)
	s_waitcnt_vscnt null, 0x0
	buffer_gl1_inv
	buffer_gl0_inv
	s_barrier
.LBB2_115:                              ;   in Loop: Header=BB2_49 Depth=1
	s_or_b32 exec_lo, exec_lo, s14
.LBB2_116:                              ;   in Loop: Header=BB2_49 Depth=1
	s_or_b32 exec_lo, exec_lo, s13
	s_trap 2
	ds_read_b64 v[50:51], v0
	s_waitcnt lgkmcnt(0)
	v_cmp_eq_u64_e32 vcc_lo, 0, v[50:51]
	s_cbranch_vccnz .LBB2_124
; %bb.117:                              ;   in Loop: Header=BB2_49 Depth=1
	s_trap 2
	ds_read_b64 v[52:53], v0
	s_waitcnt lgkmcnt(0)
	v_cmp_eq_u64_e32 vcc_lo, 0, v[52:53]
	s_cbranch_vccnz .LBB2_124
; %bb.118:                              ;   in Loop: Header=BB2_49 Depth=1
	s_mov_b32 s13, -1
	s_and_saveexec_b32 s14, s10
	s_cbranch_execz .LBB2_120
; %bb.119:                              ;   in Loop: Header=BB2_49 Depth=1
	ds_read_b32 v11, v0 offset:720
	s_waitcnt lgkmcnt(0)
	v_and_b32_e32 v11, 15, v11
	v_cmp_eq_u32_e32 vcc_lo, 0, v11
	s_orn2_b32 s13, vcc_lo, exec_lo
.LBB2_120:                              ;   in Loop: Header=BB2_49 Depth=1
	s_or_b32 exec_lo, exec_lo, s14
	s_and_saveexec_b32 s14, s11
	s_cbranch_execz .LBB2_122
; %bb.121:                              ;   in Loop: Header=BB2_49 Depth=1
	ds_read_b32 v11, v0 offset:784
	s_waitcnt lgkmcnt(0)
	v_and_b32_e32 v11, 15, v11
	v_cmp_eq_u32_e32 vcc_lo, 0, v11
	s_and_b32 s26, s13, vcc_lo
	s_andn2_b32 s13, s13, exec_lo
	s_and_b32 s26, s26, exec_lo
	s_or_b32 s13, s13, s26
.LBB2_122:                              ;   in Loop: Header=BB2_49 Depth=1
	s_or_b32 exec_lo, exec_lo, s14
	v_cmp_eq_u32_e32 vcc_lo, 0, v10
	s_xor_b32 s13, s13, -1
	v_mov_b32_e32 v103, 0
	v_cndmask_b32_e64 v11, 0, 1, s13
	v_mov_b32_e32 v16, v0
	v_cndmask_b32_e32 v37, 0, v49, vcc_lo
	s_mov_b32 s26, -1
	v_cmp_ne_u32_e32 vcc_lo, 0, v11
	v_mov_b32_e32 v112, v37
	s_cbranch_vccz .LBB2_125
; %bb.123:                              ;   in Loop: Header=BB2_49 Depth=1
	s_and_saveexec_b32 s14, s26
	s_cbranch_execnz .LBB2_904
	s_branch .LBB2_1128
.LBB2_124:                              ;   in Loop: Header=BB2_49 Depth=1
	s_mov_b32 s13, 0
	s_and_saveexec_b32 s14, s6
	s_cbranch_execnz .LBB2_1129
	s_branch .LBB2_1147
.LBB2_125:                              ;   in Loop: Header=BB2_49 Depth=1
	v_and_b32_e32 v103, 0x1ff, v37
	v_lshrrev_b32_e32 v10, 9, v37
	v_sub_nc_u32_e32 v112, v37, v80
	s_mov_b32 s26, exec_lo
	v_cmp_lt_u32_e32 vcc_lo, 15, v103
	v_add_co_ci_u32_e64 v113, null, v10, v86, vcc_lo
	v_cmpx_lt_i32_e32 15, v112
	s_cbranch_execz .LBB2_513
; %bb.126:                              ;   in Loop: Header=BB2_49 Depth=1
	s_trap 2
	ds_read_b64 v[10:11], v0
	v_add_co_u32 v54, s13, v50, v80
	v_add_co_ci_u32_e64 v55, null, v51, v83, s13
	s_mov_b32 s27, 0
	s_waitcnt lgkmcnt(0)
	v_add_co_u32 v64, s13, v10, v80
	v_add_co_ci_u32_e64 v65, null, v11, v83, s13
	v_add_co_u32 v66, s13, v52, v80
	v_add_co_ci_u32_e64 v67, null, v53, v83, s13
	s_branch .LBB2_130
.LBB2_127:                              ;   in Loop: Header=BB2_130 Depth=2
	s_or_b32 exec_lo, exec_lo, s13
	v_lshrrev_b32_e32 v43, 20, v43
	v_min_i32_e32 v44, 15, v17
	v_cmp_gt_i32_e64 s13, 16, v17
	v_and_b32_sdwa v13, v13, v98 dst_sel:DWORD dst_unused:UNUSED_PAD src0_sel:BYTE_3 src1_sel:DWORD
	v_lshlrev_b32_e32 v44, 3, v44
	v_cndmask_b32_e64 v43, 7, v43, s13
	v_and_b32_e32 v44, 0xf8, v44
	v_and_b32_e32 v45, 7, v43
	v_or_b32_e32 v17, v17, v43
	v_or3_b32 v13, v13, v44, v45
	v_cmp_ne_u32_e64 s13, 0, v17
	v_lshlrev_b32_e32 v13, 8, v13
	v_cndmask_b32_e64 v17, 0, v13, s13
.LBB2_128:                              ;   in Loop: Header=BB2_130 Depth=2
	s_or_b32 exec_lo, exec_lo, s29
.LBB2_129:                              ;   in Loop: Header=BB2_130 Depth=2
	s_or_b32 exec_lo, exec_lo, s28
	v_or_b32_sdwa v11, v11, v118 dst_sel:WORD_1 dst_unused:UNUSED_PAD src0_sel:DWORD src1_sel:DWORD
	v_or_b32_sdwa v10, v10, v116 dst_sel:WORD_1 dst_unused:UNUSED_PAD src0_sel:DWORD src1_sel:DWORD
	v_or_b32_sdwa v12, v12, v40 dst_sel:WORD_1 dst_unused:UNUSED_PAD src0_sel:DWORD src1_sel:DWORD
	v_or_b32_sdwa v13, v17, v42 dst_sel:WORD_1 dst_unused:UNUSED_PAD src0_sel:DWORD src1_sel:DWORD
	v_sub_nc_u32_e32 v112, v112, v84
	v_or3_b32 v11, v117, v14, v11
	v_or3_b32 v10, v115, v114, v10
	;; [unrolled: 1-line block ×4, first 2 shown]
	v_add_co_u32 v54, s13, v54, v84
	v_add_co_ci_u32_e64 v55, null, 0, v55, s13
	v_add_co_u32 v64, s13, v64, v84
	global_store_dwordx4 v[66:67], v[10:13], off glc slc
	v_add_co_ci_u32_e64 v65, null, 0, v65, s13
	v_cmp_gt_i32_e64 s13, 16, v112
	v_add_co_u32 v66, s14, v66, v84
	v_add_co_ci_u32_e64 v67, null, 0, v67, s14
	v_sub_nc_u32_e32 v113, v113, v71
	s_or_b32 s27, s13, s27
	s_andn2_b32 exec_lo, exec_lo, s27
	s_cbranch_execz .LBB2_512
.LBB2_130:                              ;   Parent Loop BB2_49 Depth=1
                                        ; =>  This Inner Loop Header: Depth=2
	global_load_dwordx4 v[14:17], v[54:55], off slc
	global_load_dwordx4 v[10:13], v[64:65], off slc
	s_mov_b32 s13, 0
	s_waitcnt vmcnt(1)
	v_cmp_gt_i16_sdwa s14, v14, v97 src0_sel:BYTE_0 src1_sel:DWORD
	s_and_saveexec_b32 s28, s14
	s_xor_b32 s14, exec_lo, s28
	s_cbranch_execz .LBB2_448
; %bb.131:                              ;   in Loop: Header=BB2_130 Depth=2
	v_cmp_eq_u16_sdwa s29, v14, v98 src0_sel:BYTE_0 src1_sel:DWORD
	s_mov_b32 s13, -1
	s_and_saveexec_b32 s28, s29
; %bb.132:                              ;   in Loop: Header=BB2_130 Depth=2
	s_xor_b32 s13, exec_lo, -1
; %bb.133:                              ;   in Loop: Header=BB2_130 Depth=2
	s_or_b32 exec_lo, exec_lo, s28
	s_and_b32 s13, s13, exec_lo
	s_or_saveexec_b32 s14, s14
	v_mov_b32_e32 v114, 0x7f800001
	s_xor_b32 exec_lo, exec_lo, s14
	s_cbranch_execnz .LBB2_449
.LBB2_134:                              ;   in Loop: Header=BB2_130 Depth=2
	s_or_b32 exec_lo, exec_lo, s14
	s_and_saveexec_b32 s14, s13
	s_cbranch_execz .LBB2_136
.LBB2_135:                              ;   in Loop: Header=BB2_130 Depth=2
	v_and_b32_e32 v114, 7, v14
	v_bfe_u32 v117, v14, 3, 4
	v_lshlrev_b32_e32 v118, 24, v14
	v_ffbh_u32_e32 v115, v114
	v_cmp_eq_u32_e64 s13, 0, v117
	v_min_u32_e32 v115, 32, v115
	v_subrev_nc_u32_e32 v116, 28, v115
	v_sub_nc_u32_e32 v115, 29, v115
	v_lshlrev_b32_e32 v116, v116, v14
	v_cndmask_b32_e64 v115, v117, v115, s13
	v_and_b32_e32 v116, 7, v116
	v_lshl_add_u32 v115, v115, 23, 0x3b800000
	v_cndmask_b32_e64 v114, v114, v116, s13
	v_and_b32_e32 v116, 0x80000000, v118
	v_lshlrev_b32_e32 v114, 20, v114
	v_or3_b32 v114, v116, v115, v114
.LBB2_136:                              ;   in Loop: Header=BB2_130 Depth=2
	s_or_b32 exec_lo, exec_lo, s14
	s_waitcnt vmcnt(0)
	v_cmp_gt_i16_sdwa s14, v10, v97 src0_sel:BYTE_0 src1_sel:DWORD
	s_mov_b32 s13, 0
	s_and_saveexec_b32 s28, s14
	s_xor_b32 s14, exec_lo, s28
	s_cbranch_execz .LBB2_450
; %bb.137:                              ;   in Loop: Header=BB2_130 Depth=2
	v_cmp_eq_u16_sdwa s29, v10, v98 src0_sel:BYTE_0 src1_sel:DWORD
	s_mov_b32 s13, -1
	s_and_saveexec_b32 s28, s29
; %bb.138:                              ;   in Loop: Header=BB2_130 Depth=2
	s_xor_b32 s13, exec_lo, -1
; %bb.139:                              ;   in Loop: Header=BB2_130 Depth=2
	s_or_b32 exec_lo, exec_lo, s28
	s_and_b32 s13, s13, exec_lo
	s_or_saveexec_b32 s14, s14
	v_mov_b32_e32 v115, 0x7f800001
	s_xor_b32 exec_lo, exec_lo, s14
	s_cbranch_execnz .LBB2_451
.LBB2_140:                              ;   in Loop: Header=BB2_130 Depth=2
	s_or_b32 exec_lo, exec_lo, s14
	s_and_saveexec_b32 s14, s13
	s_cbranch_execz .LBB2_142
.LBB2_141:                              ;   in Loop: Header=BB2_130 Depth=2
	v_and_b32_e32 v115, 7, v10
	v_bfe_u32 v118, v10, 3, 4
	v_lshlrev_b32_e32 v119, 24, v10
	v_ffbh_u32_e32 v116, v115
	v_cmp_eq_u32_e64 s13, 0, v118
	v_min_u32_e32 v116, 32, v116
	v_subrev_nc_u32_e32 v117, 28, v116
	v_sub_nc_u32_e32 v116, 29, v116
	v_lshlrev_b32_e32 v117, v117, v10
	v_cndmask_b32_e64 v116, v118, v116, s13
	v_and_b32_e32 v117, 7, v117
	v_lshl_add_u32 v116, v116, 23, 0x3b800000
	v_cndmask_b32_e64 v115, v115, v117, s13
	v_and_b32_e32 v117, 0x80000000, v119
	v_lshlrev_b32_e32 v115, 20, v115
	v_or3_b32 v115, v117, v116, v115
.LBB2_142:                              ;   in Loop: Header=BB2_130 Depth=2
	s_or_b32 exec_lo, exec_lo, s14
	v_add_f32_e32 v115, v114, v115
	v_and_b32_e32 v114, 0x7f800000, v115
	v_cmp_ne_u32_e64 s13, 0x7f800000, v114
	v_mov_b32_e32 v114, 0x80
	s_and_saveexec_b32 s28, s13
	s_cbranch_execz .LBB2_150
; %bb.143:                              ;   in Loop: Header=BB2_130 Depth=2
	v_mov_b32_e32 v114, 0
	s_mov_b32 s29, exec_lo
	v_cmpx_ne_u32_e32 0, v115
	s_cbranch_execz .LBB2_149
; %bb.144:                              ;   in Loop: Header=BB2_130 Depth=2
	v_bfe_u32 v114, v115, 23, 8
	v_and_b32_e32 v116, 0x7fffff, v115
	v_sub_nc_u32_e32 v117, 0x78, v114
	v_cmp_gt_u32_e64 s13, 0x79, v114
	v_or_b32_e32 v118, 0x800000, v116
	v_cndmask_b32_e64 v117, 0, v117, s13
	v_cmp_eq_u32_e64 s13, 0, v114
	v_add_nc_u32_e32 v114, 0xffffff89, v114
	v_cndmask_b32_e64 v117, v117, 0x77, s13
	v_cndmask_b32_e64 v116, v118, v116, s13
	;; [unrolled: 1-line block ×3, first 2 shown]
	v_lshl_add_u32 v118, 0x100000, v117, -1
	v_lshrrev_b32_e32 v119, v117, v116
	v_lshlrev_b32_e64 v41, v117, 0x80000
	v_add_nc_u32_e32 v117, v117, v114
	v_and_b32_e32 v116, v118, v116
	v_bfe_u32 v40, v119, 20, 1
	v_cmp_eq_u32_e64 s14, v116, v41
	v_add_nc_u32_e32 v118, -1, v40
	v_cndmask_b32_e64 v116, 0, v118, s14
	v_lshrrev_b32_e32 v118, 23, v119
	s_mov_b32 s14, exec_lo
	v_add_nc_u32_e32 v116, v116, v119
	v_xor_b32_e32 v118, 1, v118
	v_and_b32_e32 v114, 0xfffff, v116
	v_add_nc_u32_e32 v116, v114, v119
                                        ; implicit-def: $vgpr114
	v_cmpx_ne_u32_e64 v117, v118
	s_xor_b32 s14, exec_lo, s14
; %bb.145:                              ;   in Loop: Header=BB2_130 Depth=2
	v_cmp_lt_u32_e64 s13, 0xffffff, v116
	v_sub_nc_u32_e32 v114, v117, v118
	v_cndmask_b32_e64 v117, 0, 1, s13
	v_add_co_ci_u32_e64 v114, null, 0, v114, s13
	v_lshrrev_b32_e32 v116, v117, v116
; %bb.146:                              ;   in Loop: Header=BB2_130 Depth=2
	s_andn2_saveexec_b32 s13, s14
; %bb.147:                              ;   in Loop: Header=BB2_130 Depth=2
	v_bfe_u32 v114, v116, 23, 1
; %bb.148:                              ;   in Loop: Header=BB2_130 Depth=2
	s_or_b32 exec_lo, exec_lo, s13
	v_lshrrev_b32_e32 v116, 20, v116
	v_min_i32_e32 v117, 15, v114
	v_cmp_gt_i32_e64 s13, 16, v114
	v_and_b32_sdwa v115, v115, v98 dst_sel:DWORD dst_unused:UNUSED_PAD src0_sel:BYTE_3 src1_sel:DWORD
	v_lshlrev_b32_e32 v117, 3, v117
	v_cndmask_b32_e64 v116, 7, v116, s13
	v_and_b32_e32 v117, 0xf8, v117
	v_and_b32_e32 v118, 7, v116
	v_or_b32_e32 v114, v114, v116
	v_or3_b32 v115, v117, v115, v118
	v_cmp_ne_u32_e64 s13, 0, v114
	v_cndmask_b32_e64 v114, 0, v115, s13
.LBB2_149:                              ;   in Loop: Header=BB2_130 Depth=2
	s_or_b32 exec_lo, exec_lo, s29
.LBB2_150:                              ;   in Loop: Header=BB2_130 Depth=2
	s_or_b32 exec_lo, exec_lo, s28
	v_cmp_gt_i16_sdwa s14, v14, v97 src0_sel:BYTE_1 src1_sel:DWORD
	s_mov_b32 s13, 0
	s_and_saveexec_b32 s28, s14
	s_xor_b32 s14, exec_lo, s28
	s_cbranch_execz .LBB2_452
; %bb.151:                              ;   in Loop: Header=BB2_130 Depth=2
	v_cmp_eq_u16_sdwa s29, v14, v98 src0_sel:BYTE_1 src1_sel:DWORD
	s_mov_b32 s13, -1
	s_and_saveexec_b32 s28, s29
; %bb.152:                              ;   in Loop: Header=BB2_130 Depth=2
	s_xor_b32 s13, exec_lo, -1
; %bb.153:                              ;   in Loop: Header=BB2_130 Depth=2
	s_or_b32 exec_lo, exec_lo, s28
	s_and_b32 s13, s13, exec_lo
	s_or_saveexec_b32 s14, s14
	v_mov_b32_e32 v115, 0x7f800001
	s_xor_b32 exec_lo, exec_lo, s14
	s_cbranch_execnz .LBB2_453
.LBB2_154:                              ;   in Loop: Header=BB2_130 Depth=2
	s_or_b32 exec_lo, exec_lo, s14
	s_and_saveexec_b32 s14, s13
	s_cbranch_execz .LBB2_156
.LBB2_155:                              ;   in Loop: Header=BB2_130 Depth=2
	v_and_b32_sdwa v115, v99, v14 dst_sel:DWORD dst_unused:UNUSED_PAD src0_sel:DWORD src1_sel:BYTE_1
	v_and_b32_e32 v116, 7, v115
	v_bfe_u32 v119, v115, 3, 4
	v_ffbh_u32_e32 v117, v116
	v_cmp_eq_u32_e64 s13, 0, v119
	v_min_u32_e32 v117, 32, v117
	v_subrev_nc_u32_e32 v118, 28, v117
	v_sub_nc_u32_e32 v117, 29, v117
	v_lshlrev_b32_e32 v115, v118, v115
	v_lshlrev_b32_sdwa v118, v100, v14 dst_sel:DWORD dst_unused:UNUSED_PAD src0_sel:DWORD src1_sel:BYTE_1
	v_cndmask_b32_e64 v117, v119, v117, s13
	v_and_b32_e32 v115, 7, v115
	v_lshl_add_u32 v117, v117, 23, 0x3b800000
	v_cndmask_b32_e64 v115, v116, v115, s13
	v_and_b32_e32 v116, 0x80000000, v118
	v_lshlrev_b32_e32 v115, 20, v115
	v_or3_b32 v115, v116, v117, v115
.LBB2_156:                              ;   in Loop: Header=BB2_130 Depth=2
	s_or_b32 exec_lo, exec_lo, s14
	v_cmp_gt_i16_sdwa s14, v10, v97 src0_sel:BYTE_1 src1_sel:DWORD
	s_mov_b32 s13, 0
	s_and_saveexec_b32 s28, s14
	s_xor_b32 s14, exec_lo, s28
	s_cbranch_execz .LBB2_454
; %bb.157:                              ;   in Loop: Header=BB2_130 Depth=2
	v_cmp_eq_u16_sdwa s29, v10, v98 src0_sel:BYTE_1 src1_sel:DWORD
	s_mov_b32 s13, -1
	s_and_saveexec_b32 s28, s29
; %bb.158:                              ;   in Loop: Header=BB2_130 Depth=2
	s_xor_b32 s13, exec_lo, -1
; %bb.159:                              ;   in Loop: Header=BB2_130 Depth=2
	s_or_b32 exec_lo, exec_lo, s28
	s_and_b32 s13, s13, exec_lo
	s_or_saveexec_b32 s14, s14
	v_mov_b32_e32 v116, 0x7f800001
	s_xor_b32 exec_lo, exec_lo, s14
	s_cbranch_execnz .LBB2_455
.LBB2_160:                              ;   in Loop: Header=BB2_130 Depth=2
	s_or_b32 exec_lo, exec_lo, s14
	s_and_saveexec_b32 s14, s13
	s_cbranch_execz .LBB2_162
.LBB2_161:                              ;   in Loop: Header=BB2_130 Depth=2
	v_and_b32_sdwa v116, v99, v10 dst_sel:DWORD dst_unused:UNUSED_PAD src0_sel:DWORD src1_sel:BYTE_1
	v_and_b32_e32 v117, 7, v116
	v_bfe_u32 v40, v116, 3, 4
	v_ffbh_u32_e32 v118, v117
	v_cmp_eq_u32_e64 s13, 0, v40
	v_min_u32_e32 v118, 32, v118
	v_subrev_nc_u32_e32 v119, 28, v118
	v_sub_nc_u32_e32 v118, 29, v118
	v_lshlrev_b32_e32 v116, v119, v116
	v_lshlrev_b32_sdwa v119, v100, v10 dst_sel:DWORD dst_unused:UNUSED_PAD src0_sel:DWORD src1_sel:BYTE_1
	v_cndmask_b32_e64 v118, v40, v118, s13
	v_and_b32_e32 v116, 7, v116
	v_lshl_add_u32 v118, v118, 23, 0x3b800000
	v_cndmask_b32_e64 v116, v117, v116, s13
	v_and_b32_e32 v117, 0x80000000, v119
	v_lshlrev_b32_e32 v116, 20, v116
	v_or3_b32 v116, v117, v118, v116
.LBB2_162:                              ;   in Loop: Header=BB2_130 Depth=2
	s_or_b32 exec_lo, exec_lo, s14
	v_add_f32_e32 v116, v115, v116
	v_and_b32_e32 v115, 0x7f800000, v116
	v_cmp_ne_u32_e64 s13, 0x7f800000, v115
	v_mov_b32_e32 v115, 0x8000
	s_and_saveexec_b32 s28, s13
	s_cbranch_execz .LBB2_170
; %bb.163:                              ;   in Loop: Header=BB2_130 Depth=2
	v_mov_b32_e32 v115, 0
	s_mov_b32 s29, exec_lo
	v_cmpx_ne_u32_e32 0, v116
	s_cbranch_execz .LBB2_169
; %bb.164:                              ;   in Loop: Header=BB2_130 Depth=2
	v_bfe_u32 v115, v116, 23, 8
	v_and_b32_e32 v117, 0x7fffff, v116
	v_sub_nc_u32_e32 v118, 0x78, v115
	v_cmp_gt_u32_e64 s13, 0x79, v115
	v_or_b32_e32 v119, 0x800000, v117
	v_cndmask_b32_e64 v118, 0, v118, s13
	v_cmp_eq_u32_e64 s13, 0, v115
	v_add_nc_u32_e32 v115, 0xffffff89, v115
	v_cndmask_b32_e64 v118, v118, 0x77, s13
	v_cndmask_b32_e64 v117, v119, v117, s13
	;; [unrolled: 1-line block ×3, first 2 shown]
	v_lshl_add_u32 v119, 0x100000, v118, -1
	v_lshrrev_b32_e32 v40, v118, v117
	v_lshlrev_b32_e64 v42, v118, 0x80000
	v_add_nc_u32_e32 v118, v118, v115
	v_and_b32_e32 v117, v119, v117
	v_bfe_u32 v41, v40, 20, 1
	v_cmp_eq_u32_e64 s14, v117, v42
	v_add_nc_u32_e32 v119, -1, v41
	v_cndmask_b32_e64 v117, 0, v119, s14
	v_lshrrev_b32_e32 v119, 23, v40
	s_mov_b32 s14, exec_lo
	v_add_nc_u32_e32 v117, v117, v40
	v_xor_b32_e32 v119, 1, v119
	v_and_b32_e32 v115, 0xfffff, v117
	v_add_nc_u32_e32 v117, v115, v40
                                        ; implicit-def: $vgpr115
	v_cmpx_ne_u32_e64 v118, v119
	s_xor_b32 s14, exec_lo, s14
; %bb.165:                              ;   in Loop: Header=BB2_130 Depth=2
	v_cmp_lt_u32_e64 s13, 0xffffff, v117
	v_sub_nc_u32_e32 v115, v118, v119
	v_cndmask_b32_e64 v118, 0, 1, s13
	v_add_co_ci_u32_e64 v115, null, 0, v115, s13
	v_lshrrev_b32_e32 v117, v118, v117
; %bb.166:                              ;   in Loop: Header=BB2_130 Depth=2
	s_andn2_saveexec_b32 s13, s14
; %bb.167:                              ;   in Loop: Header=BB2_130 Depth=2
	v_bfe_u32 v115, v117, 23, 1
; %bb.168:                              ;   in Loop: Header=BB2_130 Depth=2
	s_or_b32 exec_lo, exec_lo, s13
	v_lshrrev_b32_e32 v117, 20, v117
	v_min_i32_e32 v118, 15, v115
	v_cmp_gt_i32_e64 s13, 16, v115
	v_and_b32_sdwa v116, v116, v98 dst_sel:DWORD dst_unused:UNUSED_PAD src0_sel:BYTE_3 src1_sel:DWORD
	v_lshlrev_b32_e32 v118, 3, v118
	v_cndmask_b32_e64 v117, 7, v117, s13
	v_and_b32_e32 v118, 0xf8, v118
	v_and_b32_e32 v119, 7, v117
	v_or_b32_e32 v115, v115, v117
	v_or3_b32 v116, v116, v118, v119
	v_cmp_ne_u32_e64 s13, 0, v115
	v_lshlrev_b32_e32 v116, 8, v116
	v_cndmask_b32_e64 v115, 0, v116, s13
.LBB2_169:                              ;   in Loop: Header=BB2_130 Depth=2
	s_or_b32 exec_lo, exec_lo, s29
.LBB2_170:                              ;   in Loop: Header=BB2_130 Depth=2
	s_or_b32 exec_lo, exec_lo, s28
	v_and_b32_sdwa v117, v14, v101 dst_sel:DWORD dst_unused:UNUSED_PAD src0_sel:WORD_1 src1_sel:DWORD
	s_mov_b32 s14, 0
	s_mov_b32 s28, exec_lo
	v_cmpx_lt_i16_e32 0x7f, v117
	s_xor_b32 s28, exec_lo, s28
	s_cbranch_execz .LBB2_456
; %bb.171:                              ;   in Loop: Header=BB2_130 Depth=2
	s_mov_b32 s14, -1
	s_mov_b32 s29, exec_lo
	v_cmpx_eq_u16_e32 0x80, v117
; %bb.172:                              ;   in Loop: Header=BB2_130 Depth=2
	s_xor_b32 s14, exec_lo, -1
; %bb.173:                              ;   in Loop: Header=BB2_130 Depth=2
	s_or_b32 exec_lo, exec_lo, s29
	s_and_b32 s14, s14, exec_lo
                                        ; implicit-def: $vgpr117
	s_or_saveexec_b32 s28, s28
	v_mov_b32_e32 v116, 0x7f800001
	s_xor_b32 exec_lo, exec_lo, s28
	s_cbranch_execnz .LBB2_457
.LBB2_174:                              ;   in Loop: Header=BB2_130 Depth=2
	s_or_b32 exec_lo, exec_lo, s28
	s_and_saveexec_b32 s28, s14
	s_cbranch_execz .LBB2_176
.LBB2_175:                              ;   in Loop: Header=BB2_130 Depth=2
	v_bfe_u32 v116, v14, 16, 3
	v_bfe_u32 v119, v14, 19, 4
	v_lshlrev_b32_e32 v40, 8, v14
	v_ffbh_u32_e32 v117, v116
	v_cmp_eq_u32_e64 s13, 0, v119
	v_min_u32_e32 v117, 32, v117
	v_subrev_nc_u32_e32 v118, 28, v117
	v_sub_nc_u32_e32 v117, 29, v117
	v_lshlrev_b32_sdwa v118, v118, v14 dst_sel:DWORD dst_unused:UNUSED_PAD src0_sel:DWORD src1_sel:WORD_1
	v_cndmask_b32_e64 v117, v119, v117, s13
	v_and_b32_e32 v118, 7, v118
	v_lshl_add_u32 v117, v117, 23, 0x3b800000
	v_cndmask_b32_e64 v116, v116, v118, s13
	v_and_b32_e32 v118, 0x80000000, v40
	v_lshlrev_b32_e32 v116, 20, v116
	v_or3_b32 v116, v118, v117, v116
.LBB2_176:                              ;   in Loop: Header=BB2_130 Depth=2
	s_or_b32 exec_lo, exec_lo, s28
	v_and_b32_sdwa v118, v10, v101 dst_sel:DWORD dst_unused:UNUSED_PAD src0_sel:WORD_1 src1_sel:DWORD
	s_mov_b32 s14, 0
	s_mov_b32 s28, exec_lo
	v_cmpx_lt_i16_e32 0x7f, v118
	s_xor_b32 s28, exec_lo, s28
	s_cbranch_execz .LBB2_458
; %bb.177:                              ;   in Loop: Header=BB2_130 Depth=2
	s_mov_b32 s14, -1
	s_mov_b32 s29, exec_lo
	v_cmpx_eq_u16_e32 0x80, v118
; %bb.178:                              ;   in Loop: Header=BB2_130 Depth=2
	s_xor_b32 s14, exec_lo, -1
; %bb.179:                              ;   in Loop: Header=BB2_130 Depth=2
	s_or_b32 exec_lo, exec_lo, s29
	s_and_b32 s14, s14, exec_lo
                                        ; implicit-def: $vgpr118
	s_or_saveexec_b32 s28, s28
	v_mov_b32_e32 v117, 0x7f800001
	s_xor_b32 exec_lo, exec_lo, s28
	s_cbranch_execnz .LBB2_459
.LBB2_180:                              ;   in Loop: Header=BB2_130 Depth=2
	s_or_b32 exec_lo, exec_lo, s28
	s_and_saveexec_b32 s28, s14
	s_cbranch_execz .LBB2_182
.LBB2_181:                              ;   in Loop: Header=BB2_130 Depth=2
	v_and_b32_sdwa v117, v10, v102 dst_sel:DWORD dst_unused:UNUSED_PAD src0_sel:WORD_1 src1_sel:DWORD
	v_bfe_u32 v40, v10, 19, 4
	v_lshlrev_b32_sdwa v41, v100, v10 dst_sel:DWORD dst_unused:UNUSED_PAD src0_sel:DWORD src1_sel:WORD_1
	v_ffbh_u32_e32 v118, v117
	v_cmp_eq_u32_e64 s13, 0, v40
	v_min_u32_e32 v118, 32, v118
	v_subrev_nc_u32_e32 v119, 28, v118
	v_sub_nc_u32_e32 v118, 29, v118
	v_lshlrev_b32_sdwa v119, v119, v10 dst_sel:DWORD dst_unused:UNUSED_PAD src0_sel:DWORD src1_sel:WORD_1
	v_cndmask_b32_e64 v118, v40, v118, s13
	v_and_b32_e32 v119, 7, v119
	v_lshl_add_u32 v118, v118, 23, 0x3b800000
	v_cndmask_b32_e64 v117, v117, v119, s13
	v_and_b32_e32 v119, 0x80000000, v41
	v_lshlrev_b32_e32 v117, 20, v117
	v_or3_b32 v117, v119, v118, v117
.LBB2_182:                              ;   in Loop: Header=BB2_130 Depth=2
	s_or_b32 exec_lo, exec_lo, s28
	v_add_f32_e32 v117, v116, v117
	v_and_b32_e32 v116, 0x7f800000, v117
	v_cmp_ne_u32_e64 s13, 0x7f800000, v116
	v_mov_b32_e32 v116, 0x80
	s_and_saveexec_b32 s28, s13
	s_cbranch_execz .LBB2_190
; %bb.183:                              ;   in Loop: Header=BB2_130 Depth=2
	v_mov_b32_e32 v116, 0
	s_mov_b32 s29, exec_lo
	v_cmpx_ne_u32_e32 0, v117
	s_cbranch_execz .LBB2_189
; %bb.184:                              ;   in Loop: Header=BB2_130 Depth=2
	v_bfe_u32 v116, v117, 23, 8
	v_and_b32_e32 v118, 0x7fffff, v117
	v_sub_nc_u32_e32 v119, 0x78, v116
	v_cmp_gt_u32_e64 s13, 0x79, v116
	v_or_b32_e32 v40, 0x800000, v118
	v_cndmask_b32_e64 v119, 0, v119, s13
	v_cmp_eq_u32_e64 s13, 0, v116
	v_add_nc_u32_e32 v116, 0xffffff89, v116
	v_cndmask_b32_e64 v119, v119, 0x77, s13
	v_cndmask_b32_e64 v118, v40, v118, s13
	;; [unrolled: 1-line block ×3, first 2 shown]
	v_lshl_add_u32 v40, 0x100000, v119, -1
	v_lshrrev_b32_e32 v41, v119, v118
	v_lshlrev_b32_e64 v43, v119, 0x80000
	v_add_nc_u32_e32 v119, v119, v116
	v_and_b32_e32 v118, v40, v118
	v_bfe_u32 v42, v41, 20, 1
	v_cmp_eq_u32_e64 s14, v118, v43
	v_add_nc_u32_e32 v40, -1, v42
	v_cndmask_b32_e64 v118, 0, v40, s14
	v_lshrrev_b32_e32 v40, 23, v41
	s_mov_b32 s14, exec_lo
	v_add_nc_u32_e32 v118, v118, v41
	v_xor_b32_e32 v40, 1, v40
	v_and_b32_e32 v116, 0xfffff, v118
	v_add_nc_u32_e32 v118, v116, v41
                                        ; implicit-def: $vgpr116
	v_cmpx_ne_u32_e64 v119, v40
	s_xor_b32 s14, exec_lo, s14
; %bb.185:                              ;   in Loop: Header=BB2_130 Depth=2
	v_cmp_lt_u32_e64 s13, 0xffffff, v118
	v_sub_nc_u32_e32 v116, v119, v40
	v_cndmask_b32_e64 v119, 0, 1, s13
	v_add_co_ci_u32_e64 v116, null, 0, v116, s13
	v_lshrrev_b32_e32 v118, v119, v118
; %bb.186:                              ;   in Loop: Header=BB2_130 Depth=2
	s_andn2_saveexec_b32 s13, s14
; %bb.187:                              ;   in Loop: Header=BB2_130 Depth=2
	v_bfe_u32 v116, v118, 23, 1
; %bb.188:                              ;   in Loop: Header=BB2_130 Depth=2
	s_or_b32 exec_lo, exec_lo, s13
	v_lshrrev_b32_e32 v118, 20, v118
	v_min_i32_e32 v119, 15, v116
	v_cmp_gt_i32_e64 s13, 16, v116
	v_and_b32_sdwa v117, v117, v98 dst_sel:DWORD dst_unused:UNUSED_PAD src0_sel:BYTE_3 src1_sel:DWORD
	v_lshlrev_b32_e32 v119, 3, v119
	v_cndmask_b32_e64 v118, 7, v118, s13
	v_and_b32_e32 v119, 0xf8, v119
	v_and_b32_e32 v40, 7, v118
	v_or_b32_e32 v116, v116, v118
	v_or3_b32 v117, v119, v117, v40
	v_cmp_ne_u32_e64 s13, 0, v116
	v_cndmask_b32_e64 v116, 0, v117, s13
.LBB2_189:                              ;   in Loop: Header=BB2_130 Depth=2
	s_or_b32 exec_lo, exec_lo, s29
.LBB2_190:                              ;   in Loop: Header=BB2_130 Depth=2
	s_or_b32 exec_lo, exec_lo, s28
	v_cmp_gt_i16_sdwa s14, v14, v97 src0_sel:BYTE_3 src1_sel:DWORD
	s_mov_b32 s13, 0
	s_and_saveexec_b32 s28, s14
	s_xor_b32 s14, exec_lo, s28
	s_cbranch_execz .LBB2_460
; %bb.191:                              ;   in Loop: Header=BB2_130 Depth=2
	v_cmp_eq_u16_sdwa s29, v14, v98 src0_sel:BYTE_3 src1_sel:DWORD
	s_mov_b32 s13, -1
	s_and_saveexec_b32 s28, s29
; %bb.192:                              ;   in Loop: Header=BB2_130 Depth=2
	s_xor_b32 s13, exec_lo, -1
; %bb.193:                              ;   in Loop: Header=BB2_130 Depth=2
	s_or_b32 exec_lo, exec_lo, s28
	s_and_b32 s13, s13, exec_lo
	s_or_saveexec_b32 s14, s14
	v_mov_b32_e32 v117, 0x7f800001
	s_xor_b32 exec_lo, exec_lo, s14
	s_cbranch_execnz .LBB2_461
.LBB2_194:                              ;   in Loop: Header=BB2_130 Depth=2
	s_or_b32 exec_lo, exec_lo, s14
	s_and_saveexec_b32 s14, s13
	s_cbranch_execz .LBB2_196
.LBB2_195:                              ;   in Loop: Header=BB2_130 Depth=2
	v_bfe_u32 v117, v14, 24, 3
	v_bfe_u32 v40, v14, 27, 4
	v_ffbh_u32_e32 v118, v117
	v_cmp_eq_u32_e64 s13, 0, v40
	v_min_u32_e32 v118, 32, v118
	v_subrev_nc_u32_e32 v119, 28, v118
	v_sub_nc_u32_e32 v118, 29, v118
	v_lshlrev_b32_sdwa v119, v119, v14 dst_sel:DWORD dst_unused:UNUSED_PAD src0_sel:DWORD src1_sel:BYTE_3
	v_cndmask_b32_e64 v118, v40, v118, s13
	v_and_b32_e32 v14, 0x80000000, v14
	v_and_b32_e32 v119, 7, v119
	v_lshl_add_u32 v118, v118, 23, 0x3b800000
	v_cndmask_b32_e64 v117, v117, v119, s13
	v_lshlrev_b32_e32 v117, 20, v117
	v_or3_b32 v117, v14, v118, v117
.LBB2_196:                              ;   in Loop: Header=BB2_130 Depth=2
	s_or_b32 exec_lo, exec_lo, s14
	v_cmp_gt_i16_sdwa s14, v10, v97 src0_sel:BYTE_3 src1_sel:DWORD
	s_mov_b32 s13, 0
	s_and_saveexec_b32 s28, s14
	s_xor_b32 s14, exec_lo, s28
	s_cbranch_execz .LBB2_462
; %bb.197:                              ;   in Loop: Header=BB2_130 Depth=2
	v_cmp_eq_u16_sdwa s29, v10, v98 src0_sel:BYTE_3 src1_sel:DWORD
	s_mov_b32 s13, -1
	s_and_saveexec_b32 s28, s29
; %bb.198:                              ;   in Loop: Header=BB2_130 Depth=2
	s_xor_b32 s13, exec_lo, -1
; %bb.199:                              ;   in Loop: Header=BB2_130 Depth=2
	s_or_b32 exec_lo, exec_lo, s28
	s_and_b32 s13, s13, exec_lo
	s_or_saveexec_b32 s14, s14
	v_mov_b32_e32 v14, 0x7f800001
	s_xor_b32 exec_lo, exec_lo, s14
	s_cbranch_execnz .LBB2_463
.LBB2_200:                              ;   in Loop: Header=BB2_130 Depth=2
	s_or_b32 exec_lo, exec_lo, s14
	s_and_saveexec_b32 s14, s13
	s_cbranch_execz .LBB2_202
.LBB2_201:                              ;   in Loop: Header=BB2_130 Depth=2
	v_and_b32_sdwa v14, v10, v102 dst_sel:DWORD dst_unused:UNUSED_PAD src0_sel:BYTE_3 src1_sel:DWORD
	v_bfe_u32 v40, v10, 27, 4
	v_ffbh_u32_e32 v118, v14
	v_cmp_eq_u32_e64 s13, 0, v40
	v_min_u32_e32 v118, 32, v118
	v_subrev_nc_u32_e32 v119, 28, v118
	v_sub_nc_u32_e32 v118, 29, v118
	v_lshlrev_b32_sdwa v119, v119, v10 dst_sel:DWORD dst_unused:UNUSED_PAD src0_sel:DWORD src1_sel:BYTE_3
	v_cndmask_b32_e64 v118, v40, v118, s13
	v_and_b32_e32 v10, 0x80000000, v10
	v_and_b32_e32 v119, 7, v119
	v_lshl_add_u32 v118, v118, 23, 0x3b800000
	v_cndmask_b32_e64 v14, v14, v119, s13
	v_lshlrev_b32_e32 v14, 20, v14
	v_or3_b32 v14, v10, v118, v14
.LBB2_202:                              ;   in Loop: Header=BB2_130 Depth=2
	s_or_b32 exec_lo, exec_lo, s14
	v_add_f32_e32 v14, v117, v14
	v_and_b32_e32 v10, 0x7f800000, v14
	v_cmp_ne_u32_e64 s13, 0x7f800000, v10
	v_mov_b32_e32 v10, 0x8000
	s_and_saveexec_b32 s28, s13
	s_cbranch_execz .LBB2_210
; %bb.203:                              ;   in Loop: Header=BB2_130 Depth=2
	v_mov_b32_e32 v10, 0
	s_mov_b32 s29, exec_lo
	v_cmpx_ne_u32_e32 0, v14
	s_cbranch_execz .LBB2_209
; %bb.204:                              ;   in Loop: Header=BB2_130 Depth=2
	v_bfe_u32 v10, v14, 23, 8
	v_and_b32_e32 v117, 0x7fffff, v14
	v_sub_nc_u32_e32 v118, 0x78, v10
	v_cmp_gt_u32_e64 s13, 0x79, v10
	v_or_b32_e32 v119, 0x800000, v117
	v_cndmask_b32_e64 v118, 0, v118, s13
	v_cmp_eq_u32_e64 s13, 0, v10
	v_add_nc_u32_e32 v10, 0xffffff89, v10
	v_cndmask_b32_e64 v118, v118, 0x77, s13
	v_cndmask_b32_e64 v117, v119, v117, s13
	;; [unrolled: 1-line block ×3, first 2 shown]
	v_lshl_add_u32 v119, 0x100000, v118, -1
	v_lshrrev_b32_e32 v40, v118, v117
	v_lshlrev_b32_e64 v42, v118, 0x80000
	v_add_nc_u32_e32 v118, v118, v10
	v_and_b32_e32 v117, v119, v117
	v_bfe_u32 v41, v40, 20, 1
	v_cmp_eq_u32_e64 s14, v117, v42
	v_add_nc_u32_e32 v119, -1, v41
	v_cndmask_b32_e64 v117, 0, v119, s14
	v_lshrrev_b32_e32 v119, 23, v40
	s_mov_b32 s14, exec_lo
	v_add_nc_u32_e32 v117, v117, v40
	v_xor_b32_e32 v119, 1, v119
	v_and_b32_e32 v10, 0xfffff, v117
	v_add_nc_u32_e32 v117, v10, v40
                                        ; implicit-def: $vgpr10
	v_cmpx_ne_u32_e64 v118, v119
	s_xor_b32 s14, exec_lo, s14
; %bb.205:                              ;   in Loop: Header=BB2_130 Depth=2
	v_cmp_lt_u32_e64 s13, 0xffffff, v117
	v_sub_nc_u32_e32 v10, v118, v119
	v_cndmask_b32_e64 v118, 0, 1, s13
	v_add_co_ci_u32_e64 v10, null, 0, v10, s13
	v_lshrrev_b32_e32 v117, v118, v117
; %bb.206:                              ;   in Loop: Header=BB2_130 Depth=2
	s_andn2_saveexec_b32 s13, s14
; %bb.207:                              ;   in Loop: Header=BB2_130 Depth=2
	v_bfe_u32 v10, v117, 23, 1
; %bb.208:                              ;   in Loop: Header=BB2_130 Depth=2
	s_or_b32 exec_lo, exec_lo, s13
	v_lshrrev_b32_e32 v117, 20, v117
	v_min_i32_e32 v118, 15, v10
	v_cmp_gt_i32_e64 s13, 16, v10
	v_and_b32_sdwa v14, v14, v98 dst_sel:DWORD dst_unused:UNUSED_PAD src0_sel:BYTE_3 src1_sel:DWORD
	v_lshlrev_b32_e32 v118, 3, v118
	v_cndmask_b32_e64 v117, 7, v117, s13
	v_and_b32_e32 v118, 0xf8, v118
	v_and_b32_e32 v119, 7, v117
	v_or_b32_e32 v10, v10, v117
	v_or3_b32 v14, v14, v118, v119
	v_cmp_ne_u32_e64 s13, 0, v10
	v_lshlrev_b32_e32 v14, 8, v14
	v_cndmask_b32_e64 v10, 0, v14, s13
.LBB2_209:                              ;   in Loop: Header=BB2_130 Depth=2
	s_or_b32 exec_lo, exec_lo, s29
.LBB2_210:                              ;   in Loop: Header=BB2_130 Depth=2
	s_or_b32 exec_lo, exec_lo, s28
	v_cmp_gt_i16_sdwa s14, v15, v97 src0_sel:BYTE_0 src1_sel:DWORD
	s_mov_b32 s13, 0
	s_and_saveexec_b32 s28, s14
	s_xor_b32 s14, exec_lo, s28
	s_cbranch_execz .LBB2_464
; %bb.211:                              ;   in Loop: Header=BB2_130 Depth=2
	v_cmp_eq_u16_sdwa s29, v15, v98 src0_sel:BYTE_0 src1_sel:DWORD
	s_mov_b32 s13, -1
	s_and_saveexec_b32 s28, s29
; %bb.212:                              ;   in Loop: Header=BB2_130 Depth=2
	s_xor_b32 s13, exec_lo, -1
; %bb.213:                              ;   in Loop: Header=BB2_130 Depth=2
	s_or_b32 exec_lo, exec_lo, s28
	s_and_b32 s13, s13, exec_lo
	s_or_saveexec_b32 s14, s14
	v_mov_b32_e32 v14, 0x7f800001
	s_xor_b32 exec_lo, exec_lo, s14
	s_cbranch_execnz .LBB2_465
.LBB2_214:                              ;   in Loop: Header=BB2_130 Depth=2
	s_or_b32 exec_lo, exec_lo, s14
	s_and_saveexec_b32 s14, s13
	s_cbranch_execz .LBB2_216
.LBB2_215:                              ;   in Loop: Header=BB2_130 Depth=2
	v_and_b32_e32 v14, 7, v15
	v_bfe_u32 v119, v15, 3, 4
	v_lshlrev_b32_e32 v40, 24, v15
	v_ffbh_u32_e32 v117, v14
	v_cmp_eq_u32_e64 s13, 0, v119
	v_min_u32_e32 v117, 32, v117
	v_subrev_nc_u32_e32 v118, 28, v117
	v_sub_nc_u32_e32 v117, 29, v117
	v_lshlrev_b32_e32 v118, v118, v15
	v_cndmask_b32_e64 v117, v119, v117, s13
	v_and_b32_e32 v118, 7, v118
	v_lshl_add_u32 v117, v117, 23, 0x3b800000
	v_cndmask_b32_e64 v14, v14, v118, s13
	v_and_b32_e32 v118, 0x80000000, v40
	v_lshlrev_b32_e32 v14, 20, v14
	v_or3_b32 v14, v118, v117, v14
.LBB2_216:                              ;   in Loop: Header=BB2_130 Depth=2
	s_or_b32 exec_lo, exec_lo, s14
	v_cmp_gt_i16_sdwa s14, v11, v97 src0_sel:BYTE_0 src1_sel:DWORD
	s_mov_b32 s13, 0
	s_and_saveexec_b32 s28, s14
	s_xor_b32 s14, exec_lo, s28
	s_cbranch_execz .LBB2_466
; %bb.217:                              ;   in Loop: Header=BB2_130 Depth=2
	v_cmp_eq_u16_sdwa s29, v11, v98 src0_sel:BYTE_0 src1_sel:DWORD
	s_mov_b32 s13, -1
	s_and_saveexec_b32 s28, s29
; %bb.218:                              ;   in Loop: Header=BB2_130 Depth=2
	s_xor_b32 s13, exec_lo, -1
; %bb.219:                              ;   in Loop: Header=BB2_130 Depth=2
	s_or_b32 exec_lo, exec_lo, s28
	s_and_b32 s13, s13, exec_lo
	s_or_saveexec_b32 s14, s14
	v_mov_b32_e32 v117, 0x7f800001
	s_xor_b32 exec_lo, exec_lo, s14
	s_cbranch_execnz .LBB2_467
.LBB2_220:                              ;   in Loop: Header=BB2_130 Depth=2
	s_or_b32 exec_lo, exec_lo, s14
	s_and_saveexec_b32 s14, s13
	s_cbranch_execz .LBB2_222
.LBB2_221:                              ;   in Loop: Header=BB2_130 Depth=2
	v_and_b32_e32 v117, 7, v11
	v_bfe_u32 v40, v11, 3, 4
	v_lshlrev_b32_e32 v41, 24, v11
	v_ffbh_u32_e32 v118, v117
	v_cmp_eq_u32_e64 s13, 0, v40
	v_min_u32_e32 v118, 32, v118
	v_subrev_nc_u32_e32 v119, 28, v118
	v_sub_nc_u32_e32 v118, 29, v118
	v_lshlrev_b32_e32 v119, v119, v11
	v_cndmask_b32_e64 v118, v40, v118, s13
	v_and_b32_e32 v119, 7, v119
	v_lshl_add_u32 v118, v118, 23, 0x3b800000
	v_cndmask_b32_e64 v117, v117, v119, s13
	v_and_b32_e32 v119, 0x80000000, v41
	v_lshlrev_b32_e32 v117, 20, v117
	v_or3_b32 v117, v119, v118, v117
.LBB2_222:                              ;   in Loop: Header=BB2_130 Depth=2
	s_or_b32 exec_lo, exec_lo, s14
	v_add_f32_e32 v117, v14, v117
	v_and_b32_e32 v14, 0x7f800000, v117
	v_cmp_ne_u32_e64 s13, 0x7f800000, v14
	v_mov_b32_e32 v14, 0x80
	s_and_saveexec_b32 s28, s13
	s_cbranch_execz .LBB2_230
; %bb.223:                              ;   in Loop: Header=BB2_130 Depth=2
	v_mov_b32_e32 v14, 0
	s_mov_b32 s29, exec_lo
	v_cmpx_ne_u32_e32 0, v117
	s_cbranch_execz .LBB2_229
; %bb.224:                              ;   in Loop: Header=BB2_130 Depth=2
	v_bfe_u32 v14, v117, 23, 8
	v_and_b32_e32 v118, 0x7fffff, v117
	v_sub_nc_u32_e32 v119, 0x78, v14
	v_cmp_gt_u32_e64 s13, 0x79, v14
	v_or_b32_e32 v40, 0x800000, v118
	v_cndmask_b32_e64 v119, 0, v119, s13
	v_cmp_eq_u32_e64 s13, 0, v14
	v_add_nc_u32_e32 v14, 0xffffff89, v14
	v_cndmask_b32_e64 v119, v119, 0x77, s13
	v_cndmask_b32_e64 v118, v40, v118, s13
	;; [unrolled: 1-line block ×3, first 2 shown]
	v_lshl_add_u32 v40, 0x100000, v119, -1
	v_lshrrev_b32_e32 v41, v119, v118
	v_lshlrev_b32_e64 v43, v119, 0x80000
	v_add_nc_u32_e32 v119, v119, v14
	v_and_b32_e32 v118, v40, v118
	v_bfe_u32 v42, v41, 20, 1
	v_cmp_eq_u32_e64 s14, v118, v43
	v_add_nc_u32_e32 v40, -1, v42
	v_cndmask_b32_e64 v118, 0, v40, s14
	v_lshrrev_b32_e32 v40, 23, v41
	s_mov_b32 s14, exec_lo
	v_add_nc_u32_e32 v118, v118, v41
	v_xor_b32_e32 v40, 1, v40
	v_and_b32_e32 v14, 0xfffff, v118
	v_add_nc_u32_e32 v118, v14, v41
                                        ; implicit-def: $vgpr14
	v_cmpx_ne_u32_e64 v119, v40
	s_xor_b32 s14, exec_lo, s14
; %bb.225:                              ;   in Loop: Header=BB2_130 Depth=2
	v_cmp_lt_u32_e64 s13, 0xffffff, v118
	v_sub_nc_u32_e32 v14, v119, v40
	v_cndmask_b32_e64 v119, 0, 1, s13
	v_add_co_ci_u32_e64 v14, null, 0, v14, s13
	v_lshrrev_b32_e32 v118, v119, v118
; %bb.226:                              ;   in Loop: Header=BB2_130 Depth=2
	s_andn2_saveexec_b32 s13, s14
; %bb.227:                              ;   in Loop: Header=BB2_130 Depth=2
	v_bfe_u32 v14, v118, 23, 1
; %bb.228:                              ;   in Loop: Header=BB2_130 Depth=2
	s_or_b32 exec_lo, exec_lo, s13
	v_lshrrev_b32_e32 v118, 20, v118
	v_min_i32_e32 v119, 15, v14
	v_cmp_gt_i32_e64 s13, 16, v14
	v_and_b32_sdwa v117, v117, v98 dst_sel:DWORD dst_unused:UNUSED_PAD src0_sel:BYTE_3 src1_sel:DWORD
	v_lshlrev_b32_e32 v119, 3, v119
	v_cndmask_b32_e64 v118, 7, v118, s13
	v_and_b32_e32 v119, 0xf8, v119
	v_and_b32_e32 v40, 7, v118
	v_or_b32_e32 v14, v14, v118
	v_or3_b32 v117, v119, v117, v40
	v_cmp_ne_u32_e64 s13, 0, v14
	v_cndmask_b32_e64 v14, 0, v117, s13
.LBB2_229:                              ;   in Loop: Header=BB2_130 Depth=2
	s_or_b32 exec_lo, exec_lo, s29
.LBB2_230:                              ;   in Loop: Header=BB2_130 Depth=2
	s_or_b32 exec_lo, exec_lo, s28
	v_cmp_gt_i16_sdwa s14, v15, v97 src0_sel:BYTE_1 src1_sel:DWORD
	s_mov_b32 s13, 0
	s_and_saveexec_b32 s28, s14
	s_xor_b32 s14, exec_lo, s28
	s_cbranch_execz .LBB2_468
; %bb.231:                              ;   in Loop: Header=BB2_130 Depth=2
	v_cmp_eq_u16_sdwa s29, v15, v98 src0_sel:BYTE_1 src1_sel:DWORD
	s_mov_b32 s13, -1
	s_and_saveexec_b32 s28, s29
; %bb.232:                              ;   in Loop: Header=BB2_130 Depth=2
	s_xor_b32 s13, exec_lo, -1
; %bb.233:                              ;   in Loop: Header=BB2_130 Depth=2
	s_or_b32 exec_lo, exec_lo, s28
	s_and_b32 s13, s13, exec_lo
	s_or_saveexec_b32 s14, s14
	v_mov_b32_e32 v117, 0x7f800001
	s_xor_b32 exec_lo, exec_lo, s14
	s_cbranch_execnz .LBB2_469
.LBB2_234:                              ;   in Loop: Header=BB2_130 Depth=2
	s_or_b32 exec_lo, exec_lo, s14
	s_and_saveexec_b32 s14, s13
	s_cbranch_execz .LBB2_236
.LBB2_235:                              ;   in Loop: Header=BB2_130 Depth=2
	v_and_b32_sdwa v117, v99, v15 dst_sel:DWORD dst_unused:UNUSED_PAD src0_sel:DWORD src1_sel:BYTE_1
	v_and_b32_e32 v118, 7, v117
	v_bfe_u32 v41, v117, 3, 4
	v_ffbh_u32_e32 v119, v118
	v_cmp_eq_u32_e64 s13, 0, v41
	v_min_u32_e32 v119, 32, v119
	v_subrev_nc_u32_e32 v40, 28, v119
	v_sub_nc_u32_e32 v119, 29, v119
	v_lshlrev_b32_e32 v117, v40, v117
	v_lshlrev_b32_sdwa v40, v100, v15 dst_sel:DWORD dst_unused:UNUSED_PAD src0_sel:DWORD src1_sel:BYTE_1
	v_cndmask_b32_e64 v119, v41, v119, s13
	v_and_b32_e32 v117, 7, v117
	v_lshl_add_u32 v119, v119, 23, 0x3b800000
	v_cndmask_b32_e64 v117, v118, v117, s13
	v_and_b32_e32 v118, 0x80000000, v40
	v_lshlrev_b32_e32 v117, 20, v117
	v_or3_b32 v117, v118, v119, v117
.LBB2_236:                              ;   in Loop: Header=BB2_130 Depth=2
	s_or_b32 exec_lo, exec_lo, s14
	v_cmp_gt_i16_sdwa s14, v11, v97 src0_sel:BYTE_1 src1_sel:DWORD
	s_mov_b32 s13, 0
	s_and_saveexec_b32 s28, s14
	s_xor_b32 s14, exec_lo, s28
	s_cbranch_execz .LBB2_470
; %bb.237:                              ;   in Loop: Header=BB2_130 Depth=2
	v_cmp_eq_u16_sdwa s29, v11, v98 src0_sel:BYTE_1 src1_sel:DWORD
	s_mov_b32 s13, -1
	s_and_saveexec_b32 s28, s29
; %bb.238:                              ;   in Loop: Header=BB2_130 Depth=2
	s_xor_b32 s13, exec_lo, -1
; %bb.239:                              ;   in Loop: Header=BB2_130 Depth=2
	s_or_b32 exec_lo, exec_lo, s28
	s_and_b32 s13, s13, exec_lo
	s_or_saveexec_b32 s14, s14
	v_mov_b32_e32 v118, 0x7f800001
	s_xor_b32 exec_lo, exec_lo, s14
	s_cbranch_execnz .LBB2_471
.LBB2_240:                              ;   in Loop: Header=BB2_130 Depth=2
	s_or_b32 exec_lo, exec_lo, s14
	s_and_saveexec_b32 s14, s13
	s_cbranch_execz .LBB2_242
.LBB2_241:                              ;   in Loop: Header=BB2_130 Depth=2
	v_and_b32_sdwa v118, v99, v11 dst_sel:DWORD dst_unused:UNUSED_PAD src0_sel:DWORD src1_sel:BYTE_1
	v_and_b32_e32 v119, 7, v118
	v_bfe_u32 v42, v118, 3, 4
	v_ffbh_u32_e32 v40, v119
	v_cmp_eq_u32_e64 s13, 0, v42
	v_min_u32_e32 v40, 32, v40
	v_subrev_nc_u32_e32 v41, 28, v40
	v_sub_nc_u32_e32 v40, 29, v40
	v_lshlrev_b32_e32 v118, v41, v118
	v_lshlrev_b32_sdwa v41, v100, v11 dst_sel:DWORD dst_unused:UNUSED_PAD src0_sel:DWORD src1_sel:BYTE_1
	v_cndmask_b32_e64 v40, v42, v40, s13
	v_and_b32_e32 v118, 7, v118
	v_lshl_add_u32 v40, v40, 23, 0x3b800000
	v_cndmask_b32_e64 v118, v119, v118, s13
	v_and_b32_e32 v119, 0x80000000, v41
	v_lshlrev_b32_e32 v118, 20, v118
	v_or3_b32 v118, v119, v40, v118
.LBB2_242:                              ;   in Loop: Header=BB2_130 Depth=2
	s_or_b32 exec_lo, exec_lo, s14
	v_add_f32_e32 v118, v117, v118
	v_and_b32_e32 v117, 0x7f800000, v118
	v_cmp_ne_u32_e64 s13, 0x7f800000, v117
	v_mov_b32_e32 v117, 0x8000
	s_and_saveexec_b32 s28, s13
	s_cbranch_execz .LBB2_250
; %bb.243:                              ;   in Loop: Header=BB2_130 Depth=2
	v_mov_b32_e32 v117, 0
	s_mov_b32 s29, exec_lo
	v_cmpx_ne_u32_e32 0, v118
	s_cbranch_execz .LBB2_249
; %bb.244:                              ;   in Loop: Header=BB2_130 Depth=2
	v_bfe_u32 v117, v118, 23, 8
	v_and_b32_e32 v119, 0x7fffff, v118
	v_sub_nc_u32_e32 v40, 0x78, v117
	v_cmp_gt_u32_e64 s13, 0x79, v117
	v_or_b32_e32 v41, 0x800000, v119
	v_cndmask_b32_e64 v40, 0, v40, s13
	v_cmp_eq_u32_e64 s13, 0, v117
	v_add_nc_u32_e32 v117, 0xffffff89, v117
	v_cndmask_b32_e64 v40, v40, 0x77, s13
	v_cndmask_b32_e64 v119, v41, v119, s13
	;; [unrolled: 1-line block ×3, first 2 shown]
	v_lshl_add_u32 v41, 0x100000, v40, -1
	v_lshrrev_b32_e32 v42, v40, v119
	v_lshlrev_b32_e64 v44, v40, 0x80000
	v_add_nc_u32_e32 v40, v40, v117
	v_and_b32_e32 v119, v41, v119
	v_bfe_u32 v43, v42, 20, 1
	v_cmp_eq_u32_e64 s14, v119, v44
	v_add_nc_u32_e32 v41, -1, v43
	v_cndmask_b32_e64 v119, 0, v41, s14
	v_lshrrev_b32_e32 v41, 23, v42
	s_mov_b32 s14, exec_lo
	v_add_nc_u32_e32 v119, v119, v42
	v_xor_b32_e32 v41, 1, v41
	v_and_b32_e32 v117, 0xfffff, v119
	v_add_nc_u32_e32 v119, v117, v42
                                        ; implicit-def: $vgpr117
	v_cmpx_ne_u32_e64 v40, v41
	s_xor_b32 s14, exec_lo, s14
; %bb.245:                              ;   in Loop: Header=BB2_130 Depth=2
	v_cmp_lt_u32_e64 s13, 0xffffff, v119
	v_sub_nc_u32_e32 v117, v40, v41
	v_cndmask_b32_e64 v40, 0, 1, s13
	v_add_co_ci_u32_e64 v117, null, 0, v117, s13
	v_lshrrev_b32_e32 v119, v40, v119
; %bb.246:                              ;   in Loop: Header=BB2_130 Depth=2
	s_andn2_saveexec_b32 s13, s14
; %bb.247:                              ;   in Loop: Header=BB2_130 Depth=2
	v_bfe_u32 v117, v119, 23, 1
; %bb.248:                              ;   in Loop: Header=BB2_130 Depth=2
	s_or_b32 exec_lo, exec_lo, s13
	v_lshrrev_b32_e32 v119, 20, v119
	v_min_i32_e32 v40, 15, v117
	v_cmp_gt_i32_e64 s13, 16, v117
	v_and_b32_sdwa v118, v118, v98 dst_sel:DWORD dst_unused:UNUSED_PAD src0_sel:BYTE_3 src1_sel:DWORD
	v_lshlrev_b32_e32 v40, 3, v40
	v_cndmask_b32_e64 v119, 7, v119, s13
	v_and_b32_e32 v40, 0xf8, v40
	v_and_b32_e32 v41, 7, v119
	v_or_b32_e32 v117, v117, v119
	v_or3_b32 v118, v118, v40, v41
	v_cmp_ne_u32_e64 s13, 0, v117
	v_lshlrev_b32_e32 v118, 8, v118
	v_cndmask_b32_e64 v117, 0, v118, s13
.LBB2_249:                              ;   in Loop: Header=BB2_130 Depth=2
	s_or_b32 exec_lo, exec_lo, s29
.LBB2_250:                              ;   in Loop: Header=BB2_130 Depth=2
	s_or_b32 exec_lo, exec_lo, s28
	v_and_b32_sdwa v119, v15, v101 dst_sel:DWORD dst_unused:UNUSED_PAD src0_sel:WORD_1 src1_sel:DWORD
	s_mov_b32 s14, 0
	s_mov_b32 s28, exec_lo
	v_cmpx_lt_i16_e32 0x7f, v119
	s_xor_b32 s28, exec_lo, s28
	s_cbranch_execz .LBB2_472
; %bb.251:                              ;   in Loop: Header=BB2_130 Depth=2
	s_mov_b32 s14, -1
	s_mov_b32 s29, exec_lo
	v_cmpx_eq_u16_e32 0x80, v119
; %bb.252:                              ;   in Loop: Header=BB2_130 Depth=2
	s_xor_b32 s14, exec_lo, -1
; %bb.253:                              ;   in Loop: Header=BB2_130 Depth=2
	s_or_b32 exec_lo, exec_lo, s29
	s_and_b32 s14, s14, exec_lo
                                        ; implicit-def: $vgpr119
	s_or_saveexec_b32 s28, s28
	v_mov_b32_e32 v118, 0x7f800001
	s_xor_b32 exec_lo, exec_lo, s28
	s_cbranch_execnz .LBB2_473
.LBB2_254:                              ;   in Loop: Header=BB2_130 Depth=2
	s_or_b32 exec_lo, exec_lo, s28
	s_and_saveexec_b32 s28, s14
	s_cbranch_execz .LBB2_256
.LBB2_255:                              ;   in Loop: Header=BB2_130 Depth=2
	v_bfe_u32 v118, v15, 16, 3
	v_bfe_u32 v41, v15, 19, 4
	v_lshlrev_b32_e32 v42, 8, v15
	v_ffbh_u32_e32 v119, v118
	v_cmp_eq_u32_e64 s13, 0, v41
	v_min_u32_e32 v119, 32, v119
	v_subrev_nc_u32_e32 v40, 28, v119
	v_sub_nc_u32_e32 v119, 29, v119
	v_lshlrev_b32_sdwa v40, v40, v15 dst_sel:DWORD dst_unused:UNUSED_PAD src0_sel:DWORD src1_sel:WORD_1
	v_cndmask_b32_e64 v119, v41, v119, s13
	v_and_b32_e32 v40, 7, v40
	v_lshl_add_u32 v119, v119, 23, 0x3b800000
	v_cndmask_b32_e64 v118, v118, v40, s13
	v_and_b32_e32 v40, 0x80000000, v42
	v_lshlrev_b32_e32 v118, 20, v118
	v_or3_b32 v118, v40, v119, v118
.LBB2_256:                              ;   in Loop: Header=BB2_130 Depth=2
	s_or_b32 exec_lo, exec_lo, s28
	v_and_b32_sdwa v40, v11, v101 dst_sel:DWORD dst_unused:UNUSED_PAD src0_sel:WORD_1 src1_sel:DWORD
	s_mov_b32 s14, 0
	s_mov_b32 s28, exec_lo
	v_cmpx_lt_i16_e32 0x7f, v40
	s_xor_b32 s28, exec_lo, s28
	s_cbranch_execz .LBB2_474
; %bb.257:                              ;   in Loop: Header=BB2_130 Depth=2
	s_mov_b32 s14, -1
	s_mov_b32 s29, exec_lo
	v_cmpx_eq_u16_e32 0x80, v40
; %bb.258:                              ;   in Loop: Header=BB2_130 Depth=2
	s_xor_b32 s14, exec_lo, -1
; %bb.259:                              ;   in Loop: Header=BB2_130 Depth=2
	s_or_b32 exec_lo, exec_lo, s29
	s_and_b32 s14, s14, exec_lo
                                        ; implicit-def: $vgpr40
	s_or_saveexec_b32 s28, s28
	v_mov_b32_e32 v119, 0x7f800001
	s_xor_b32 exec_lo, exec_lo, s28
	s_cbranch_execnz .LBB2_475
.LBB2_260:                              ;   in Loop: Header=BB2_130 Depth=2
	s_or_b32 exec_lo, exec_lo, s28
	s_and_saveexec_b32 s28, s14
	s_cbranch_execz .LBB2_262
.LBB2_261:                              ;   in Loop: Header=BB2_130 Depth=2
	v_and_b32_sdwa v119, v11, v102 dst_sel:DWORD dst_unused:UNUSED_PAD src0_sel:WORD_1 src1_sel:DWORD
	v_bfe_u32 v42, v11, 19, 4
	v_lshlrev_b32_sdwa v43, v100, v11 dst_sel:DWORD dst_unused:UNUSED_PAD src0_sel:DWORD src1_sel:WORD_1
	v_ffbh_u32_e32 v40, v119
	v_cmp_eq_u32_e64 s13, 0, v42
	v_min_u32_e32 v40, 32, v40
	v_subrev_nc_u32_e32 v41, 28, v40
	v_sub_nc_u32_e32 v40, 29, v40
	v_lshlrev_b32_sdwa v41, v41, v11 dst_sel:DWORD dst_unused:UNUSED_PAD src0_sel:DWORD src1_sel:WORD_1
	v_cndmask_b32_e64 v40, v42, v40, s13
	v_and_b32_e32 v41, 7, v41
	v_lshl_add_u32 v40, v40, 23, 0x3b800000
	v_cndmask_b32_e64 v119, v119, v41, s13
	v_and_b32_e32 v41, 0x80000000, v43
	v_lshlrev_b32_e32 v119, 20, v119
	v_or3_b32 v119, v41, v40, v119
.LBB2_262:                              ;   in Loop: Header=BB2_130 Depth=2
	s_or_b32 exec_lo, exec_lo, s28
	v_add_f32_e32 v119, v118, v119
	v_and_b32_e32 v118, 0x7f800000, v119
	v_cmp_ne_u32_e64 s13, 0x7f800000, v118
	v_mov_b32_e32 v118, 0x80
	s_and_saveexec_b32 s28, s13
	s_cbranch_execz .LBB2_270
; %bb.263:                              ;   in Loop: Header=BB2_130 Depth=2
	v_mov_b32_e32 v118, 0
	s_mov_b32 s29, exec_lo
	v_cmpx_ne_u32_e32 0, v119
	s_cbranch_execz .LBB2_269
; %bb.264:                              ;   in Loop: Header=BB2_130 Depth=2
	v_bfe_u32 v118, v119, 23, 8
	v_and_b32_e32 v40, 0x7fffff, v119
	v_sub_nc_u32_e32 v41, 0x78, v118
	v_cmp_gt_u32_e64 s13, 0x79, v118
	v_or_b32_e32 v42, 0x800000, v40
	v_cndmask_b32_e64 v41, 0, v41, s13
	v_cmp_eq_u32_e64 s13, 0, v118
	v_add_nc_u32_e32 v118, 0xffffff89, v118
	v_cndmask_b32_e64 v41, v41, 0x77, s13
	v_cndmask_b32_e64 v40, v42, v40, s13
	;; [unrolled: 1-line block ×3, first 2 shown]
	v_lshl_add_u32 v42, 0x100000, v41, -1
	v_lshrrev_b32_e32 v43, v41, v40
	v_lshlrev_b32_e64 v45, v41, 0x80000
	v_add_nc_u32_e32 v41, v41, v118
	v_and_b32_e32 v40, v42, v40
	v_bfe_u32 v44, v43, 20, 1
	v_cmp_eq_u32_e64 s14, v40, v45
	v_add_nc_u32_e32 v42, -1, v44
	v_cndmask_b32_e64 v40, 0, v42, s14
	v_lshrrev_b32_e32 v42, 23, v43
	s_mov_b32 s14, exec_lo
	v_add_nc_u32_e32 v40, v40, v43
	v_xor_b32_e32 v42, 1, v42
	v_and_b32_e32 v118, 0xfffff, v40
	v_add_nc_u32_e32 v40, v118, v43
                                        ; implicit-def: $vgpr118
	v_cmpx_ne_u32_e64 v41, v42
	s_xor_b32 s14, exec_lo, s14
; %bb.265:                              ;   in Loop: Header=BB2_130 Depth=2
	v_cmp_lt_u32_e64 s13, 0xffffff, v40
	v_sub_nc_u32_e32 v118, v41, v42
	v_cndmask_b32_e64 v41, 0, 1, s13
	v_add_co_ci_u32_e64 v118, null, 0, v118, s13
	v_lshrrev_b32_e32 v40, v41, v40
; %bb.266:                              ;   in Loop: Header=BB2_130 Depth=2
	s_andn2_saveexec_b32 s13, s14
; %bb.267:                              ;   in Loop: Header=BB2_130 Depth=2
	v_bfe_u32 v118, v40, 23, 1
; %bb.268:                              ;   in Loop: Header=BB2_130 Depth=2
	s_or_b32 exec_lo, exec_lo, s13
	v_lshrrev_b32_e32 v40, 20, v40
	v_min_i32_e32 v41, 15, v118
	v_cmp_gt_i32_e64 s13, 16, v118
	v_and_b32_sdwa v119, v119, v98 dst_sel:DWORD dst_unused:UNUSED_PAD src0_sel:BYTE_3 src1_sel:DWORD
	v_lshlrev_b32_e32 v41, 3, v41
	v_cndmask_b32_e64 v40, 7, v40, s13
	v_and_b32_e32 v41, 0xf8, v41
	v_and_b32_e32 v42, 7, v40
	v_or_b32_e32 v118, v118, v40
	v_or3_b32 v119, v41, v119, v42
	v_cmp_ne_u32_e64 s13, 0, v118
	v_cndmask_b32_e64 v118, 0, v119, s13
.LBB2_269:                              ;   in Loop: Header=BB2_130 Depth=2
	s_or_b32 exec_lo, exec_lo, s29
.LBB2_270:                              ;   in Loop: Header=BB2_130 Depth=2
	s_or_b32 exec_lo, exec_lo, s28
	v_cmp_gt_i16_sdwa s14, v15, v97 src0_sel:BYTE_3 src1_sel:DWORD
	s_mov_b32 s13, 0
	s_and_saveexec_b32 s28, s14
	s_xor_b32 s14, exec_lo, s28
	s_cbranch_execz .LBB2_476
; %bb.271:                              ;   in Loop: Header=BB2_130 Depth=2
	v_cmp_eq_u16_sdwa s29, v15, v98 src0_sel:BYTE_3 src1_sel:DWORD
	s_mov_b32 s13, -1
	s_and_saveexec_b32 s28, s29
; %bb.272:                              ;   in Loop: Header=BB2_130 Depth=2
	s_xor_b32 s13, exec_lo, -1
; %bb.273:                              ;   in Loop: Header=BB2_130 Depth=2
	s_or_b32 exec_lo, exec_lo, s28
	s_and_b32 s13, s13, exec_lo
	s_or_saveexec_b32 s14, s14
	v_mov_b32_e32 v119, 0x7f800001
	s_xor_b32 exec_lo, exec_lo, s14
	s_cbranch_execnz .LBB2_477
.LBB2_274:                              ;   in Loop: Header=BB2_130 Depth=2
	s_or_b32 exec_lo, exec_lo, s14
	s_and_saveexec_b32 s14, s13
	s_cbranch_execz .LBB2_276
.LBB2_275:                              ;   in Loop: Header=BB2_130 Depth=2
	v_bfe_u32 v119, v15, 24, 3
	v_bfe_u32 v42, v15, 27, 4
	v_ffbh_u32_e32 v40, v119
	v_cmp_eq_u32_e64 s13, 0, v42
	v_min_u32_e32 v40, 32, v40
	v_subrev_nc_u32_e32 v41, 28, v40
	v_sub_nc_u32_e32 v40, 29, v40
	v_lshlrev_b32_sdwa v41, v41, v15 dst_sel:DWORD dst_unused:UNUSED_PAD src0_sel:DWORD src1_sel:BYTE_3
	v_cndmask_b32_e64 v40, v42, v40, s13
	v_and_b32_e32 v15, 0x80000000, v15
	v_and_b32_e32 v41, 7, v41
	v_lshl_add_u32 v40, v40, 23, 0x3b800000
	v_cndmask_b32_e64 v119, v119, v41, s13
	v_lshlrev_b32_e32 v119, 20, v119
	v_or3_b32 v119, v15, v40, v119
.LBB2_276:                              ;   in Loop: Header=BB2_130 Depth=2
	s_or_b32 exec_lo, exec_lo, s14
	v_cmp_gt_i16_sdwa s14, v11, v97 src0_sel:BYTE_3 src1_sel:DWORD
	s_mov_b32 s13, 0
	s_and_saveexec_b32 s28, s14
	s_xor_b32 s14, exec_lo, s28
	s_cbranch_execz .LBB2_478
; %bb.277:                              ;   in Loop: Header=BB2_130 Depth=2
	v_cmp_eq_u16_sdwa s29, v11, v98 src0_sel:BYTE_3 src1_sel:DWORD
	s_mov_b32 s13, -1
	s_and_saveexec_b32 s28, s29
; %bb.278:                              ;   in Loop: Header=BB2_130 Depth=2
	s_xor_b32 s13, exec_lo, -1
; %bb.279:                              ;   in Loop: Header=BB2_130 Depth=2
	s_or_b32 exec_lo, exec_lo, s28
	s_and_b32 s13, s13, exec_lo
	s_or_saveexec_b32 s14, s14
	v_mov_b32_e32 v15, 0x7f800001
	s_xor_b32 exec_lo, exec_lo, s14
	s_cbranch_execnz .LBB2_479
.LBB2_280:                              ;   in Loop: Header=BB2_130 Depth=2
	s_or_b32 exec_lo, exec_lo, s14
	s_and_saveexec_b32 s14, s13
	s_cbranch_execz .LBB2_282
.LBB2_281:                              ;   in Loop: Header=BB2_130 Depth=2
	v_and_b32_sdwa v15, v11, v102 dst_sel:DWORD dst_unused:UNUSED_PAD src0_sel:BYTE_3 src1_sel:DWORD
	v_bfe_u32 v42, v11, 27, 4
	v_ffbh_u32_e32 v40, v15
	v_cmp_eq_u32_e64 s13, 0, v42
	v_min_u32_e32 v40, 32, v40
	v_subrev_nc_u32_e32 v41, 28, v40
	v_sub_nc_u32_e32 v40, 29, v40
	v_lshlrev_b32_sdwa v41, v41, v11 dst_sel:DWORD dst_unused:UNUSED_PAD src0_sel:DWORD src1_sel:BYTE_3
	v_cndmask_b32_e64 v40, v42, v40, s13
	v_and_b32_e32 v11, 0x80000000, v11
	v_and_b32_e32 v41, 7, v41
	v_lshl_add_u32 v40, v40, 23, 0x3b800000
	v_cndmask_b32_e64 v15, v15, v41, s13
	v_lshlrev_b32_e32 v15, 20, v15
	v_or3_b32 v15, v11, v40, v15
.LBB2_282:                              ;   in Loop: Header=BB2_130 Depth=2
	s_or_b32 exec_lo, exec_lo, s14
	v_add_f32_e32 v15, v119, v15
	v_and_b32_e32 v11, 0x7f800000, v15
	v_cmp_ne_u32_e64 s13, 0x7f800000, v11
	v_mov_b32_e32 v11, 0x8000
	s_and_saveexec_b32 s28, s13
	s_cbranch_execz .LBB2_290
; %bb.283:                              ;   in Loop: Header=BB2_130 Depth=2
	v_mov_b32_e32 v11, 0
	s_mov_b32 s29, exec_lo
	v_cmpx_ne_u32_e32 0, v15
	s_cbranch_execz .LBB2_289
; %bb.284:                              ;   in Loop: Header=BB2_130 Depth=2
	v_bfe_u32 v11, v15, 23, 8
	v_and_b32_e32 v119, 0x7fffff, v15
	v_sub_nc_u32_e32 v40, 0x78, v11
	v_cmp_gt_u32_e64 s13, 0x79, v11
	v_or_b32_e32 v41, 0x800000, v119
	v_cndmask_b32_e64 v40, 0, v40, s13
	v_cmp_eq_u32_e64 s13, 0, v11
	v_add_nc_u32_e32 v11, 0xffffff89, v11
	v_cndmask_b32_e64 v40, v40, 0x77, s13
	v_cndmask_b32_e64 v119, v41, v119, s13
	;; [unrolled: 1-line block ×3, first 2 shown]
	v_lshl_add_u32 v41, 0x100000, v40, -1
	v_lshrrev_b32_e32 v42, v40, v119
	v_lshlrev_b32_e64 v44, v40, 0x80000
	v_add_nc_u32_e32 v40, v40, v11
	v_and_b32_e32 v119, v41, v119
	v_bfe_u32 v43, v42, 20, 1
	v_cmp_eq_u32_e64 s14, v119, v44
	v_add_nc_u32_e32 v41, -1, v43
	v_cndmask_b32_e64 v119, 0, v41, s14
	v_lshrrev_b32_e32 v41, 23, v42
	s_mov_b32 s14, exec_lo
	v_add_nc_u32_e32 v119, v119, v42
	v_xor_b32_e32 v41, 1, v41
	v_and_b32_e32 v11, 0xfffff, v119
	v_add_nc_u32_e32 v119, v11, v42
                                        ; implicit-def: $vgpr11
	v_cmpx_ne_u32_e64 v40, v41
	s_xor_b32 s14, exec_lo, s14
; %bb.285:                              ;   in Loop: Header=BB2_130 Depth=2
	v_cmp_lt_u32_e64 s13, 0xffffff, v119
	v_sub_nc_u32_e32 v11, v40, v41
	v_cndmask_b32_e64 v40, 0, 1, s13
	v_add_co_ci_u32_e64 v11, null, 0, v11, s13
	v_lshrrev_b32_e32 v119, v40, v119
; %bb.286:                              ;   in Loop: Header=BB2_130 Depth=2
	s_andn2_saveexec_b32 s13, s14
; %bb.287:                              ;   in Loop: Header=BB2_130 Depth=2
	v_bfe_u32 v11, v119, 23, 1
; %bb.288:                              ;   in Loop: Header=BB2_130 Depth=2
	s_or_b32 exec_lo, exec_lo, s13
	v_lshrrev_b32_e32 v119, 20, v119
	v_min_i32_e32 v40, 15, v11
	v_cmp_gt_i32_e64 s13, 16, v11
	v_and_b32_sdwa v15, v15, v98 dst_sel:DWORD dst_unused:UNUSED_PAD src0_sel:BYTE_3 src1_sel:DWORD
	v_lshlrev_b32_e32 v40, 3, v40
	v_cndmask_b32_e64 v119, 7, v119, s13
	v_and_b32_e32 v40, 0xf8, v40
	v_and_b32_e32 v41, 7, v119
	v_or_b32_e32 v11, v11, v119
	v_or3_b32 v15, v15, v40, v41
	v_cmp_ne_u32_e64 s13, 0, v11
	v_lshlrev_b32_e32 v15, 8, v15
	v_cndmask_b32_e64 v11, 0, v15, s13
.LBB2_289:                              ;   in Loop: Header=BB2_130 Depth=2
	s_or_b32 exec_lo, exec_lo, s29
.LBB2_290:                              ;   in Loop: Header=BB2_130 Depth=2
	s_or_b32 exec_lo, exec_lo, s28
	v_cmp_gt_i16_sdwa s14, v16, v97 src0_sel:BYTE_0 src1_sel:DWORD
	s_mov_b32 s13, 0
	s_and_saveexec_b32 s28, s14
	s_xor_b32 s14, exec_lo, s28
	s_cbranch_execz .LBB2_480
; %bb.291:                              ;   in Loop: Header=BB2_130 Depth=2
	v_cmp_eq_u16_sdwa s29, v16, v98 src0_sel:BYTE_0 src1_sel:DWORD
	s_mov_b32 s13, -1
	s_and_saveexec_b32 s28, s29
; %bb.292:                              ;   in Loop: Header=BB2_130 Depth=2
	s_xor_b32 s13, exec_lo, -1
; %bb.293:                              ;   in Loop: Header=BB2_130 Depth=2
	s_or_b32 exec_lo, exec_lo, s28
	s_and_b32 s13, s13, exec_lo
	s_or_saveexec_b32 s14, s14
	v_mov_b32_e32 v15, 0x7f800001
	s_xor_b32 exec_lo, exec_lo, s14
	s_cbranch_execnz .LBB2_481
.LBB2_294:                              ;   in Loop: Header=BB2_130 Depth=2
	s_or_b32 exec_lo, exec_lo, s14
	s_and_saveexec_b32 s14, s13
	s_cbranch_execz .LBB2_296
.LBB2_295:                              ;   in Loop: Header=BB2_130 Depth=2
	v_and_b32_e32 v15, 7, v16
	v_bfe_u32 v41, v16, 3, 4
	v_lshlrev_b32_e32 v42, 24, v16
	v_ffbh_u32_e32 v119, v15
	v_cmp_eq_u32_e64 s13, 0, v41
	v_min_u32_e32 v119, 32, v119
	v_subrev_nc_u32_e32 v40, 28, v119
	v_sub_nc_u32_e32 v119, 29, v119
	v_lshlrev_b32_e32 v40, v40, v16
	v_cndmask_b32_e64 v119, v41, v119, s13
	v_and_b32_e32 v40, 7, v40
	v_lshl_add_u32 v119, v119, 23, 0x3b800000
	v_cndmask_b32_e64 v15, v15, v40, s13
	v_and_b32_e32 v40, 0x80000000, v42
	v_lshlrev_b32_e32 v15, 20, v15
	v_or3_b32 v15, v40, v119, v15
.LBB2_296:                              ;   in Loop: Header=BB2_130 Depth=2
	s_or_b32 exec_lo, exec_lo, s14
	v_cmp_gt_i16_sdwa s14, v12, v97 src0_sel:BYTE_0 src1_sel:DWORD
	s_mov_b32 s13, 0
	s_and_saveexec_b32 s28, s14
	s_xor_b32 s14, exec_lo, s28
	s_cbranch_execz .LBB2_482
; %bb.297:                              ;   in Loop: Header=BB2_130 Depth=2
	v_cmp_eq_u16_sdwa s29, v12, v98 src0_sel:BYTE_0 src1_sel:DWORD
	s_mov_b32 s13, -1
	s_and_saveexec_b32 s28, s29
; %bb.298:                              ;   in Loop: Header=BB2_130 Depth=2
	s_xor_b32 s13, exec_lo, -1
; %bb.299:                              ;   in Loop: Header=BB2_130 Depth=2
	s_or_b32 exec_lo, exec_lo, s28
	s_and_b32 s13, s13, exec_lo
	s_or_saveexec_b32 s14, s14
	v_mov_b32_e32 v119, 0x7f800001
	s_xor_b32 exec_lo, exec_lo, s14
	s_cbranch_execnz .LBB2_483
.LBB2_300:                              ;   in Loop: Header=BB2_130 Depth=2
	s_or_b32 exec_lo, exec_lo, s14
	s_and_saveexec_b32 s14, s13
	s_cbranch_execz .LBB2_302
.LBB2_301:                              ;   in Loop: Header=BB2_130 Depth=2
	v_and_b32_e32 v119, 7, v12
	v_bfe_u32 v42, v12, 3, 4
	v_lshlrev_b32_e32 v43, 24, v12
	v_ffbh_u32_e32 v40, v119
	v_cmp_eq_u32_e64 s13, 0, v42
	v_min_u32_e32 v40, 32, v40
	v_subrev_nc_u32_e32 v41, 28, v40
	v_sub_nc_u32_e32 v40, 29, v40
	v_lshlrev_b32_e32 v41, v41, v12
	v_cndmask_b32_e64 v40, v42, v40, s13
	v_and_b32_e32 v41, 7, v41
	v_lshl_add_u32 v40, v40, 23, 0x3b800000
	v_cndmask_b32_e64 v119, v119, v41, s13
	v_and_b32_e32 v41, 0x80000000, v43
	v_lshlrev_b32_e32 v119, 20, v119
	v_or3_b32 v119, v41, v40, v119
.LBB2_302:                              ;   in Loop: Header=BB2_130 Depth=2
	s_or_b32 exec_lo, exec_lo, s14
	v_add_f32_e32 v119, v15, v119
	v_and_b32_e32 v15, 0x7f800000, v119
	v_cmp_ne_u32_e64 s13, 0x7f800000, v15
	v_mov_b32_e32 v15, 0x80
	s_and_saveexec_b32 s28, s13
	s_cbranch_execz .LBB2_310
; %bb.303:                              ;   in Loop: Header=BB2_130 Depth=2
	v_mov_b32_e32 v15, 0
	s_mov_b32 s29, exec_lo
	v_cmpx_ne_u32_e32 0, v119
	s_cbranch_execz .LBB2_309
; %bb.304:                              ;   in Loop: Header=BB2_130 Depth=2
	v_bfe_u32 v15, v119, 23, 8
	v_and_b32_e32 v40, 0x7fffff, v119
	v_sub_nc_u32_e32 v41, 0x78, v15
	v_cmp_gt_u32_e64 s13, 0x79, v15
	v_or_b32_e32 v42, 0x800000, v40
	v_cndmask_b32_e64 v41, 0, v41, s13
	v_cmp_eq_u32_e64 s13, 0, v15
	v_add_nc_u32_e32 v15, 0xffffff89, v15
	v_cndmask_b32_e64 v41, v41, 0x77, s13
	v_cndmask_b32_e64 v40, v42, v40, s13
	v_cndmask_b32_e64 v15, v15, 0xffffff8a, s13
	v_lshl_add_u32 v42, 0x100000, v41, -1
	v_lshrrev_b32_e32 v43, v41, v40
	v_lshlrev_b32_e64 v45, v41, 0x80000
	v_add_nc_u32_e32 v41, v41, v15
	v_and_b32_e32 v40, v42, v40
	v_bfe_u32 v44, v43, 20, 1
	v_cmp_eq_u32_e64 s14, v40, v45
	v_add_nc_u32_e32 v42, -1, v44
	v_cndmask_b32_e64 v40, 0, v42, s14
	v_lshrrev_b32_e32 v42, 23, v43
	s_mov_b32 s14, exec_lo
	v_add_nc_u32_e32 v40, v40, v43
	v_xor_b32_e32 v42, 1, v42
	v_and_b32_e32 v15, 0xfffff, v40
	v_add_nc_u32_e32 v40, v15, v43
                                        ; implicit-def: $vgpr15
	v_cmpx_ne_u32_e64 v41, v42
	s_xor_b32 s14, exec_lo, s14
; %bb.305:                              ;   in Loop: Header=BB2_130 Depth=2
	v_cmp_lt_u32_e64 s13, 0xffffff, v40
	v_sub_nc_u32_e32 v15, v41, v42
	v_cndmask_b32_e64 v41, 0, 1, s13
	v_add_co_ci_u32_e64 v15, null, 0, v15, s13
	v_lshrrev_b32_e32 v40, v41, v40
; %bb.306:                              ;   in Loop: Header=BB2_130 Depth=2
	s_andn2_saveexec_b32 s13, s14
; %bb.307:                              ;   in Loop: Header=BB2_130 Depth=2
	v_bfe_u32 v15, v40, 23, 1
; %bb.308:                              ;   in Loop: Header=BB2_130 Depth=2
	s_or_b32 exec_lo, exec_lo, s13
	v_lshrrev_b32_e32 v40, 20, v40
	v_min_i32_e32 v41, 15, v15
	v_cmp_gt_i32_e64 s13, 16, v15
	v_and_b32_sdwa v119, v119, v98 dst_sel:DWORD dst_unused:UNUSED_PAD src0_sel:BYTE_3 src1_sel:DWORD
	v_lshlrev_b32_e32 v41, 3, v41
	v_cndmask_b32_e64 v40, 7, v40, s13
	v_and_b32_e32 v41, 0xf8, v41
	v_and_b32_e32 v42, 7, v40
	v_or_b32_e32 v15, v15, v40
	v_or3_b32 v119, v41, v119, v42
	v_cmp_ne_u32_e64 s13, 0, v15
	v_cndmask_b32_e64 v15, 0, v119, s13
.LBB2_309:                              ;   in Loop: Header=BB2_130 Depth=2
	s_or_b32 exec_lo, exec_lo, s29
.LBB2_310:                              ;   in Loop: Header=BB2_130 Depth=2
	s_or_b32 exec_lo, exec_lo, s28
	v_cmp_gt_i16_sdwa s14, v16, v97 src0_sel:BYTE_1 src1_sel:DWORD
	s_mov_b32 s13, 0
	s_and_saveexec_b32 s28, s14
	s_xor_b32 s14, exec_lo, s28
	s_cbranch_execz .LBB2_484
; %bb.311:                              ;   in Loop: Header=BB2_130 Depth=2
	v_cmp_eq_u16_sdwa s29, v16, v98 src0_sel:BYTE_1 src1_sel:DWORD
	s_mov_b32 s13, -1
	s_and_saveexec_b32 s28, s29
; %bb.312:                              ;   in Loop: Header=BB2_130 Depth=2
	s_xor_b32 s13, exec_lo, -1
; %bb.313:                              ;   in Loop: Header=BB2_130 Depth=2
	s_or_b32 exec_lo, exec_lo, s28
	s_and_b32 s13, s13, exec_lo
	s_or_saveexec_b32 s14, s14
	v_mov_b32_e32 v119, 0x7f800001
	s_xor_b32 exec_lo, exec_lo, s14
	s_cbranch_execnz .LBB2_485
.LBB2_314:                              ;   in Loop: Header=BB2_130 Depth=2
	s_or_b32 exec_lo, exec_lo, s14
	s_and_saveexec_b32 s14, s13
	s_cbranch_execz .LBB2_316
.LBB2_315:                              ;   in Loop: Header=BB2_130 Depth=2
	v_and_b32_sdwa v119, v99, v16 dst_sel:DWORD dst_unused:UNUSED_PAD src0_sel:DWORD src1_sel:BYTE_1
	v_and_b32_e32 v40, 7, v119
	v_bfe_u32 v43, v119, 3, 4
	v_ffbh_u32_e32 v41, v40
	v_cmp_eq_u32_e64 s13, 0, v43
	v_min_u32_e32 v41, 32, v41
	v_subrev_nc_u32_e32 v42, 28, v41
	v_sub_nc_u32_e32 v41, 29, v41
	v_lshlrev_b32_e32 v119, v42, v119
	v_lshlrev_b32_sdwa v42, v100, v16 dst_sel:DWORD dst_unused:UNUSED_PAD src0_sel:DWORD src1_sel:BYTE_1
	v_cndmask_b32_e64 v41, v43, v41, s13
	v_and_b32_e32 v119, 7, v119
	v_lshl_add_u32 v41, v41, 23, 0x3b800000
	v_cndmask_b32_e64 v119, v40, v119, s13
	v_and_b32_e32 v40, 0x80000000, v42
	v_lshlrev_b32_e32 v119, 20, v119
	v_or3_b32 v119, v40, v41, v119
.LBB2_316:                              ;   in Loop: Header=BB2_130 Depth=2
	s_or_b32 exec_lo, exec_lo, s14
	v_cmp_gt_i16_sdwa s14, v12, v97 src0_sel:BYTE_1 src1_sel:DWORD
	s_mov_b32 s13, 0
	s_and_saveexec_b32 s28, s14
	s_xor_b32 s14, exec_lo, s28
	s_cbranch_execz .LBB2_486
; %bb.317:                              ;   in Loop: Header=BB2_130 Depth=2
	v_cmp_eq_u16_sdwa s29, v12, v98 src0_sel:BYTE_1 src1_sel:DWORD
	s_mov_b32 s13, -1
	s_and_saveexec_b32 s28, s29
; %bb.318:                              ;   in Loop: Header=BB2_130 Depth=2
	s_xor_b32 s13, exec_lo, -1
; %bb.319:                              ;   in Loop: Header=BB2_130 Depth=2
	s_or_b32 exec_lo, exec_lo, s28
	s_and_b32 s13, s13, exec_lo
	s_or_saveexec_b32 s14, s14
	v_mov_b32_e32 v40, 0x7f800001
	s_xor_b32 exec_lo, exec_lo, s14
	s_cbranch_execnz .LBB2_487
.LBB2_320:                              ;   in Loop: Header=BB2_130 Depth=2
	s_or_b32 exec_lo, exec_lo, s14
	s_and_saveexec_b32 s14, s13
	s_cbranch_execz .LBB2_322
.LBB2_321:                              ;   in Loop: Header=BB2_130 Depth=2
	v_and_b32_sdwa v40, v99, v12 dst_sel:DWORD dst_unused:UNUSED_PAD src0_sel:DWORD src1_sel:BYTE_1
	v_and_b32_e32 v41, 7, v40
	v_bfe_u32 v44, v40, 3, 4
	v_ffbh_u32_e32 v42, v41
	v_cmp_eq_u32_e64 s13, 0, v44
	v_min_u32_e32 v42, 32, v42
	v_subrev_nc_u32_e32 v43, 28, v42
	v_sub_nc_u32_e32 v42, 29, v42
	v_lshlrev_b32_e32 v40, v43, v40
	v_lshlrev_b32_sdwa v43, v100, v12 dst_sel:DWORD dst_unused:UNUSED_PAD src0_sel:DWORD src1_sel:BYTE_1
	v_cndmask_b32_e64 v42, v44, v42, s13
	v_and_b32_e32 v40, 7, v40
	v_lshl_add_u32 v42, v42, 23, 0x3b800000
	v_cndmask_b32_e64 v40, v41, v40, s13
	v_and_b32_e32 v41, 0x80000000, v43
	v_lshlrev_b32_e32 v40, 20, v40
	v_or3_b32 v40, v41, v42, v40
.LBB2_322:                              ;   in Loop: Header=BB2_130 Depth=2
	s_or_b32 exec_lo, exec_lo, s14
	v_add_f32_e32 v40, v119, v40
	v_and_b32_e32 v119, 0x7f800000, v40
	v_cmp_ne_u32_e64 s13, 0x7f800000, v119
	v_mov_b32_e32 v119, 0x8000
	s_and_saveexec_b32 s28, s13
	s_cbranch_execz .LBB2_330
; %bb.323:                              ;   in Loop: Header=BB2_130 Depth=2
	v_mov_b32_e32 v119, 0
	s_mov_b32 s29, exec_lo
	v_cmpx_ne_u32_e32 0, v40
	s_cbranch_execz .LBB2_329
; %bb.324:                              ;   in Loop: Header=BB2_130 Depth=2
	v_bfe_u32 v119, v40, 23, 8
	v_and_b32_e32 v41, 0x7fffff, v40
	v_sub_nc_u32_e32 v42, 0x78, v119
	v_cmp_gt_u32_e64 s13, 0x79, v119
	v_or_b32_e32 v43, 0x800000, v41
	v_cndmask_b32_e64 v42, 0, v42, s13
	v_cmp_eq_u32_e64 s13, 0, v119
	v_add_nc_u32_e32 v119, 0xffffff89, v119
	v_cndmask_b32_e64 v42, v42, 0x77, s13
	v_cndmask_b32_e64 v41, v43, v41, s13
	;; [unrolled: 1-line block ×3, first 2 shown]
	v_lshl_add_u32 v43, 0x100000, v42, -1
	v_lshrrev_b32_e32 v44, v42, v41
	v_lshlrev_b32_e64 v46, v42, 0x80000
	v_add_nc_u32_e32 v42, v42, v119
	v_and_b32_e32 v41, v43, v41
	v_bfe_u32 v45, v44, 20, 1
	v_cmp_eq_u32_e64 s14, v41, v46
	v_add_nc_u32_e32 v43, -1, v45
	v_cndmask_b32_e64 v41, 0, v43, s14
	v_lshrrev_b32_e32 v43, 23, v44
	s_mov_b32 s14, exec_lo
	v_add_nc_u32_e32 v41, v41, v44
	v_xor_b32_e32 v43, 1, v43
	v_and_b32_e32 v119, 0xfffff, v41
	v_add_nc_u32_e32 v41, v119, v44
                                        ; implicit-def: $vgpr119
	v_cmpx_ne_u32_e64 v42, v43
	s_xor_b32 s14, exec_lo, s14
; %bb.325:                              ;   in Loop: Header=BB2_130 Depth=2
	v_cmp_lt_u32_e64 s13, 0xffffff, v41
	v_sub_nc_u32_e32 v119, v42, v43
	v_cndmask_b32_e64 v42, 0, 1, s13
	v_add_co_ci_u32_e64 v119, null, 0, v119, s13
	v_lshrrev_b32_e32 v41, v42, v41
; %bb.326:                              ;   in Loop: Header=BB2_130 Depth=2
	s_andn2_saveexec_b32 s13, s14
; %bb.327:                              ;   in Loop: Header=BB2_130 Depth=2
	v_bfe_u32 v119, v41, 23, 1
; %bb.328:                              ;   in Loop: Header=BB2_130 Depth=2
	s_or_b32 exec_lo, exec_lo, s13
	v_lshrrev_b32_e32 v41, 20, v41
	v_min_i32_e32 v42, 15, v119
	v_cmp_gt_i32_e64 s13, 16, v119
	v_and_b32_sdwa v40, v40, v98 dst_sel:DWORD dst_unused:UNUSED_PAD src0_sel:BYTE_3 src1_sel:DWORD
	v_lshlrev_b32_e32 v42, 3, v42
	v_cndmask_b32_e64 v41, 7, v41, s13
	v_and_b32_e32 v42, 0xf8, v42
	v_and_b32_e32 v43, 7, v41
	v_or_b32_e32 v119, v119, v41
	v_or3_b32 v40, v40, v42, v43
	v_cmp_ne_u32_e64 s13, 0, v119
	v_lshlrev_b32_e32 v40, 8, v40
	v_cndmask_b32_e64 v119, 0, v40, s13
.LBB2_329:                              ;   in Loop: Header=BB2_130 Depth=2
	s_or_b32 exec_lo, exec_lo, s29
.LBB2_330:                              ;   in Loop: Header=BB2_130 Depth=2
	s_or_b32 exec_lo, exec_lo, s28
	v_and_b32_sdwa v41, v16, v101 dst_sel:DWORD dst_unused:UNUSED_PAD src0_sel:WORD_1 src1_sel:DWORD
	s_mov_b32 s14, 0
	s_mov_b32 s28, exec_lo
	v_cmpx_lt_i16_e32 0x7f, v41
	s_xor_b32 s28, exec_lo, s28
	s_cbranch_execz .LBB2_488
; %bb.331:                              ;   in Loop: Header=BB2_130 Depth=2
	s_mov_b32 s14, -1
	s_mov_b32 s29, exec_lo
	v_cmpx_eq_u16_e32 0x80, v41
; %bb.332:                              ;   in Loop: Header=BB2_130 Depth=2
	s_xor_b32 s14, exec_lo, -1
; %bb.333:                              ;   in Loop: Header=BB2_130 Depth=2
	s_or_b32 exec_lo, exec_lo, s29
	s_and_b32 s14, s14, exec_lo
                                        ; implicit-def: $vgpr41
	s_or_saveexec_b32 s28, s28
	v_mov_b32_e32 v40, 0x7f800001
	s_xor_b32 exec_lo, exec_lo, s28
	s_cbranch_execnz .LBB2_489
.LBB2_334:                              ;   in Loop: Header=BB2_130 Depth=2
	s_or_b32 exec_lo, exec_lo, s28
	s_and_saveexec_b32 s28, s14
	s_cbranch_execz .LBB2_336
.LBB2_335:                              ;   in Loop: Header=BB2_130 Depth=2
	v_bfe_u32 v40, v16, 16, 3
	v_bfe_u32 v43, v16, 19, 4
	v_lshlrev_b32_e32 v44, 8, v16
	v_ffbh_u32_e32 v41, v40
	v_cmp_eq_u32_e64 s13, 0, v43
	v_min_u32_e32 v41, 32, v41
	v_subrev_nc_u32_e32 v42, 28, v41
	v_sub_nc_u32_e32 v41, 29, v41
	v_lshlrev_b32_sdwa v42, v42, v16 dst_sel:DWORD dst_unused:UNUSED_PAD src0_sel:DWORD src1_sel:WORD_1
	v_cndmask_b32_e64 v41, v43, v41, s13
	v_and_b32_e32 v42, 7, v42
	v_lshl_add_u32 v41, v41, 23, 0x3b800000
	v_cndmask_b32_e64 v40, v40, v42, s13
	v_and_b32_e32 v42, 0x80000000, v44
	v_lshlrev_b32_e32 v40, 20, v40
	v_or3_b32 v40, v42, v41, v40
.LBB2_336:                              ;   in Loop: Header=BB2_130 Depth=2
	s_or_b32 exec_lo, exec_lo, s28
	v_and_b32_sdwa v42, v12, v101 dst_sel:DWORD dst_unused:UNUSED_PAD src0_sel:WORD_1 src1_sel:DWORD
	s_mov_b32 s14, 0
	s_mov_b32 s28, exec_lo
	v_cmpx_lt_i16_e32 0x7f, v42
	s_xor_b32 s28, exec_lo, s28
	s_cbranch_execz .LBB2_490
; %bb.337:                              ;   in Loop: Header=BB2_130 Depth=2
	s_mov_b32 s14, -1
	s_mov_b32 s29, exec_lo
	v_cmpx_eq_u16_e32 0x80, v42
; %bb.338:                              ;   in Loop: Header=BB2_130 Depth=2
	s_xor_b32 s14, exec_lo, -1
; %bb.339:                              ;   in Loop: Header=BB2_130 Depth=2
	s_or_b32 exec_lo, exec_lo, s29
	s_and_b32 s14, s14, exec_lo
                                        ; implicit-def: $vgpr42
	s_or_saveexec_b32 s28, s28
	v_mov_b32_e32 v41, 0x7f800001
	s_xor_b32 exec_lo, exec_lo, s28
	s_cbranch_execnz .LBB2_491
.LBB2_340:                              ;   in Loop: Header=BB2_130 Depth=2
	s_or_b32 exec_lo, exec_lo, s28
	s_and_saveexec_b32 s28, s14
	s_cbranch_execz .LBB2_342
.LBB2_341:                              ;   in Loop: Header=BB2_130 Depth=2
	v_and_b32_sdwa v41, v12, v102 dst_sel:DWORD dst_unused:UNUSED_PAD src0_sel:WORD_1 src1_sel:DWORD
	v_bfe_u32 v44, v12, 19, 4
	v_lshlrev_b32_sdwa v45, v100, v12 dst_sel:DWORD dst_unused:UNUSED_PAD src0_sel:DWORD src1_sel:WORD_1
	v_ffbh_u32_e32 v42, v41
	v_cmp_eq_u32_e64 s13, 0, v44
	v_min_u32_e32 v42, 32, v42
	v_subrev_nc_u32_e32 v43, 28, v42
	v_sub_nc_u32_e32 v42, 29, v42
	v_lshlrev_b32_sdwa v43, v43, v12 dst_sel:DWORD dst_unused:UNUSED_PAD src0_sel:DWORD src1_sel:WORD_1
	v_cndmask_b32_e64 v42, v44, v42, s13
	v_and_b32_e32 v43, 7, v43
	v_lshl_add_u32 v42, v42, 23, 0x3b800000
	v_cndmask_b32_e64 v41, v41, v43, s13
	v_and_b32_e32 v43, 0x80000000, v45
	v_lshlrev_b32_e32 v41, 20, v41
	v_or3_b32 v41, v43, v42, v41
.LBB2_342:                              ;   in Loop: Header=BB2_130 Depth=2
	s_or_b32 exec_lo, exec_lo, s28
	v_add_f32_e32 v41, v40, v41
	v_and_b32_e32 v40, 0x7f800000, v41
	v_cmp_ne_u32_e64 s13, 0x7f800000, v40
	v_mov_b32_e32 v40, 0x80
	s_and_saveexec_b32 s28, s13
	s_cbranch_execz .LBB2_350
; %bb.343:                              ;   in Loop: Header=BB2_130 Depth=2
	v_mov_b32_e32 v40, 0
	s_mov_b32 s29, exec_lo
	v_cmpx_ne_u32_e32 0, v41
	s_cbranch_execz .LBB2_349
; %bb.344:                              ;   in Loop: Header=BB2_130 Depth=2
	v_bfe_u32 v40, v41, 23, 8
	v_and_b32_e32 v42, 0x7fffff, v41
	v_sub_nc_u32_e32 v43, 0x78, v40
	v_cmp_gt_u32_e64 s13, 0x79, v40
	v_or_b32_e32 v44, 0x800000, v42
	v_cndmask_b32_e64 v43, 0, v43, s13
	v_cmp_eq_u32_e64 s13, 0, v40
	v_add_nc_u32_e32 v40, 0xffffff89, v40
	v_cndmask_b32_e64 v43, v43, 0x77, s13
	v_cndmask_b32_e64 v42, v44, v42, s13
	;; [unrolled: 1-line block ×3, first 2 shown]
	v_lshl_add_u32 v44, 0x100000, v43, -1
	v_lshrrev_b32_e32 v45, v43, v42
	v_lshlrev_b32_e64 v47, v43, 0x80000
	v_add_nc_u32_e32 v43, v43, v40
	v_and_b32_e32 v42, v44, v42
	v_bfe_u32 v46, v45, 20, 1
	v_cmp_eq_u32_e64 s14, v42, v47
	v_add_nc_u32_e32 v44, -1, v46
	v_cndmask_b32_e64 v42, 0, v44, s14
	v_lshrrev_b32_e32 v44, 23, v45
	s_mov_b32 s14, exec_lo
	v_add_nc_u32_e32 v42, v42, v45
	v_xor_b32_e32 v44, 1, v44
	v_and_b32_e32 v40, 0xfffff, v42
	v_add_nc_u32_e32 v42, v40, v45
                                        ; implicit-def: $vgpr40
	v_cmpx_ne_u32_e64 v43, v44
	s_xor_b32 s14, exec_lo, s14
; %bb.345:                              ;   in Loop: Header=BB2_130 Depth=2
	v_cmp_lt_u32_e64 s13, 0xffffff, v42
	v_sub_nc_u32_e32 v40, v43, v44
	v_cndmask_b32_e64 v43, 0, 1, s13
	v_add_co_ci_u32_e64 v40, null, 0, v40, s13
	v_lshrrev_b32_e32 v42, v43, v42
; %bb.346:                              ;   in Loop: Header=BB2_130 Depth=2
	s_andn2_saveexec_b32 s13, s14
; %bb.347:                              ;   in Loop: Header=BB2_130 Depth=2
	v_bfe_u32 v40, v42, 23, 1
; %bb.348:                              ;   in Loop: Header=BB2_130 Depth=2
	s_or_b32 exec_lo, exec_lo, s13
	v_lshrrev_b32_e32 v42, 20, v42
	v_min_i32_e32 v43, 15, v40
	v_cmp_gt_i32_e64 s13, 16, v40
	v_and_b32_sdwa v41, v41, v98 dst_sel:DWORD dst_unused:UNUSED_PAD src0_sel:BYTE_3 src1_sel:DWORD
	v_lshlrev_b32_e32 v43, 3, v43
	v_cndmask_b32_e64 v42, 7, v42, s13
	v_and_b32_e32 v43, 0xf8, v43
	v_and_b32_e32 v44, 7, v42
	v_or_b32_e32 v40, v40, v42
	v_or3_b32 v41, v43, v41, v44
	v_cmp_ne_u32_e64 s13, 0, v40
	v_cndmask_b32_e64 v40, 0, v41, s13
.LBB2_349:                              ;   in Loop: Header=BB2_130 Depth=2
	s_or_b32 exec_lo, exec_lo, s29
.LBB2_350:                              ;   in Loop: Header=BB2_130 Depth=2
	s_or_b32 exec_lo, exec_lo, s28
	v_cmp_gt_i16_sdwa s14, v16, v97 src0_sel:BYTE_3 src1_sel:DWORD
	s_mov_b32 s13, 0
	s_and_saveexec_b32 s28, s14
	s_xor_b32 s14, exec_lo, s28
	s_cbranch_execz .LBB2_492
; %bb.351:                              ;   in Loop: Header=BB2_130 Depth=2
	v_cmp_eq_u16_sdwa s29, v16, v98 src0_sel:BYTE_3 src1_sel:DWORD
	s_mov_b32 s13, -1
	s_and_saveexec_b32 s28, s29
; %bb.352:                              ;   in Loop: Header=BB2_130 Depth=2
	s_xor_b32 s13, exec_lo, -1
; %bb.353:                              ;   in Loop: Header=BB2_130 Depth=2
	s_or_b32 exec_lo, exec_lo, s28
	s_and_b32 s13, s13, exec_lo
	s_or_saveexec_b32 s14, s14
	v_mov_b32_e32 v41, 0x7f800001
	s_xor_b32 exec_lo, exec_lo, s14
	s_cbranch_execnz .LBB2_493
.LBB2_354:                              ;   in Loop: Header=BB2_130 Depth=2
	s_or_b32 exec_lo, exec_lo, s14
	s_and_saveexec_b32 s14, s13
	s_cbranch_execz .LBB2_356
.LBB2_355:                              ;   in Loop: Header=BB2_130 Depth=2
	v_bfe_u32 v41, v16, 24, 3
	v_bfe_u32 v44, v16, 27, 4
	v_ffbh_u32_e32 v42, v41
	v_cmp_eq_u32_e64 s13, 0, v44
	v_min_u32_e32 v42, 32, v42
	v_subrev_nc_u32_e32 v43, 28, v42
	v_sub_nc_u32_e32 v42, 29, v42
	v_lshlrev_b32_sdwa v43, v43, v16 dst_sel:DWORD dst_unused:UNUSED_PAD src0_sel:DWORD src1_sel:BYTE_3
	v_cndmask_b32_e64 v42, v44, v42, s13
	v_and_b32_e32 v16, 0x80000000, v16
	v_and_b32_e32 v43, 7, v43
	v_lshl_add_u32 v42, v42, 23, 0x3b800000
	v_cndmask_b32_e64 v41, v41, v43, s13
	v_lshlrev_b32_e32 v41, 20, v41
	v_or3_b32 v41, v16, v42, v41
.LBB2_356:                              ;   in Loop: Header=BB2_130 Depth=2
	s_or_b32 exec_lo, exec_lo, s14
	v_cmp_gt_i16_sdwa s14, v12, v97 src0_sel:BYTE_3 src1_sel:DWORD
	s_mov_b32 s13, 0
	s_and_saveexec_b32 s28, s14
	s_xor_b32 s14, exec_lo, s28
	s_cbranch_execz .LBB2_494
; %bb.357:                              ;   in Loop: Header=BB2_130 Depth=2
	v_cmp_eq_u16_sdwa s29, v12, v98 src0_sel:BYTE_3 src1_sel:DWORD
	s_mov_b32 s13, -1
	s_and_saveexec_b32 s28, s29
; %bb.358:                              ;   in Loop: Header=BB2_130 Depth=2
	s_xor_b32 s13, exec_lo, -1
; %bb.359:                              ;   in Loop: Header=BB2_130 Depth=2
	s_or_b32 exec_lo, exec_lo, s28
	s_and_b32 s13, s13, exec_lo
	s_or_saveexec_b32 s14, s14
	v_mov_b32_e32 v16, 0x7f800001
	s_xor_b32 exec_lo, exec_lo, s14
	s_cbranch_execnz .LBB2_495
.LBB2_360:                              ;   in Loop: Header=BB2_130 Depth=2
	s_or_b32 exec_lo, exec_lo, s14
	s_and_saveexec_b32 s14, s13
	s_cbranch_execz .LBB2_362
.LBB2_361:                              ;   in Loop: Header=BB2_130 Depth=2
	v_and_b32_sdwa v16, v12, v102 dst_sel:DWORD dst_unused:UNUSED_PAD src0_sel:BYTE_3 src1_sel:DWORD
	v_bfe_u32 v44, v12, 27, 4
	v_ffbh_u32_e32 v42, v16
	v_cmp_eq_u32_e64 s13, 0, v44
	v_min_u32_e32 v42, 32, v42
	v_subrev_nc_u32_e32 v43, 28, v42
	v_sub_nc_u32_e32 v42, 29, v42
	v_lshlrev_b32_sdwa v43, v43, v12 dst_sel:DWORD dst_unused:UNUSED_PAD src0_sel:DWORD src1_sel:BYTE_3
	v_cndmask_b32_e64 v42, v44, v42, s13
	v_and_b32_e32 v12, 0x80000000, v12
	v_and_b32_e32 v43, 7, v43
	v_lshl_add_u32 v42, v42, 23, 0x3b800000
	v_cndmask_b32_e64 v16, v16, v43, s13
	v_lshlrev_b32_e32 v16, 20, v16
	v_or3_b32 v16, v12, v42, v16
.LBB2_362:                              ;   in Loop: Header=BB2_130 Depth=2
	s_or_b32 exec_lo, exec_lo, s14
	v_add_f32_e32 v16, v41, v16
	v_and_b32_e32 v12, 0x7f800000, v16
	v_cmp_ne_u32_e64 s13, 0x7f800000, v12
	v_mov_b32_e32 v12, 0x8000
	s_and_saveexec_b32 s28, s13
	s_cbranch_execz .LBB2_370
; %bb.363:                              ;   in Loop: Header=BB2_130 Depth=2
	v_mov_b32_e32 v12, 0
	s_mov_b32 s29, exec_lo
	v_cmpx_ne_u32_e32 0, v16
	s_cbranch_execz .LBB2_369
; %bb.364:                              ;   in Loop: Header=BB2_130 Depth=2
	v_bfe_u32 v12, v16, 23, 8
	v_and_b32_e32 v41, 0x7fffff, v16
	v_sub_nc_u32_e32 v42, 0x78, v12
	v_cmp_gt_u32_e64 s13, 0x79, v12
	v_or_b32_e32 v43, 0x800000, v41
	v_cndmask_b32_e64 v42, 0, v42, s13
	v_cmp_eq_u32_e64 s13, 0, v12
	v_add_nc_u32_e32 v12, 0xffffff89, v12
	v_cndmask_b32_e64 v42, v42, 0x77, s13
	v_cndmask_b32_e64 v41, v43, v41, s13
	;; [unrolled: 1-line block ×3, first 2 shown]
	v_lshl_add_u32 v43, 0x100000, v42, -1
	v_lshrrev_b32_e32 v44, v42, v41
	v_lshlrev_b32_e64 v46, v42, 0x80000
	v_add_nc_u32_e32 v42, v42, v12
	v_and_b32_e32 v41, v43, v41
	v_bfe_u32 v45, v44, 20, 1
	v_cmp_eq_u32_e64 s14, v41, v46
	v_add_nc_u32_e32 v43, -1, v45
	v_cndmask_b32_e64 v41, 0, v43, s14
	v_lshrrev_b32_e32 v43, 23, v44
	s_mov_b32 s14, exec_lo
	v_add_nc_u32_e32 v41, v41, v44
	v_xor_b32_e32 v43, 1, v43
	v_and_b32_e32 v12, 0xfffff, v41
	v_add_nc_u32_e32 v41, v12, v44
                                        ; implicit-def: $vgpr12
	v_cmpx_ne_u32_e64 v42, v43
	s_xor_b32 s14, exec_lo, s14
; %bb.365:                              ;   in Loop: Header=BB2_130 Depth=2
	v_cmp_lt_u32_e64 s13, 0xffffff, v41
	v_sub_nc_u32_e32 v12, v42, v43
	v_cndmask_b32_e64 v42, 0, 1, s13
	v_add_co_ci_u32_e64 v12, null, 0, v12, s13
	v_lshrrev_b32_e32 v41, v42, v41
; %bb.366:                              ;   in Loop: Header=BB2_130 Depth=2
	s_andn2_saveexec_b32 s13, s14
; %bb.367:                              ;   in Loop: Header=BB2_130 Depth=2
	v_bfe_u32 v12, v41, 23, 1
; %bb.368:                              ;   in Loop: Header=BB2_130 Depth=2
	s_or_b32 exec_lo, exec_lo, s13
	v_lshrrev_b32_e32 v41, 20, v41
	v_min_i32_e32 v42, 15, v12
	v_cmp_gt_i32_e64 s13, 16, v12
	v_and_b32_sdwa v16, v16, v98 dst_sel:DWORD dst_unused:UNUSED_PAD src0_sel:BYTE_3 src1_sel:DWORD
	v_lshlrev_b32_e32 v42, 3, v42
	v_cndmask_b32_e64 v41, 7, v41, s13
	v_and_b32_e32 v42, 0xf8, v42
	v_and_b32_e32 v43, 7, v41
	v_or_b32_e32 v12, v12, v41
	v_or3_b32 v16, v16, v42, v43
	v_cmp_ne_u32_e64 s13, 0, v12
	v_lshlrev_b32_e32 v16, 8, v16
	v_cndmask_b32_e64 v12, 0, v16, s13
.LBB2_369:                              ;   in Loop: Header=BB2_130 Depth=2
	s_or_b32 exec_lo, exec_lo, s29
.LBB2_370:                              ;   in Loop: Header=BB2_130 Depth=2
	s_or_b32 exec_lo, exec_lo, s28
	v_cmp_gt_i16_sdwa s14, v17, v97 src0_sel:BYTE_0 src1_sel:DWORD
	s_mov_b32 s13, 0
	s_and_saveexec_b32 s28, s14
	s_xor_b32 s14, exec_lo, s28
	s_cbranch_execz .LBB2_496
; %bb.371:                              ;   in Loop: Header=BB2_130 Depth=2
	v_cmp_eq_u16_sdwa s29, v17, v98 src0_sel:BYTE_0 src1_sel:DWORD
	s_mov_b32 s13, -1
	s_and_saveexec_b32 s28, s29
; %bb.372:                              ;   in Loop: Header=BB2_130 Depth=2
	s_xor_b32 s13, exec_lo, -1
; %bb.373:                              ;   in Loop: Header=BB2_130 Depth=2
	s_or_b32 exec_lo, exec_lo, s28
	s_and_b32 s13, s13, exec_lo
	s_or_saveexec_b32 s14, s14
	v_mov_b32_e32 v16, 0x7f800001
	s_xor_b32 exec_lo, exec_lo, s14
	s_cbranch_execnz .LBB2_497
.LBB2_374:                              ;   in Loop: Header=BB2_130 Depth=2
	s_or_b32 exec_lo, exec_lo, s14
	s_and_saveexec_b32 s14, s13
	s_cbranch_execz .LBB2_376
.LBB2_375:                              ;   in Loop: Header=BB2_130 Depth=2
	v_and_b32_e32 v16, 7, v17
	v_bfe_u32 v43, v17, 3, 4
	v_lshlrev_b32_e32 v44, 24, v17
	v_ffbh_u32_e32 v41, v16
	v_cmp_eq_u32_e64 s13, 0, v43
	v_min_u32_e32 v41, 32, v41
	v_subrev_nc_u32_e32 v42, 28, v41
	v_sub_nc_u32_e32 v41, 29, v41
	v_lshlrev_b32_e32 v42, v42, v17
	v_cndmask_b32_e64 v41, v43, v41, s13
	v_and_b32_e32 v42, 7, v42
	v_lshl_add_u32 v41, v41, 23, 0x3b800000
	v_cndmask_b32_e64 v16, v16, v42, s13
	v_and_b32_e32 v42, 0x80000000, v44
	v_lshlrev_b32_e32 v16, 20, v16
	v_or3_b32 v16, v42, v41, v16
.LBB2_376:                              ;   in Loop: Header=BB2_130 Depth=2
	s_or_b32 exec_lo, exec_lo, s14
	v_cmp_gt_i16_sdwa s14, v13, v97 src0_sel:BYTE_0 src1_sel:DWORD
	s_mov_b32 s13, 0
	s_and_saveexec_b32 s28, s14
	s_xor_b32 s14, exec_lo, s28
	s_cbranch_execz .LBB2_498
; %bb.377:                              ;   in Loop: Header=BB2_130 Depth=2
	v_cmp_eq_u16_sdwa s29, v13, v98 src0_sel:BYTE_0 src1_sel:DWORD
	s_mov_b32 s13, -1
	s_and_saveexec_b32 s28, s29
; %bb.378:                              ;   in Loop: Header=BB2_130 Depth=2
	s_xor_b32 s13, exec_lo, -1
; %bb.379:                              ;   in Loop: Header=BB2_130 Depth=2
	s_or_b32 exec_lo, exec_lo, s28
	s_and_b32 s13, s13, exec_lo
	s_or_saveexec_b32 s14, s14
	v_mov_b32_e32 v41, 0x7f800001
	s_xor_b32 exec_lo, exec_lo, s14
	s_cbranch_execnz .LBB2_499
.LBB2_380:                              ;   in Loop: Header=BB2_130 Depth=2
	s_or_b32 exec_lo, exec_lo, s14
	s_and_saveexec_b32 s14, s13
	s_cbranch_execz .LBB2_382
.LBB2_381:                              ;   in Loop: Header=BB2_130 Depth=2
	v_and_b32_e32 v41, 7, v13
	v_bfe_u32 v44, v13, 3, 4
	v_lshlrev_b32_e32 v45, 24, v13
	v_ffbh_u32_e32 v42, v41
	v_cmp_eq_u32_e64 s13, 0, v44
	v_min_u32_e32 v42, 32, v42
	v_subrev_nc_u32_e32 v43, 28, v42
	v_sub_nc_u32_e32 v42, 29, v42
	v_lshlrev_b32_e32 v43, v43, v13
	v_cndmask_b32_e64 v42, v44, v42, s13
	v_and_b32_e32 v43, 7, v43
	v_lshl_add_u32 v42, v42, 23, 0x3b800000
	v_cndmask_b32_e64 v41, v41, v43, s13
	v_and_b32_e32 v43, 0x80000000, v45
	v_lshlrev_b32_e32 v41, 20, v41
	v_or3_b32 v41, v43, v42, v41
.LBB2_382:                              ;   in Loop: Header=BB2_130 Depth=2
	s_or_b32 exec_lo, exec_lo, s14
	v_add_f32_e32 v41, v16, v41
	v_and_b32_e32 v16, 0x7f800000, v41
	v_cmp_ne_u32_e64 s13, 0x7f800000, v16
	v_mov_b32_e32 v16, 0x80
	s_and_saveexec_b32 s28, s13
	s_cbranch_execz .LBB2_390
; %bb.383:                              ;   in Loop: Header=BB2_130 Depth=2
	v_mov_b32_e32 v16, 0
	s_mov_b32 s29, exec_lo
	v_cmpx_ne_u32_e32 0, v41
	s_cbranch_execz .LBB2_389
; %bb.384:                              ;   in Loop: Header=BB2_130 Depth=2
	v_bfe_u32 v16, v41, 23, 8
	v_and_b32_e32 v42, 0x7fffff, v41
	v_sub_nc_u32_e32 v43, 0x78, v16
	v_cmp_gt_u32_e64 s13, 0x79, v16
	v_or_b32_e32 v44, 0x800000, v42
	v_cndmask_b32_e64 v43, 0, v43, s13
	v_cmp_eq_u32_e64 s13, 0, v16
	v_add_nc_u32_e32 v16, 0xffffff89, v16
	v_cndmask_b32_e64 v43, v43, 0x77, s13
	v_cndmask_b32_e64 v42, v44, v42, s13
	v_cndmask_b32_e64 v16, v16, 0xffffff8a, s13
	v_lshl_add_u32 v44, 0x100000, v43, -1
	v_lshrrev_b32_e32 v45, v43, v42
	v_lshlrev_b32_e64 v47, v43, 0x80000
	v_add_nc_u32_e32 v43, v43, v16
	v_and_b32_e32 v42, v44, v42
	v_bfe_u32 v46, v45, 20, 1
	v_cmp_eq_u32_e64 s14, v42, v47
	v_add_nc_u32_e32 v44, -1, v46
	v_cndmask_b32_e64 v42, 0, v44, s14
	v_lshrrev_b32_e32 v44, 23, v45
	s_mov_b32 s14, exec_lo
	v_add_nc_u32_e32 v42, v42, v45
	v_xor_b32_e32 v44, 1, v44
	v_and_b32_e32 v16, 0xfffff, v42
	v_add_nc_u32_e32 v42, v16, v45
                                        ; implicit-def: $vgpr16
	v_cmpx_ne_u32_e64 v43, v44
	s_xor_b32 s14, exec_lo, s14
; %bb.385:                              ;   in Loop: Header=BB2_130 Depth=2
	v_cmp_lt_u32_e64 s13, 0xffffff, v42
	v_sub_nc_u32_e32 v16, v43, v44
	v_cndmask_b32_e64 v43, 0, 1, s13
	v_add_co_ci_u32_e64 v16, null, 0, v16, s13
	v_lshrrev_b32_e32 v42, v43, v42
; %bb.386:                              ;   in Loop: Header=BB2_130 Depth=2
	s_andn2_saveexec_b32 s13, s14
; %bb.387:                              ;   in Loop: Header=BB2_130 Depth=2
	v_bfe_u32 v16, v42, 23, 1
; %bb.388:                              ;   in Loop: Header=BB2_130 Depth=2
	s_or_b32 exec_lo, exec_lo, s13
	v_lshrrev_b32_e32 v42, 20, v42
	v_min_i32_e32 v43, 15, v16
	v_cmp_gt_i32_e64 s13, 16, v16
	v_and_b32_sdwa v41, v41, v98 dst_sel:DWORD dst_unused:UNUSED_PAD src0_sel:BYTE_3 src1_sel:DWORD
	v_lshlrev_b32_e32 v43, 3, v43
	v_cndmask_b32_e64 v42, 7, v42, s13
	v_and_b32_e32 v43, 0xf8, v43
	v_and_b32_e32 v44, 7, v42
	v_or_b32_e32 v16, v16, v42
	v_or3_b32 v41, v43, v41, v44
	v_cmp_ne_u32_e64 s13, 0, v16
	v_cndmask_b32_e64 v16, 0, v41, s13
.LBB2_389:                              ;   in Loop: Header=BB2_130 Depth=2
	s_or_b32 exec_lo, exec_lo, s29
.LBB2_390:                              ;   in Loop: Header=BB2_130 Depth=2
	s_or_b32 exec_lo, exec_lo, s28
	v_cmp_gt_i16_sdwa s14, v17, v97 src0_sel:BYTE_1 src1_sel:DWORD
	s_mov_b32 s13, 0
	s_and_saveexec_b32 s28, s14
	s_xor_b32 s14, exec_lo, s28
	s_cbranch_execz .LBB2_500
; %bb.391:                              ;   in Loop: Header=BB2_130 Depth=2
	v_cmp_eq_u16_sdwa s29, v17, v98 src0_sel:BYTE_1 src1_sel:DWORD
	s_mov_b32 s13, -1
	s_and_saveexec_b32 s28, s29
; %bb.392:                              ;   in Loop: Header=BB2_130 Depth=2
	s_xor_b32 s13, exec_lo, -1
; %bb.393:                              ;   in Loop: Header=BB2_130 Depth=2
	s_or_b32 exec_lo, exec_lo, s28
	s_and_b32 s13, s13, exec_lo
	s_or_saveexec_b32 s14, s14
	v_mov_b32_e32 v41, 0x7f800001
	s_xor_b32 exec_lo, exec_lo, s14
	s_cbranch_execnz .LBB2_501
.LBB2_394:                              ;   in Loop: Header=BB2_130 Depth=2
	s_or_b32 exec_lo, exec_lo, s14
	s_and_saveexec_b32 s14, s13
	s_cbranch_execz .LBB2_396
.LBB2_395:                              ;   in Loop: Header=BB2_130 Depth=2
	v_and_b32_sdwa v41, v99, v17 dst_sel:DWORD dst_unused:UNUSED_PAD src0_sel:DWORD src1_sel:BYTE_1
	v_and_b32_e32 v42, 7, v41
	v_bfe_u32 v45, v41, 3, 4
	v_ffbh_u32_e32 v43, v42
	v_cmp_eq_u32_e64 s13, 0, v45
	v_min_u32_e32 v43, 32, v43
	v_subrev_nc_u32_e32 v44, 28, v43
	v_sub_nc_u32_e32 v43, 29, v43
	v_lshlrev_b32_e32 v41, v44, v41
	v_lshlrev_b32_sdwa v44, v100, v17 dst_sel:DWORD dst_unused:UNUSED_PAD src0_sel:DWORD src1_sel:BYTE_1
	v_cndmask_b32_e64 v43, v45, v43, s13
	v_and_b32_e32 v41, 7, v41
	v_lshl_add_u32 v43, v43, 23, 0x3b800000
	v_cndmask_b32_e64 v41, v42, v41, s13
	v_and_b32_e32 v42, 0x80000000, v44
	v_lshlrev_b32_e32 v41, 20, v41
	v_or3_b32 v41, v42, v43, v41
.LBB2_396:                              ;   in Loop: Header=BB2_130 Depth=2
	s_or_b32 exec_lo, exec_lo, s14
	v_cmp_gt_i16_sdwa s14, v13, v97 src0_sel:BYTE_1 src1_sel:DWORD
	s_mov_b32 s13, 0
	s_and_saveexec_b32 s28, s14
	s_xor_b32 s14, exec_lo, s28
	s_cbranch_execz .LBB2_502
; %bb.397:                              ;   in Loop: Header=BB2_130 Depth=2
	v_cmp_eq_u16_sdwa s29, v13, v98 src0_sel:BYTE_1 src1_sel:DWORD
	s_mov_b32 s13, -1
	s_and_saveexec_b32 s28, s29
; %bb.398:                              ;   in Loop: Header=BB2_130 Depth=2
	s_xor_b32 s13, exec_lo, -1
; %bb.399:                              ;   in Loop: Header=BB2_130 Depth=2
	s_or_b32 exec_lo, exec_lo, s28
	s_and_b32 s13, s13, exec_lo
	s_or_saveexec_b32 s14, s14
	v_mov_b32_e32 v42, 0x7f800001
	s_xor_b32 exec_lo, exec_lo, s14
	s_cbranch_execnz .LBB2_503
.LBB2_400:                              ;   in Loop: Header=BB2_130 Depth=2
	s_or_b32 exec_lo, exec_lo, s14
	s_and_saveexec_b32 s14, s13
	s_cbranch_execz .LBB2_402
.LBB2_401:                              ;   in Loop: Header=BB2_130 Depth=2
	v_and_b32_sdwa v42, v99, v13 dst_sel:DWORD dst_unused:UNUSED_PAD src0_sel:DWORD src1_sel:BYTE_1
	v_and_b32_e32 v43, 7, v42
	v_bfe_u32 v46, v42, 3, 4
	v_ffbh_u32_e32 v44, v43
	v_cmp_eq_u32_e64 s13, 0, v46
	v_min_u32_e32 v44, 32, v44
	v_subrev_nc_u32_e32 v45, 28, v44
	v_sub_nc_u32_e32 v44, 29, v44
	v_lshlrev_b32_e32 v42, v45, v42
	v_lshlrev_b32_sdwa v45, v100, v13 dst_sel:DWORD dst_unused:UNUSED_PAD src0_sel:DWORD src1_sel:BYTE_1
	v_cndmask_b32_e64 v44, v46, v44, s13
	v_and_b32_e32 v42, 7, v42
	v_lshl_add_u32 v44, v44, 23, 0x3b800000
	v_cndmask_b32_e64 v42, v43, v42, s13
	v_and_b32_e32 v43, 0x80000000, v45
	v_lshlrev_b32_e32 v42, 20, v42
	v_or3_b32 v42, v43, v44, v42
.LBB2_402:                              ;   in Loop: Header=BB2_130 Depth=2
	s_or_b32 exec_lo, exec_lo, s14
	v_add_f32_e32 v42, v41, v42
	v_and_b32_e32 v41, 0x7f800000, v42
	v_cmp_ne_u32_e64 s13, 0x7f800000, v41
	v_mov_b32_e32 v41, 0x8000
	s_and_saveexec_b32 s28, s13
	s_cbranch_execz .LBB2_410
; %bb.403:                              ;   in Loop: Header=BB2_130 Depth=2
	v_mov_b32_e32 v41, 0
	s_mov_b32 s29, exec_lo
	v_cmpx_ne_u32_e32 0, v42
	s_cbranch_execz .LBB2_409
; %bb.404:                              ;   in Loop: Header=BB2_130 Depth=2
	v_bfe_u32 v41, v42, 23, 8
	v_and_b32_e32 v43, 0x7fffff, v42
	v_sub_nc_u32_e32 v44, 0x78, v41
	v_cmp_gt_u32_e64 s13, 0x79, v41
	v_or_b32_e32 v45, 0x800000, v43
	v_cndmask_b32_e64 v44, 0, v44, s13
	v_cmp_eq_u32_e64 s13, 0, v41
	v_add_nc_u32_e32 v41, 0xffffff89, v41
	v_cndmask_b32_e64 v44, v44, 0x77, s13
	v_cndmask_b32_e64 v43, v45, v43, s13
	;; [unrolled: 1-line block ×3, first 2 shown]
	v_lshl_add_u32 v45, 0x100000, v44, -1
	v_lshrrev_b32_e32 v46, v44, v43
	v_lshlrev_b32_e64 v56, v44, 0x80000
	v_add_nc_u32_e32 v44, v44, v41
	v_and_b32_e32 v43, v45, v43
	v_bfe_u32 v47, v46, 20, 1
	v_cmp_eq_u32_e64 s14, v43, v56
	v_add_nc_u32_e32 v45, -1, v47
	v_cndmask_b32_e64 v43, 0, v45, s14
	v_lshrrev_b32_e32 v45, 23, v46
	s_mov_b32 s14, exec_lo
	v_add_nc_u32_e32 v43, v43, v46
	v_xor_b32_e32 v45, 1, v45
	v_and_b32_e32 v41, 0xfffff, v43
	v_add_nc_u32_e32 v43, v41, v46
                                        ; implicit-def: $vgpr41
	v_cmpx_ne_u32_e64 v44, v45
	s_xor_b32 s14, exec_lo, s14
; %bb.405:                              ;   in Loop: Header=BB2_130 Depth=2
	v_cmp_lt_u32_e64 s13, 0xffffff, v43
	v_sub_nc_u32_e32 v41, v44, v45
	v_cndmask_b32_e64 v44, 0, 1, s13
	v_add_co_ci_u32_e64 v41, null, 0, v41, s13
	v_lshrrev_b32_e32 v43, v44, v43
; %bb.406:                              ;   in Loop: Header=BB2_130 Depth=2
	s_andn2_saveexec_b32 s13, s14
; %bb.407:                              ;   in Loop: Header=BB2_130 Depth=2
	v_bfe_u32 v41, v43, 23, 1
; %bb.408:                              ;   in Loop: Header=BB2_130 Depth=2
	s_or_b32 exec_lo, exec_lo, s13
	v_lshrrev_b32_e32 v43, 20, v43
	v_min_i32_e32 v44, 15, v41
	v_cmp_gt_i32_e64 s13, 16, v41
	v_and_b32_sdwa v42, v42, v98 dst_sel:DWORD dst_unused:UNUSED_PAD src0_sel:BYTE_3 src1_sel:DWORD
	v_lshlrev_b32_e32 v44, 3, v44
	v_cndmask_b32_e64 v43, 7, v43, s13
	v_and_b32_e32 v44, 0xf8, v44
	v_and_b32_e32 v45, 7, v43
	v_or_b32_e32 v41, v41, v43
	v_or3_b32 v42, v42, v44, v45
	v_cmp_ne_u32_e64 s13, 0, v41
	v_lshlrev_b32_e32 v42, 8, v42
	v_cndmask_b32_e64 v41, 0, v42, s13
.LBB2_409:                              ;   in Loop: Header=BB2_130 Depth=2
	s_or_b32 exec_lo, exec_lo, s29
.LBB2_410:                              ;   in Loop: Header=BB2_130 Depth=2
	s_or_b32 exec_lo, exec_lo, s28
	v_and_b32_sdwa v43, v17, v101 dst_sel:DWORD dst_unused:UNUSED_PAD src0_sel:WORD_1 src1_sel:DWORD
	s_mov_b32 s14, 0
	s_mov_b32 s28, exec_lo
	v_cmpx_lt_i16_e32 0x7f, v43
	s_xor_b32 s28, exec_lo, s28
	s_cbranch_execz .LBB2_504
; %bb.411:                              ;   in Loop: Header=BB2_130 Depth=2
	s_mov_b32 s14, -1
	s_mov_b32 s29, exec_lo
	v_cmpx_eq_u16_e32 0x80, v43
; %bb.412:                              ;   in Loop: Header=BB2_130 Depth=2
	s_xor_b32 s14, exec_lo, -1
; %bb.413:                              ;   in Loop: Header=BB2_130 Depth=2
	s_or_b32 exec_lo, exec_lo, s29
	s_and_b32 s14, s14, exec_lo
                                        ; implicit-def: $vgpr43
	s_or_saveexec_b32 s28, s28
	v_mov_b32_e32 v42, 0x7f800001
	s_xor_b32 exec_lo, exec_lo, s28
	s_cbranch_execnz .LBB2_505
.LBB2_414:                              ;   in Loop: Header=BB2_130 Depth=2
	s_or_b32 exec_lo, exec_lo, s28
	s_and_saveexec_b32 s28, s14
	s_cbranch_execz .LBB2_416
.LBB2_415:                              ;   in Loop: Header=BB2_130 Depth=2
	v_bfe_u32 v42, v17, 16, 3
	v_bfe_u32 v45, v17, 19, 4
	v_lshlrev_b32_e32 v46, 8, v17
	v_ffbh_u32_e32 v43, v42
	v_cmp_eq_u32_e64 s13, 0, v45
	v_min_u32_e32 v43, 32, v43
	v_subrev_nc_u32_e32 v44, 28, v43
	v_sub_nc_u32_e32 v43, 29, v43
	v_lshlrev_b32_sdwa v44, v44, v17 dst_sel:DWORD dst_unused:UNUSED_PAD src0_sel:DWORD src1_sel:WORD_1
	v_cndmask_b32_e64 v43, v45, v43, s13
	v_and_b32_e32 v44, 7, v44
	v_lshl_add_u32 v43, v43, 23, 0x3b800000
	v_cndmask_b32_e64 v42, v42, v44, s13
	v_and_b32_e32 v44, 0x80000000, v46
	v_lshlrev_b32_e32 v42, 20, v42
	v_or3_b32 v42, v44, v43, v42
.LBB2_416:                              ;   in Loop: Header=BB2_130 Depth=2
	s_or_b32 exec_lo, exec_lo, s28
	v_and_b32_sdwa v44, v13, v101 dst_sel:DWORD dst_unused:UNUSED_PAD src0_sel:WORD_1 src1_sel:DWORD
	s_mov_b32 s14, 0
	s_mov_b32 s28, exec_lo
	v_cmpx_lt_i16_e32 0x7f, v44
	s_xor_b32 s28, exec_lo, s28
	s_cbranch_execz .LBB2_506
; %bb.417:                              ;   in Loop: Header=BB2_130 Depth=2
	s_mov_b32 s14, -1
	s_mov_b32 s29, exec_lo
	v_cmpx_eq_u16_e32 0x80, v44
; %bb.418:                              ;   in Loop: Header=BB2_130 Depth=2
	s_xor_b32 s14, exec_lo, -1
; %bb.419:                              ;   in Loop: Header=BB2_130 Depth=2
	s_or_b32 exec_lo, exec_lo, s29
	s_and_b32 s14, s14, exec_lo
                                        ; implicit-def: $vgpr44
	s_or_saveexec_b32 s28, s28
	v_mov_b32_e32 v43, 0x7f800001
	s_xor_b32 exec_lo, exec_lo, s28
	s_cbranch_execnz .LBB2_507
.LBB2_420:                              ;   in Loop: Header=BB2_130 Depth=2
	s_or_b32 exec_lo, exec_lo, s28
	s_and_saveexec_b32 s28, s14
	s_cbranch_execz .LBB2_422
.LBB2_421:                              ;   in Loop: Header=BB2_130 Depth=2
	v_and_b32_sdwa v43, v13, v102 dst_sel:DWORD dst_unused:UNUSED_PAD src0_sel:WORD_1 src1_sel:DWORD
	v_bfe_u32 v46, v13, 19, 4
	v_lshlrev_b32_sdwa v47, v100, v13 dst_sel:DWORD dst_unused:UNUSED_PAD src0_sel:DWORD src1_sel:WORD_1
	v_ffbh_u32_e32 v44, v43
	v_cmp_eq_u32_e64 s13, 0, v46
	v_min_u32_e32 v44, 32, v44
	v_subrev_nc_u32_e32 v45, 28, v44
	v_sub_nc_u32_e32 v44, 29, v44
	v_lshlrev_b32_sdwa v45, v45, v13 dst_sel:DWORD dst_unused:UNUSED_PAD src0_sel:DWORD src1_sel:WORD_1
	v_cndmask_b32_e64 v44, v46, v44, s13
	v_and_b32_e32 v45, 7, v45
	v_lshl_add_u32 v44, v44, 23, 0x3b800000
	v_cndmask_b32_e64 v43, v43, v45, s13
	v_and_b32_e32 v45, 0x80000000, v47
	v_lshlrev_b32_e32 v43, 20, v43
	v_or3_b32 v43, v45, v44, v43
.LBB2_422:                              ;   in Loop: Header=BB2_130 Depth=2
	s_or_b32 exec_lo, exec_lo, s28
	v_add_f32_e32 v43, v42, v43
	v_and_b32_e32 v42, 0x7f800000, v43
	v_cmp_ne_u32_e64 s13, 0x7f800000, v42
	v_mov_b32_e32 v42, 0x80
	s_and_saveexec_b32 s28, s13
	s_cbranch_execz .LBB2_430
; %bb.423:                              ;   in Loop: Header=BB2_130 Depth=2
	v_mov_b32_e32 v42, 0
	s_mov_b32 s29, exec_lo
	v_cmpx_ne_u32_e32 0, v43
	s_cbranch_execz .LBB2_429
; %bb.424:                              ;   in Loop: Header=BB2_130 Depth=2
	v_bfe_u32 v42, v43, 23, 8
	v_and_b32_e32 v44, 0x7fffff, v43
	v_sub_nc_u32_e32 v45, 0x78, v42
	v_cmp_gt_u32_e64 s13, 0x79, v42
	v_or_b32_e32 v46, 0x800000, v44
	v_cndmask_b32_e64 v45, 0, v45, s13
	v_cmp_eq_u32_e64 s13, 0, v42
	v_add_nc_u32_e32 v42, 0xffffff89, v42
	v_cndmask_b32_e64 v45, v45, 0x77, s13
	v_cndmask_b32_e64 v44, v46, v44, s13
	;; [unrolled: 1-line block ×3, first 2 shown]
	v_lshl_add_u32 v46, 0x100000, v45, -1
	v_lshrrev_b32_e32 v47, v45, v44
	v_lshlrev_b32_e64 v57, v45, 0x80000
	v_add_nc_u32_e32 v45, v45, v42
	v_and_b32_e32 v44, v46, v44
	v_bfe_u32 v56, v47, 20, 1
	v_cmp_eq_u32_e64 s14, v44, v57
	v_add_nc_u32_e32 v46, -1, v56
	v_cndmask_b32_e64 v44, 0, v46, s14
	v_lshrrev_b32_e32 v46, 23, v47
	s_mov_b32 s14, exec_lo
	v_add_nc_u32_e32 v44, v44, v47
	v_xor_b32_e32 v46, 1, v46
	v_and_b32_e32 v42, 0xfffff, v44
	v_add_nc_u32_e32 v44, v42, v47
                                        ; implicit-def: $vgpr42
	v_cmpx_ne_u32_e64 v45, v46
	s_xor_b32 s14, exec_lo, s14
; %bb.425:                              ;   in Loop: Header=BB2_130 Depth=2
	v_cmp_lt_u32_e64 s13, 0xffffff, v44
	v_sub_nc_u32_e32 v42, v45, v46
	v_cndmask_b32_e64 v45, 0, 1, s13
	v_add_co_ci_u32_e64 v42, null, 0, v42, s13
	v_lshrrev_b32_e32 v44, v45, v44
; %bb.426:                              ;   in Loop: Header=BB2_130 Depth=2
	s_andn2_saveexec_b32 s13, s14
; %bb.427:                              ;   in Loop: Header=BB2_130 Depth=2
	v_bfe_u32 v42, v44, 23, 1
; %bb.428:                              ;   in Loop: Header=BB2_130 Depth=2
	s_or_b32 exec_lo, exec_lo, s13
	v_lshrrev_b32_e32 v44, 20, v44
	v_min_i32_e32 v45, 15, v42
	v_cmp_gt_i32_e64 s13, 16, v42
	v_and_b32_sdwa v43, v43, v98 dst_sel:DWORD dst_unused:UNUSED_PAD src0_sel:BYTE_3 src1_sel:DWORD
	v_lshlrev_b32_e32 v45, 3, v45
	v_cndmask_b32_e64 v44, 7, v44, s13
	v_and_b32_e32 v45, 0xf8, v45
	v_and_b32_e32 v46, 7, v44
	v_or_b32_e32 v42, v42, v44
	v_or3_b32 v43, v45, v43, v46
	v_cmp_ne_u32_e64 s13, 0, v42
	v_cndmask_b32_e64 v42, 0, v43, s13
.LBB2_429:                              ;   in Loop: Header=BB2_130 Depth=2
	s_or_b32 exec_lo, exec_lo, s29
.LBB2_430:                              ;   in Loop: Header=BB2_130 Depth=2
	s_or_b32 exec_lo, exec_lo, s28
	v_cmp_gt_i16_sdwa s14, v17, v97 src0_sel:BYTE_3 src1_sel:DWORD
	s_mov_b32 s13, 0
	s_and_saveexec_b32 s28, s14
	s_xor_b32 s14, exec_lo, s28
	s_cbranch_execz .LBB2_508
; %bb.431:                              ;   in Loop: Header=BB2_130 Depth=2
	v_cmp_eq_u16_sdwa s29, v17, v98 src0_sel:BYTE_3 src1_sel:DWORD
	s_mov_b32 s13, -1
	s_and_saveexec_b32 s28, s29
; %bb.432:                              ;   in Loop: Header=BB2_130 Depth=2
	s_xor_b32 s13, exec_lo, -1
; %bb.433:                              ;   in Loop: Header=BB2_130 Depth=2
	s_or_b32 exec_lo, exec_lo, s28
	s_and_b32 s13, s13, exec_lo
	s_or_saveexec_b32 s14, s14
	v_mov_b32_e32 v43, 0x7f800001
	s_xor_b32 exec_lo, exec_lo, s14
	s_cbranch_execnz .LBB2_509
.LBB2_434:                              ;   in Loop: Header=BB2_130 Depth=2
	s_or_b32 exec_lo, exec_lo, s14
	s_and_saveexec_b32 s14, s13
	s_cbranch_execz .LBB2_436
.LBB2_435:                              ;   in Loop: Header=BB2_130 Depth=2
	v_bfe_u32 v43, v17, 24, 3
	v_bfe_u32 v46, v17, 27, 4
	v_ffbh_u32_e32 v44, v43
	v_cmp_eq_u32_e64 s13, 0, v46
	v_min_u32_e32 v44, 32, v44
	v_subrev_nc_u32_e32 v45, 28, v44
	v_sub_nc_u32_e32 v44, 29, v44
	v_lshlrev_b32_sdwa v45, v45, v17 dst_sel:DWORD dst_unused:UNUSED_PAD src0_sel:DWORD src1_sel:BYTE_3
	v_cndmask_b32_e64 v44, v46, v44, s13
	v_and_b32_e32 v17, 0x80000000, v17
	v_and_b32_e32 v45, 7, v45
	v_lshl_add_u32 v44, v44, 23, 0x3b800000
	v_cndmask_b32_e64 v43, v43, v45, s13
	v_lshlrev_b32_e32 v43, 20, v43
	v_or3_b32 v43, v17, v44, v43
.LBB2_436:                              ;   in Loop: Header=BB2_130 Depth=2
	s_or_b32 exec_lo, exec_lo, s14
	v_cmp_gt_i16_sdwa s14, v13, v97 src0_sel:BYTE_3 src1_sel:DWORD
	s_mov_b32 s13, 0
	s_and_saveexec_b32 s28, s14
	s_xor_b32 s14, exec_lo, s28
	s_cbranch_execz .LBB2_510
; %bb.437:                              ;   in Loop: Header=BB2_130 Depth=2
	v_cmp_eq_u16_sdwa s29, v13, v98 src0_sel:BYTE_3 src1_sel:DWORD
	s_mov_b32 s13, -1
	s_and_saveexec_b32 s28, s29
; %bb.438:                              ;   in Loop: Header=BB2_130 Depth=2
	s_xor_b32 s13, exec_lo, -1
; %bb.439:                              ;   in Loop: Header=BB2_130 Depth=2
	s_or_b32 exec_lo, exec_lo, s28
	s_and_b32 s13, s13, exec_lo
	s_or_saveexec_b32 s14, s14
	v_mov_b32_e32 v17, 0x7f800001
	s_xor_b32 exec_lo, exec_lo, s14
	s_cbranch_execnz .LBB2_511
.LBB2_440:                              ;   in Loop: Header=BB2_130 Depth=2
	s_or_b32 exec_lo, exec_lo, s14
	s_and_saveexec_b32 s14, s13
	s_cbranch_execz .LBB2_442
.LBB2_441:                              ;   in Loop: Header=BB2_130 Depth=2
	v_and_b32_sdwa v17, v13, v102 dst_sel:DWORD dst_unused:UNUSED_PAD src0_sel:BYTE_3 src1_sel:DWORD
	v_bfe_u32 v46, v13, 27, 4
	v_ffbh_u32_e32 v44, v17
	v_cmp_eq_u32_e64 s13, 0, v46
	v_min_u32_e32 v44, 32, v44
	v_subrev_nc_u32_e32 v45, 28, v44
	v_sub_nc_u32_e32 v44, 29, v44
	v_lshlrev_b32_sdwa v45, v45, v13 dst_sel:DWORD dst_unused:UNUSED_PAD src0_sel:DWORD src1_sel:BYTE_3
	v_cndmask_b32_e64 v44, v46, v44, s13
	v_and_b32_e32 v13, 0x80000000, v13
	v_and_b32_e32 v45, 7, v45
	v_lshl_add_u32 v44, v44, 23, 0x3b800000
	v_cndmask_b32_e64 v17, v17, v45, s13
	v_lshlrev_b32_e32 v17, 20, v17
	v_or3_b32 v17, v13, v44, v17
.LBB2_442:                              ;   in Loop: Header=BB2_130 Depth=2
	s_or_b32 exec_lo, exec_lo, s14
	v_add_f32_e32 v13, v43, v17
	v_and_b32_e32 v17, 0x7f800000, v13
	v_cmp_ne_u32_e64 s13, 0x7f800000, v17
	v_mov_b32_e32 v17, 0x8000
	s_and_saveexec_b32 s28, s13
	s_cbranch_execz .LBB2_129
; %bb.443:                              ;   in Loop: Header=BB2_130 Depth=2
	v_mov_b32_e32 v17, 0
	s_mov_b32 s29, exec_lo
	v_cmpx_ne_u32_e32 0, v13
	s_cbranch_execz .LBB2_128
; %bb.444:                              ;   in Loop: Header=BB2_130 Depth=2
	v_bfe_u32 v17, v13, 23, 8
	v_and_b32_e32 v43, 0x7fffff, v13
	v_sub_nc_u32_e32 v44, 0x78, v17
	v_cmp_gt_u32_e64 s13, 0x79, v17
	v_or_b32_e32 v45, 0x800000, v43
	v_cndmask_b32_e64 v44, 0, v44, s13
	v_cmp_eq_u32_e64 s13, 0, v17
	v_add_nc_u32_e32 v17, 0xffffff89, v17
	v_cndmask_b32_e64 v44, v44, 0x77, s13
	v_cndmask_b32_e64 v43, v45, v43, s13
	;; [unrolled: 1-line block ×3, first 2 shown]
	v_lshl_add_u32 v45, 0x100000, v44, -1
	v_lshrrev_b32_e32 v46, v44, v43
	v_lshlrev_b32_e64 v56, v44, 0x80000
	v_add_nc_u32_e32 v44, v44, v17
	v_and_b32_e32 v43, v45, v43
	v_bfe_u32 v47, v46, 20, 1
	v_cmp_eq_u32_e64 s14, v43, v56
	v_add_nc_u32_e32 v45, -1, v47
	v_cndmask_b32_e64 v43, 0, v45, s14
	v_lshrrev_b32_e32 v45, 23, v46
	s_mov_b32 s14, exec_lo
	v_add_nc_u32_e32 v43, v43, v46
	v_xor_b32_e32 v45, 1, v45
	v_and_b32_e32 v17, 0xfffff, v43
	v_add_nc_u32_e32 v43, v17, v46
                                        ; implicit-def: $vgpr17
	v_cmpx_ne_u32_e64 v44, v45
	s_xor_b32 s14, exec_lo, s14
; %bb.445:                              ;   in Loop: Header=BB2_130 Depth=2
	v_cmp_lt_u32_e64 s13, 0xffffff, v43
	v_sub_nc_u32_e32 v17, v44, v45
	v_cndmask_b32_e64 v44, 0, 1, s13
	v_add_co_ci_u32_e64 v17, null, 0, v17, s13
	v_lshrrev_b32_e32 v43, v44, v43
; %bb.446:                              ;   in Loop: Header=BB2_130 Depth=2
	s_andn2_saveexec_b32 s13, s14
	s_cbranch_execz .LBB2_127
; %bb.447:                              ;   in Loop: Header=BB2_130 Depth=2
	v_bfe_u32 v17, v43, 23, 1
	s_branch .LBB2_127
.LBB2_448:                              ;   in Loop: Header=BB2_130 Depth=2
	s_or_saveexec_b32 s14, s14
	v_mov_b32_e32 v114, 0x7f800001
	s_xor_b32 exec_lo, exec_lo, s14
	s_cbranch_execz .LBB2_134
.LBB2_449:                              ;   in Loop: Header=BB2_130 Depth=2
	v_cmp_ne_u16_sdwa s28, v14, v36 src0_sel:BYTE_0 src1_sel:DWORD
	v_mov_b32_e32 v114, 0
	s_andn2_b32 s13, s13, exec_lo
	s_and_b32 s28, s28, exec_lo
	s_or_b32 s13, s13, s28
	s_or_b32 exec_lo, exec_lo, s14
	s_and_saveexec_b32 s14, s13
	s_cbranch_execnz .LBB2_135
	s_branch .LBB2_136
.LBB2_450:                              ;   in Loop: Header=BB2_130 Depth=2
	s_or_saveexec_b32 s14, s14
	v_mov_b32_e32 v115, 0x7f800001
	s_xor_b32 exec_lo, exec_lo, s14
	s_cbranch_execz .LBB2_140
.LBB2_451:                              ;   in Loop: Header=BB2_130 Depth=2
	v_cmp_ne_u16_sdwa s28, v10, v36 src0_sel:BYTE_0 src1_sel:DWORD
	v_mov_b32_e32 v115, 0
	s_andn2_b32 s13, s13, exec_lo
	s_and_b32 s28, s28, exec_lo
	s_or_b32 s13, s13, s28
	s_or_b32 exec_lo, exec_lo, s14
	s_and_saveexec_b32 s14, s13
	s_cbranch_execnz .LBB2_141
	s_branch .LBB2_142
.LBB2_452:                              ;   in Loop: Header=BB2_130 Depth=2
	s_or_saveexec_b32 s14, s14
	v_mov_b32_e32 v115, 0x7f800001
	s_xor_b32 exec_lo, exec_lo, s14
	s_cbranch_execz .LBB2_154
.LBB2_453:                              ;   in Loop: Header=BB2_130 Depth=2
	v_cmp_ne_u16_sdwa s28, v14, v36 src0_sel:BYTE_1 src1_sel:DWORD
	v_mov_b32_e32 v115, 0
	s_andn2_b32 s13, s13, exec_lo
	s_and_b32 s28, s28, exec_lo
	s_or_b32 s13, s13, s28
	s_or_b32 exec_lo, exec_lo, s14
	s_and_saveexec_b32 s14, s13
	s_cbranch_execnz .LBB2_155
	s_branch .LBB2_156
.LBB2_454:                              ;   in Loop: Header=BB2_130 Depth=2
	s_or_saveexec_b32 s14, s14
	v_mov_b32_e32 v116, 0x7f800001
	s_xor_b32 exec_lo, exec_lo, s14
	s_cbranch_execz .LBB2_160
.LBB2_455:                              ;   in Loop: Header=BB2_130 Depth=2
	v_cmp_ne_u16_sdwa s28, v10, v36 src0_sel:BYTE_1 src1_sel:DWORD
	v_mov_b32_e32 v116, 0
	s_andn2_b32 s13, s13, exec_lo
	s_and_b32 s28, s28, exec_lo
	s_or_b32 s13, s13, s28
	s_or_b32 exec_lo, exec_lo, s14
	s_and_saveexec_b32 s14, s13
	s_cbranch_execnz .LBB2_161
	s_branch .LBB2_162
.LBB2_456:                              ;   in Loop: Header=BB2_130 Depth=2
	s_or_saveexec_b32 s28, s28
	v_mov_b32_e32 v116, 0x7f800001
	s_xor_b32 exec_lo, exec_lo, s28
	s_cbranch_execz .LBB2_174
.LBB2_457:                              ;   in Loop: Header=BB2_130 Depth=2
	v_cmp_ne_u16_e64 s13, 0, v117
	v_mov_b32_e32 v116, 0
	s_andn2_b32 s14, s14, exec_lo
	s_and_b32 s13, s13, exec_lo
	s_or_b32 s14, s14, s13
	s_or_b32 exec_lo, exec_lo, s28
	s_and_saveexec_b32 s28, s14
	s_cbranch_execnz .LBB2_175
	s_branch .LBB2_176
.LBB2_458:                              ;   in Loop: Header=BB2_130 Depth=2
	s_or_saveexec_b32 s28, s28
	v_mov_b32_e32 v117, 0x7f800001
	s_xor_b32 exec_lo, exec_lo, s28
	s_cbranch_execz .LBB2_180
.LBB2_459:                              ;   in Loop: Header=BB2_130 Depth=2
	v_cmp_ne_u16_e64 s13, 0, v118
	v_mov_b32_e32 v117, 0
	s_andn2_b32 s14, s14, exec_lo
	s_and_b32 s13, s13, exec_lo
	s_or_b32 s14, s14, s13
	s_or_b32 exec_lo, exec_lo, s28
	s_and_saveexec_b32 s28, s14
	s_cbranch_execnz .LBB2_181
	s_branch .LBB2_182
.LBB2_460:                              ;   in Loop: Header=BB2_130 Depth=2
	s_or_saveexec_b32 s14, s14
	v_mov_b32_e32 v117, 0x7f800001
	s_xor_b32 exec_lo, exec_lo, s14
	s_cbranch_execz .LBB2_194
.LBB2_461:                              ;   in Loop: Header=BB2_130 Depth=2
	v_cmp_ne_u16_sdwa s28, v14, v36 src0_sel:BYTE_3 src1_sel:DWORD
	v_mov_b32_e32 v117, 0
	s_andn2_b32 s13, s13, exec_lo
	s_and_b32 s28, s28, exec_lo
	s_or_b32 s13, s13, s28
	s_or_b32 exec_lo, exec_lo, s14
	s_and_saveexec_b32 s14, s13
	s_cbranch_execnz .LBB2_195
	s_branch .LBB2_196
.LBB2_462:                              ;   in Loop: Header=BB2_130 Depth=2
	s_or_saveexec_b32 s14, s14
	v_mov_b32_e32 v14, 0x7f800001
	s_xor_b32 exec_lo, exec_lo, s14
	s_cbranch_execz .LBB2_200
.LBB2_463:                              ;   in Loop: Header=BB2_130 Depth=2
	v_cmp_ne_u16_sdwa s28, v10, v36 src0_sel:BYTE_3 src1_sel:DWORD
	v_mov_b32_e32 v14, 0
	s_andn2_b32 s13, s13, exec_lo
	s_and_b32 s28, s28, exec_lo
	s_or_b32 s13, s13, s28
	s_or_b32 exec_lo, exec_lo, s14
	s_and_saveexec_b32 s14, s13
	s_cbranch_execnz .LBB2_201
	s_branch .LBB2_202
.LBB2_464:                              ;   in Loop: Header=BB2_130 Depth=2
	s_or_saveexec_b32 s14, s14
	v_mov_b32_e32 v14, 0x7f800001
	s_xor_b32 exec_lo, exec_lo, s14
	s_cbranch_execz .LBB2_214
.LBB2_465:                              ;   in Loop: Header=BB2_130 Depth=2
	v_cmp_ne_u16_sdwa s28, v15, v36 src0_sel:BYTE_0 src1_sel:DWORD
	v_mov_b32_e32 v14, 0
	s_andn2_b32 s13, s13, exec_lo
	s_and_b32 s28, s28, exec_lo
	s_or_b32 s13, s13, s28
	s_or_b32 exec_lo, exec_lo, s14
	s_and_saveexec_b32 s14, s13
	s_cbranch_execnz .LBB2_215
	s_branch .LBB2_216
.LBB2_466:                              ;   in Loop: Header=BB2_130 Depth=2
	s_or_saveexec_b32 s14, s14
	v_mov_b32_e32 v117, 0x7f800001
	s_xor_b32 exec_lo, exec_lo, s14
	s_cbranch_execz .LBB2_220
.LBB2_467:                              ;   in Loop: Header=BB2_130 Depth=2
	v_cmp_ne_u16_sdwa s28, v11, v36 src0_sel:BYTE_0 src1_sel:DWORD
	v_mov_b32_e32 v117, 0
	s_andn2_b32 s13, s13, exec_lo
	s_and_b32 s28, s28, exec_lo
	s_or_b32 s13, s13, s28
	s_or_b32 exec_lo, exec_lo, s14
	s_and_saveexec_b32 s14, s13
	s_cbranch_execnz .LBB2_221
	s_branch .LBB2_222
.LBB2_468:                              ;   in Loop: Header=BB2_130 Depth=2
	s_or_saveexec_b32 s14, s14
	v_mov_b32_e32 v117, 0x7f800001
	s_xor_b32 exec_lo, exec_lo, s14
	s_cbranch_execz .LBB2_234
.LBB2_469:                              ;   in Loop: Header=BB2_130 Depth=2
	v_cmp_ne_u16_sdwa s28, v15, v36 src0_sel:BYTE_1 src1_sel:DWORD
	v_mov_b32_e32 v117, 0
	s_andn2_b32 s13, s13, exec_lo
	s_and_b32 s28, s28, exec_lo
	s_or_b32 s13, s13, s28
	s_or_b32 exec_lo, exec_lo, s14
	s_and_saveexec_b32 s14, s13
	s_cbranch_execnz .LBB2_235
	s_branch .LBB2_236
.LBB2_470:                              ;   in Loop: Header=BB2_130 Depth=2
	s_or_saveexec_b32 s14, s14
	v_mov_b32_e32 v118, 0x7f800001
	s_xor_b32 exec_lo, exec_lo, s14
	s_cbranch_execz .LBB2_240
.LBB2_471:                              ;   in Loop: Header=BB2_130 Depth=2
	v_cmp_ne_u16_sdwa s28, v11, v36 src0_sel:BYTE_1 src1_sel:DWORD
	v_mov_b32_e32 v118, 0
	s_andn2_b32 s13, s13, exec_lo
	s_and_b32 s28, s28, exec_lo
	s_or_b32 s13, s13, s28
	s_or_b32 exec_lo, exec_lo, s14
	s_and_saveexec_b32 s14, s13
	s_cbranch_execnz .LBB2_241
	s_branch .LBB2_242
.LBB2_472:                              ;   in Loop: Header=BB2_130 Depth=2
	s_or_saveexec_b32 s28, s28
	v_mov_b32_e32 v118, 0x7f800001
	s_xor_b32 exec_lo, exec_lo, s28
	s_cbranch_execz .LBB2_254
.LBB2_473:                              ;   in Loop: Header=BB2_130 Depth=2
	v_cmp_ne_u16_e64 s13, 0, v119
	v_mov_b32_e32 v118, 0
	s_andn2_b32 s14, s14, exec_lo
	s_and_b32 s13, s13, exec_lo
	s_or_b32 s14, s14, s13
	s_or_b32 exec_lo, exec_lo, s28
	s_and_saveexec_b32 s28, s14
	s_cbranch_execnz .LBB2_255
	s_branch .LBB2_256
.LBB2_474:                              ;   in Loop: Header=BB2_130 Depth=2
	s_or_saveexec_b32 s28, s28
	v_mov_b32_e32 v119, 0x7f800001
	s_xor_b32 exec_lo, exec_lo, s28
	s_cbranch_execz .LBB2_260
.LBB2_475:                              ;   in Loop: Header=BB2_130 Depth=2
	v_cmp_ne_u16_e64 s13, 0, v40
	v_mov_b32_e32 v119, 0
	s_andn2_b32 s14, s14, exec_lo
	s_and_b32 s13, s13, exec_lo
	s_or_b32 s14, s14, s13
	s_or_b32 exec_lo, exec_lo, s28
	s_and_saveexec_b32 s28, s14
	s_cbranch_execnz .LBB2_261
	s_branch .LBB2_262
.LBB2_476:                              ;   in Loop: Header=BB2_130 Depth=2
	s_or_saveexec_b32 s14, s14
	v_mov_b32_e32 v119, 0x7f800001
	s_xor_b32 exec_lo, exec_lo, s14
	s_cbranch_execz .LBB2_274
.LBB2_477:                              ;   in Loop: Header=BB2_130 Depth=2
	v_cmp_ne_u16_sdwa s28, v15, v36 src0_sel:BYTE_3 src1_sel:DWORD
	v_mov_b32_e32 v119, 0
	s_andn2_b32 s13, s13, exec_lo
	s_and_b32 s28, s28, exec_lo
	s_or_b32 s13, s13, s28
	s_or_b32 exec_lo, exec_lo, s14
	s_and_saveexec_b32 s14, s13
	s_cbranch_execnz .LBB2_275
	s_branch .LBB2_276
.LBB2_478:                              ;   in Loop: Header=BB2_130 Depth=2
	s_or_saveexec_b32 s14, s14
	v_mov_b32_e32 v15, 0x7f800001
	s_xor_b32 exec_lo, exec_lo, s14
	s_cbranch_execz .LBB2_280
.LBB2_479:                              ;   in Loop: Header=BB2_130 Depth=2
	v_cmp_ne_u16_sdwa s28, v11, v36 src0_sel:BYTE_3 src1_sel:DWORD
	v_mov_b32_e32 v15, 0
	s_andn2_b32 s13, s13, exec_lo
	s_and_b32 s28, s28, exec_lo
	s_or_b32 s13, s13, s28
	s_or_b32 exec_lo, exec_lo, s14
	s_and_saveexec_b32 s14, s13
	s_cbranch_execnz .LBB2_281
	s_branch .LBB2_282
.LBB2_480:                              ;   in Loop: Header=BB2_130 Depth=2
	s_or_saveexec_b32 s14, s14
	v_mov_b32_e32 v15, 0x7f800001
	s_xor_b32 exec_lo, exec_lo, s14
	s_cbranch_execz .LBB2_294
.LBB2_481:                              ;   in Loop: Header=BB2_130 Depth=2
	v_cmp_ne_u16_sdwa s28, v16, v36 src0_sel:BYTE_0 src1_sel:DWORD
	v_mov_b32_e32 v15, 0
	s_andn2_b32 s13, s13, exec_lo
	s_and_b32 s28, s28, exec_lo
	s_or_b32 s13, s13, s28
	s_or_b32 exec_lo, exec_lo, s14
	s_and_saveexec_b32 s14, s13
	s_cbranch_execnz .LBB2_295
	s_branch .LBB2_296
.LBB2_482:                              ;   in Loop: Header=BB2_130 Depth=2
	s_or_saveexec_b32 s14, s14
	v_mov_b32_e32 v119, 0x7f800001
	s_xor_b32 exec_lo, exec_lo, s14
	s_cbranch_execz .LBB2_300
.LBB2_483:                              ;   in Loop: Header=BB2_130 Depth=2
	v_cmp_ne_u16_sdwa s28, v12, v36 src0_sel:BYTE_0 src1_sel:DWORD
	v_mov_b32_e32 v119, 0
	s_andn2_b32 s13, s13, exec_lo
	s_and_b32 s28, s28, exec_lo
	s_or_b32 s13, s13, s28
	s_or_b32 exec_lo, exec_lo, s14
	s_and_saveexec_b32 s14, s13
	s_cbranch_execnz .LBB2_301
	s_branch .LBB2_302
.LBB2_484:                              ;   in Loop: Header=BB2_130 Depth=2
	s_or_saveexec_b32 s14, s14
	v_mov_b32_e32 v119, 0x7f800001
	s_xor_b32 exec_lo, exec_lo, s14
	s_cbranch_execz .LBB2_314
.LBB2_485:                              ;   in Loop: Header=BB2_130 Depth=2
	v_cmp_ne_u16_sdwa s28, v16, v36 src0_sel:BYTE_1 src1_sel:DWORD
	v_mov_b32_e32 v119, 0
	s_andn2_b32 s13, s13, exec_lo
	s_and_b32 s28, s28, exec_lo
	s_or_b32 s13, s13, s28
	s_or_b32 exec_lo, exec_lo, s14
	s_and_saveexec_b32 s14, s13
	s_cbranch_execnz .LBB2_315
	s_branch .LBB2_316
.LBB2_486:                              ;   in Loop: Header=BB2_130 Depth=2
	s_or_saveexec_b32 s14, s14
	v_mov_b32_e32 v40, 0x7f800001
	s_xor_b32 exec_lo, exec_lo, s14
	s_cbranch_execz .LBB2_320
.LBB2_487:                              ;   in Loop: Header=BB2_130 Depth=2
	v_cmp_ne_u16_sdwa s28, v12, v36 src0_sel:BYTE_1 src1_sel:DWORD
	v_mov_b32_e32 v40, 0
	s_andn2_b32 s13, s13, exec_lo
	s_and_b32 s28, s28, exec_lo
	s_or_b32 s13, s13, s28
	s_or_b32 exec_lo, exec_lo, s14
	s_and_saveexec_b32 s14, s13
	s_cbranch_execnz .LBB2_321
	s_branch .LBB2_322
.LBB2_488:                              ;   in Loop: Header=BB2_130 Depth=2
	s_or_saveexec_b32 s28, s28
	v_mov_b32_e32 v40, 0x7f800001
	s_xor_b32 exec_lo, exec_lo, s28
	s_cbranch_execz .LBB2_334
.LBB2_489:                              ;   in Loop: Header=BB2_130 Depth=2
	v_cmp_ne_u16_e64 s13, 0, v41
	v_mov_b32_e32 v40, 0
	s_andn2_b32 s14, s14, exec_lo
	s_and_b32 s13, s13, exec_lo
	s_or_b32 s14, s14, s13
	s_or_b32 exec_lo, exec_lo, s28
	s_and_saveexec_b32 s28, s14
	s_cbranch_execnz .LBB2_335
	s_branch .LBB2_336
.LBB2_490:                              ;   in Loop: Header=BB2_130 Depth=2
	s_or_saveexec_b32 s28, s28
	v_mov_b32_e32 v41, 0x7f800001
	s_xor_b32 exec_lo, exec_lo, s28
	s_cbranch_execz .LBB2_340
.LBB2_491:                              ;   in Loop: Header=BB2_130 Depth=2
	v_cmp_ne_u16_e64 s13, 0, v42
	v_mov_b32_e32 v41, 0
	s_andn2_b32 s14, s14, exec_lo
	s_and_b32 s13, s13, exec_lo
	s_or_b32 s14, s14, s13
	s_or_b32 exec_lo, exec_lo, s28
	s_and_saveexec_b32 s28, s14
	s_cbranch_execnz .LBB2_341
	s_branch .LBB2_342
.LBB2_492:                              ;   in Loop: Header=BB2_130 Depth=2
	s_or_saveexec_b32 s14, s14
	v_mov_b32_e32 v41, 0x7f800001
	s_xor_b32 exec_lo, exec_lo, s14
	s_cbranch_execz .LBB2_354
.LBB2_493:                              ;   in Loop: Header=BB2_130 Depth=2
	v_cmp_ne_u16_sdwa s28, v16, v36 src0_sel:BYTE_3 src1_sel:DWORD
	v_mov_b32_e32 v41, 0
	s_andn2_b32 s13, s13, exec_lo
	s_and_b32 s28, s28, exec_lo
	s_or_b32 s13, s13, s28
	s_or_b32 exec_lo, exec_lo, s14
	s_and_saveexec_b32 s14, s13
	s_cbranch_execnz .LBB2_355
	s_branch .LBB2_356
.LBB2_494:                              ;   in Loop: Header=BB2_130 Depth=2
	s_or_saveexec_b32 s14, s14
	v_mov_b32_e32 v16, 0x7f800001
	s_xor_b32 exec_lo, exec_lo, s14
	s_cbranch_execz .LBB2_360
.LBB2_495:                              ;   in Loop: Header=BB2_130 Depth=2
	v_cmp_ne_u16_sdwa s28, v12, v36 src0_sel:BYTE_3 src1_sel:DWORD
	v_mov_b32_e32 v16, 0
	s_andn2_b32 s13, s13, exec_lo
	s_and_b32 s28, s28, exec_lo
	s_or_b32 s13, s13, s28
	s_or_b32 exec_lo, exec_lo, s14
	s_and_saveexec_b32 s14, s13
	s_cbranch_execnz .LBB2_361
	s_branch .LBB2_362
.LBB2_496:                              ;   in Loop: Header=BB2_130 Depth=2
	s_or_saveexec_b32 s14, s14
	v_mov_b32_e32 v16, 0x7f800001
	s_xor_b32 exec_lo, exec_lo, s14
	s_cbranch_execz .LBB2_374
.LBB2_497:                              ;   in Loop: Header=BB2_130 Depth=2
	v_cmp_ne_u16_sdwa s28, v17, v36 src0_sel:BYTE_0 src1_sel:DWORD
	v_mov_b32_e32 v16, 0
	s_andn2_b32 s13, s13, exec_lo
	s_and_b32 s28, s28, exec_lo
	s_or_b32 s13, s13, s28
	s_or_b32 exec_lo, exec_lo, s14
	s_and_saveexec_b32 s14, s13
	s_cbranch_execnz .LBB2_375
	s_branch .LBB2_376
.LBB2_498:                              ;   in Loop: Header=BB2_130 Depth=2
	s_or_saveexec_b32 s14, s14
	v_mov_b32_e32 v41, 0x7f800001
	s_xor_b32 exec_lo, exec_lo, s14
	s_cbranch_execz .LBB2_380
.LBB2_499:                              ;   in Loop: Header=BB2_130 Depth=2
	v_cmp_ne_u16_sdwa s28, v13, v36 src0_sel:BYTE_0 src1_sel:DWORD
	v_mov_b32_e32 v41, 0
	s_andn2_b32 s13, s13, exec_lo
	s_and_b32 s28, s28, exec_lo
	s_or_b32 s13, s13, s28
	s_or_b32 exec_lo, exec_lo, s14
	s_and_saveexec_b32 s14, s13
	s_cbranch_execnz .LBB2_381
	s_branch .LBB2_382
.LBB2_500:                              ;   in Loop: Header=BB2_130 Depth=2
	s_or_saveexec_b32 s14, s14
	v_mov_b32_e32 v41, 0x7f800001
	s_xor_b32 exec_lo, exec_lo, s14
	s_cbranch_execz .LBB2_394
.LBB2_501:                              ;   in Loop: Header=BB2_130 Depth=2
	v_cmp_ne_u16_sdwa s28, v17, v36 src0_sel:BYTE_1 src1_sel:DWORD
	v_mov_b32_e32 v41, 0
	s_andn2_b32 s13, s13, exec_lo
	s_and_b32 s28, s28, exec_lo
	s_or_b32 s13, s13, s28
	s_or_b32 exec_lo, exec_lo, s14
	s_and_saveexec_b32 s14, s13
	s_cbranch_execnz .LBB2_395
	s_branch .LBB2_396
.LBB2_502:                              ;   in Loop: Header=BB2_130 Depth=2
	s_or_saveexec_b32 s14, s14
	v_mov_b32_e32 v42, 0x7f800001
	s_xor_b32 exec_lo, exec_lo, s14
	s_cbranch_execz .LBB2_400
.LBB2_503:                              ;   in Loop: Header=BB2_130 Depth=2
	v_cmp_ne_u16_sdwa s28, v13, v36 src0_sel:BYTE_1 src1_sel:DWORD
	v_mov_b32_e32 v42, 0
	s_andn2_b32 s13, s13, exec_lo
	s_and_b32 s28, s28, exec_lo
	s_or_b32 s13, s13, s28
	s_or_b32 exec_lo, exec_lo, s14
	s_and_saveexec_b32 s14, s13
	s_cbranch_execnz .LBB2_401
	s_branch .LBB2_402
.LBB2_504:                              ;   in Loop: Header=BB2_130 Depth=2
	s_or_saveexec_b32 s28, s28
	v_mov_b32_e32 v42, 0x7f800001
	s_xor_b32 exec_lo, exec_lo, s28
	s_cbranch_execz .LBB2_414
.LBB2_505:                              ;   in Loop: Header=BB2_130 Depth=2
	v_cmp_ne_u16_e64 s13, 0, v43
	v_mov_b32_e32 v42, 0
	s_andn2_b32 s14, s14, exec_lo
	s_and_b32 s13, s13, exec_lo
	s_or_b32 s14, s14, s13
	s_or_b32 exec_lo, exec_lo, s28
	s_and_saveexec_b32 s28, s14
	s_cbranch_execnz .LBB2_415
	s_branch .LBB2_416
.LBB2_506:                              ;   in Loop: Header=BB2_130 Depth=2
	s_or_saveexec_b32 s28, s28
	v_mov_b32_e32 v43, 0x7f800001
	s_xor_b32 exec_lo, exec_lo, s28
	s_cbranch_execz .LBB2_420
.LBB2_507:                              ;   in Loop: Header=BB2_130 Depth=2
	v_cmp_ne_u16_e64 s13, 0, v44
	v_mov_b32_e32 v43, 0
	s_andn2_b32 s14, s14, exec_lo
	s_and_b32 s13, s13, exec_lo
	s_or_b32 s14, s14, s13
	s_or_b32 exec_lo, exec_lo, s28
	s_and_saveexec_b32 s28, s14
	s_cbranch_execnz .LBB2_421
	s_branch .LBB2_422
.LBB2_508:                              ;   in Loop: Header=BB2_130 Depth=2
	s_or_saveexec_b32 s14, s14
	v_mov_b32_e32 v43, 0x7f800001
	s_xor_b32 exec_lo, exec_lo, s14
	s_cbranch_execz .LBB2_434
.LBB2_509:                              ;   in Loop: Header=BB2_130 Depth=2
	v_cmp_ne_u16_sdwa s28, v17, v36 src0_sel:BYTE_3 src1_sel:DWORD
	v_mov_b32_e32 v43, 0
	s_andn2_b32 s13, s13, exec_lo
	s_and_b32 s28, s28, exec_lo
	s_or_b32 s13, s13, s28
	s_or_b32 exec_lo, exec_lo, s14
	s_and_saveexec_b32 s14, s13
	s_cbranch_execnz .LBB2_435
	s_branch .LBB2_436
.LBB2_510:                              ;   in Loop: Header=BB2_130 Depth=2
	s_or_saveexec_b32 s14, s14
	v_mov_b32_e32 v17, 0x7f800001
	s_xor_b32 exec_lo, exec_lo, s14
	s_cbranch_execz .LBB2_440
.LBB2_511:                              ;   in Loop: Header=BB2_130 Depth=2
	v_cmp_ne_u16_sdwa s28, v13, v36 src0_sel:BYTE_3 src1_sel:DWORD
	v_mov_b32_e32 v17, 0
	s_andn2_b32 s13, s13, exec_lo
	s_and_b32 s28, s28, exec_lo
	s_or_b32 s13, s13, s28
	s_or_b32 exec_lo, exec_lo, s14
	s_and_saveexec_b32 s14, s13
	s_cbranch_execnz .LBB2_441
	s_branch .LBB2_442
.LBB2_512:                              ;   in Loop: Header=BB2_49 Depth=1
	s_or_b32 exec_lo, exec_lo, s27
.LBB2_513:                              ;   in Loop: Header=BB2_49 Depth=1
	s_or_b32 exec_lo, exec_lo, s26
	v_and_b32_e32 v10, 15, v37
	s_mov_b32 s26, 0
	s_mov_b32 s14, exec_lo
                                        ; implicit-def: $vgpr16
	v_cndmask_b32_e32 v112, v103, v10, vcc_lo
	v_mov_b32_e32 v103, 0
	v_cmpx_ne_u32_e32 0, v112
	s_cbranch_execz .LBB2_903
; %bb.514:                              ;   in Loop: Header=BB2_49 Depth=1
	v_cmp_lt_i32_e64 s13, 0, v113
	s_mov_b32 s26, exec_lo
	v_cndmask_b32_e64 v10, 0, v71, s13
	v_sub_nc_u32_e32 v10, v10, v113
	v_lshl_add_u32 v10, v10, 5, v82
	v_ashrrev_i32_e32 v11, 31, v10
	v_lshrrev_b32_e32 v11, 27, v11
	v_add_nc_u32_e32 v11, v10, v11
	v_and_b32_e32 v12, 0xffffffe0, v11
	v_ashrrev_i32_e32 v11, 5, v11
	v_sub_nc_u32_e32 v113, v10, v12
	v_and_b32_e32 v12, 0x1f0, v37
	v_sub_nc_u32_e32 v114, 0, v11
	v_lshlrev_b32_e32 v10, 4, v113
	v_cndmask_b32_e32 v12, 0, v12, vcc_lo
	v_lshl_add_u32 v10, v11, 9, v10
	v_and_or_b32 v103, 0x3ffffe00, v37, v12
	v_sub_nc_u32_e32 v115, v112, v10
	v_cmpx_lt_i32_e32 15, v115
	s_cbranch_execz .LBB2_902
; %bb.515:                              ;   in Loop: Header=BB2_49 Depth=1
	s_trap 2
	ds_read_b64 v[11:12], v0
	v_add_nc_u32_e32 v10, v10, v103
	s_mov_b32 s27, 0
	v_ashrrev_i32_e32 v13, 31, v10
	v_add_co_u32 v54, vcc_lo, v10, v50
	v_add_co_ci_u32_e64 v55, null, v13, v51, vcc_lo
	s_waitcnt lgkmcnt(0)
	v_add_co_u32 v64, vcc_lo, v11, v10
	v_add_co_ci_u32_e64 v65, null, v12, v13, vcc_lo
	v_add_co_u32 v66, vcc_lo, v10, v52
	v_add_co_ci_u32_e64 v67, null, v13, v53, vcc_lo
	s_branch .LBB2_519
.LBB2_516:                              ;   in Loop: Header=BB2_519 Depth=2
	s_or_b32 exec_lo, exec_lo, s13
	v_lshrrev_b32_e32 v45, 20, v45
	v_min_i32_e32 v46, 15, v17
	v_cmp_gt_i32_e32 vcc_lo, 16, v17
	v_and_b32_sdwa v13, v13, v98 dst_sel:DWORD dst_unused:UNUSED_PAD src0_sel:BYTE_3 src1_sel:DWORD
	v_lshlrev_b32_e32 v46, 3, v46
	v_cndmask_b32_e32 v45, 7, v45, vcc_lo
	v_and_b32_e32 v46, 0xf8, v46
	v_and_b32_e32 v47, 7, v45
	v_or_b32_e32 v17, v17, v45
	v_or3_b32 v13, v13, v46, v47
	v_cmp_ne_u32_e32 vcc_lo, 0, v17
	v_lshlrev_b32_e32 v13, 8, v13
	v_cndmask_b32_e32 v17, 0, v13, vcc_lo
.LBB2_517:                              ;   in Loop: Header=BB2_519 Depth=2
	s_or_b32 exec_lo, exec_lo, s29
.LBB2_518:                              ;   in Loop: Header=BB2_519 Depth=2
	s_or_b32 exec_lo, exec_lo, s28
	v_or_b32_sdwa v11, v11, v40 dst_sel:WORD_1 dst_unused:UNUSED_PAD src0_sel:DWORD src1_sel:DWORD
	v_or_b32_sdwa v10, v10, v118 dst_sel:WORD_1 dst_unused:UNUSED_PAD src0_sel:DWORD src1_sel:DWORD
	;; [unrolled: 1-line block ×4, first 2 shown]
	v_sub_nc_u32_e32 v115, v115, v84
	v_or3_b32 v11, v119, v14, v11
	v_or3_b32 v10, v117, v116, v10
	;; [unrolled: 1-line block ×4, first 2 shown]
	v_add_co_u32 v54, vcc_lo, v54, v84
	v_add_co_ci_u32_e64 v55, null, 0, v55, vcc_lo
	v_add_co_u32 v64, vcc_lo, v64, v84
	global_store_dwordx4 v[66:67], v[10:13], off glc slc
	v_add_co_ci_u32_e64 v65, null, 0, v65, vcc_lo
	v_cmp_gt_i32_e32 vcc_lo, 16, v115
	v_add_co_u32 v66, s13, v66, v84
	v_add_co_ci_u32_e64 v67, null, 0, v67, s13
	v_sub_nc_u32_e32 v114, v114, v71
	s_or_b32 s27, vcc_lo, s27
	s_andn2_b32 exec_lo, exec_lo, s27
	s_cbranch_execz .LBB2_901
.LBB2_519:                              ;   Parent Loop BB2_49 Depth=1
                                        ; =>  This Inner Loop Header: Depth=2
	global_load_dwordx4 v[14:17], v[54:55], off slc
	global_load_dwordx4 v[10:13], v[64:65], off slc
	s_mov_b32 s13, 0
	s_waitcnt vmcnt(1)
	v_cmp_gt_i16_sdwa s28, v14, v97 src0_sel:BYTE_0 src1_sel:DWORD
	s_and_saveexec_b32 s29, s28
	s_xor_b32 s28, exec_lo, s29
	s_cbranch_execz .LBB2_837
; %bb.520:                              ;   in Loop: Header=BB2_519 Depth=2
	v_cmp_eq_u16_sdwa s40, v14, v98 src0_sel:BYTE_0 src1_sel:DWORD
	s_mov_b32 s13, -1
	s_and_saveexec_b32 s29, s40
; %bb.521:                              ;   in Loop: Header=BB2_519 Depth=2
	s_xor_b32 s13, exec_lo, -1
; %bb.522:                              ;   in Loop: Header=BB2_519 Depth=2
	s_or_b32 exec_lo, exec_lo, s29
	s_and_b32 s13, s13, exec_lo
	s_or_saveexec_b32 s28, s28
	v_mov_b32_e32 v116, 0x7f800001
	s_xor_b32 exec_lo, exec_lo, s28
	s_cbranch_execnz .LBB2_838
.LBB2_523:                              ;   in Loop: Header=BB2_519 Depth=2
	s_or_b32 exec_lo, exec_lo, s28
	s_and_saveexec_b32 s28, s13
	s_cbranch_execz .LBB2_525
.LBB2_524:                              ;   in Loop: Header=BB2_519 Depth=2
	v_and_b32_e32 v116, 7, v14
	v_bfe_u32 v119, v14, 3, 4
	v_lshlrev_b32_e32 v40, 24, v14
	v_ffbh_u32_e32 v117, v116
	v_cmp_eq_u32_e32 vcc_lo, 0, v119
	v_min_u32_e32 v117, 32, v117
	v_subrev_nc_u32_e32 v118, 28, v117
	v_sub_nc_u32_e32 v117, 29, v117
	v_lshlrev_b32_e32 v118, v118, v14
	v_cndmask_b32_e32 v117, v119, v117, vcc_lo
	v_and_b32_e32 v118, 7, v118
	v_lshl_add_u32 v117, v117, 23, 0x3b800000
	v_cndmask_b32_e32 v116, v116, v118, vcc_lo
	v_and_b32_e32 v118, 0x80000000, v40
	v_lshlrev_b32_e32 v116, 20, v116
	v_or3_b32 v116, v118, v117, v116
.LBB2_525:                              ;   in Loop: Header=BB2_519 Depth=2
	s_or_b32 exec_lo, exec_lo, s28
	s_waitcnt vmcnt(0)
	v_cmp_gt_i16_sdwa s28, v10, v97 src0_sel:BYTE_0 src1_sel:DWORD
	s_mov_b32 s13, 0
	s_and_saveexec_b32 s29, s28
	s_xor_b32 s28, exec_lo, s29
	s_cbranch_execz .LBB2_839
; %bb.526:                              ;   in Loop: Header=BB2_519 Depth=2
	v_cmp_eq_u16_sdwa s40, v10, v98 src0_sel:BYTE_0 src1_sel:DWORD
	s_mov_b32 s13, -1
	s_and_saveexec_b32 s29, s40
; %bb.527:                              ;   in Loop: Header=BB2_519 Depth=2
	s_xor_b32 s13, exec_lo, -1
; %bb.528:                              ;   in Loop: Header=BB2_519 Depth=2
	s_or_b32 exec_lo, exec_lo, s29
	s_and_b32 s13, s13, exec_lo
	s_or_saveexec_b32 s28, s28
	v_mov_b32_e32 v117, 0x7f800001
	s_xor_b32 exec_lo, exec_lo, s28
	s_cbranch_execnz .LBB2_840
.LBB2_529:                              ;   in Loop: Header=BB2_519 Depth=2
	s_or_b32 exec_lo, exec_lo, s28
	s_and_saveexec_b32 s28, s13
	s_cbranch_execz .LBB2_531
.LBB2_530:                              ;   in Loop: Header=BB2_519 Depth=2
	v_and_b32_e32 v117, 7, v10
	v_bfe_u32 v40, v10, 3, 4
	v_lshlrev_b32_e32 v41, 24, v10
	v_ffbh_u32_e32 v118, v117
	v_cmp_eq_u32_e32 vcc_lo, 0, v40
	v_min_u32_e32 v118, 32, v118
	v_subrev_nc_u32_e32 v119, 28, v118
	v_sub_nc_u32_e32 v118, 29, v118
	v_lshlrev_b32_e32 v119, v119, v10
	v_cndmask_b32_e32 v118, v40, v118, vcc_lo
	v_and_b32_e32 v119, 7, v119
	v_lshl_add_u32 v118, v118, 23, 0x3b800000
	v_cndmask_b32_e32 v117, v117, v119, vcc_lo
	v_and_b32_e32 v119, 0x80000000, v41
	v_lshlrev_b32_e32 v117, 20, v117
	v_or3_b32 v117, v119, v118, v117
.LBB2_531:                              ;   in Loop: Header=BB2_519 Depth=2
	s_or_b32 exec_lo, exec_lo, s28
	v_add_f32_e32 v117, v116, v117
	v_and_b32_e32 v116, 0x7f800000, v117
	v_cmp_ne_u32_e32 vcc_lo, 0x7f800000, v116
	v_mov_b32_e32 v116, 0x80
	s_and_saveexec_b32 s28, vcc_lo
	s_cbranch_execz .LBB2_539
; %bb.532:                              ;   in Loop: Header=BB2_519 Depth=2
	v_mov_b32_e32 v116, 0
	s_mov_b32 s29, exec_lo
	v_cmpx_ne_u32_e32 0, v117
	s_cbranch_execz .LBB2_538
; %bb.533:                              ;   in Loop: Header=BB2_519 Depth=2
	v_bfe_u32 v116, v117, 23, 8
	v_and_b32_e32 v118, 0x7fffff, v117
	v_sub_nc_u32_e32 v119, 0x78, v116
	v_cmp_gt_u32_e32 vcc_lo, 0x79, v116
	v_or_b32_e32 v40, 0x800000, v118
	v_cndmask_b32_e32 v119, 0, v119, vcc_lo
	v_cmp_eq_u32_e32 vcc_lo, 0, v116
	v_add_nc_u32_e32 v116, 0xffffff89, v116
	v_cndmask_b32_e64 v119, v119, 0x77, vcc_lo
	v_cndmask_b32_e32 v118, v40, v118, vcc_lo
	v_cndmask_b32_e64 v116, v116, 0xffffff8a, vcc_lo
	v_lshl_add_u32 v40, 0x100000, v119, -1
	v_lshrrev_b32_e32 v41, v119, v118
	v_lshlrev_b32_e64 v43, v119, 0x80000
	v_add_nc_u32_e32 v119, v119, v116
	v_and_b32_e32 v118, v40, v118
	v_bfe_u32 v42, v41, 20, 1
	v_cmp_eq_u32_e64 s13, v118, v43
	v_add_nc_u32_e32 v40, -1, v42
	v_cndmask_b32_e64 v118, 0, v40, s13
	v_lshrrev_b32_e32 v40, 23, v41
	s_mov_b32 s13, exec_lo
	v_add_nc_u32_e32 v118, v118, v41
	v_xor_b32_e32 v40, 1, v40
	v_and_b32_e32 v116, 0xfffff, v118
	v_add_nc_u32_e32 v118, v116, v41
                                        ; implicit-def: $vgpr116
	v_cmpx_ne_u32_e64 v119, v40
	s_xor_b32 s13, exec_lo, s13
; %bb.534:                              ;   in Loop: Header=BB2_519 Depth=2
	v_cmp_lt_u32_e32 vcc_lo, 0xffffff, v118
	v_sub_nc_u32_e32 v116, v119, v40
	v_cndmask_b32_e64 v119, 0, 1, vcc_lo
	v_add_co_ci_u32_e64 v116, null, 0, v116, vcc_lo
	v_lshrrev_b32_e32 v118, v119, v118
; %bb.535:                              ;   in Loop: Header=BB2_519 Depth=2
	s_andn2_saveexec_b32 s13, s13
; %bb.536:                              ;   in Loop: Header=BB2_519 Depth=2
	v_bfe_u32 v116, v118, 23, 1
; %bb.537:                              ;   in Loop: Header=BB2_519 Depth=2
	s_or_b32 exec_lo, exec_lo, s13
	v_lshrrev_b32_e32 v118, 20, v118
	v_min_i32_e32 v119, 15, v116
	v_cmp_gt_i32_e32 vcc_lo, 16, v116
	v_and_b32_sdwa v117, v117, v98 dst_sel:DWORD dst_unused:UNUSED_PAD src0_sel:BYTE_3 src1_sel:DWORD
	v_lshlrev_b32_e32 v119, 3, v119
	v_cndmask_b32_e32 v118, 7, v118, vcc_lo
	v_and_b32_e32 v119, 0xf8, v119
	v_and_b32_e32 v40, 7, v118
	v_or_b32_e32 v116, v116, v118
	v_or3_b32 v117, v119, v117, v40
	v_cmp_ne_u32_e32 vcc_lo, 0, v116
	v_cndmask_b32_e32 v116, 0, v117, vcc_lo
.LBB2_538:                              ;   in Loop: Header=BB2_519 Depth=2
	s_or_b32 exec_lo, exec_lo, s29
.LBB2_539:                              ;   in Loop: Header=BB2_519 Depth=2
	s_or_b32 exec_lo, exec_lo, s28
	v_cmp_gt_i16_sdwa s28, v14, v97 src0_sel:BYTE_1 src1_sel:DWORD
	s_mov_b32 s13, 0
	s_and_saveexec_b32 s29, s28
	s_xor_b32 s28, exec_lo, s29
	s_cbranch_execz .LBB2_841
; %bb.540:                              ;   in Loop: Header=BB2_519 Depth=2
	v_cmp_eq_u16_sdwa s40, v14, v98 src0_sel:BYTE_1 src1_sel:DWORD
	s_mov_b32 s13, -1
	s_and_saveexec_b32 s29, s40
; %bb.541:                              ;   in Loop: Header=BB2_519 Depth=2
	s_xor_b32 s13, exec_lo, -1
; %bb.542:                              ;   in Loop: Header=BB2_519 Depth=2
	s_or_b32 exec_lo, exec_lo, s29
	s_and_b32 s13, s13, exec_lo
	s_or_saveexec_b32 s28, s28
	v_mov_b32_e32 v117, 0x7f800001
	s_xor_b32 exec_lo, exec_lo, s28
	s_cbranch_execnz .LBB2_842
.LBB2_543:                              ;   in Loop: Header=BB2_519 Depth=2
	s_or_b32 exec_lo, exec_lo, s28
	s_and_saveexec_b32 s28, s13
	s_cbranch_execz .LBB2_545
.LBB2_544:                              ;   in Loop: Header=BB2_519 Depth=2
	v_and_b32_sdwa v117, v99, v14 dst_sel:DWORD dst_unused:UNUSED_PAD src0_sel:DWORD src1_sel:BYTE_1
	v_and_b32_e32 v118, 7, v117
	v_bfe_u32 v41, v117, 3, 4
	v_ffbh_u32_e32 v119, v118
	v_cmp_eq_u32_e32 vcc_lo, 0, v41
	v_min_u32_e32 v119, 32, v119
	v_subrev_nc_u32_e32 v40, 28, v119
	v_sub_nc_u32_e32 v119, 29, v119
	v_lshlrev_b32_e32 v117, v40, v117
	v_lshlrev_b32_sdwa v40, v100, v14 dst_sel:DWORD dst_unused:UNUSED_PAD src0_sel:DWORD src1_sel:BYTE_1
	v_cndmask_b32_e32 v119, v41, v119, vcc_lo
	v_and_b32_e32 v117, 7, v117
	v_lshl_add_u32 v119, v119, 23, 0x3b800000
	v_cndmask_b32_e32 v117, v118, v117, vcc_lo
	v_and_b32_e32 v118, 0x80000000, v40
	v_lshlrev_b32_e32 v117, 20, v117
	v_or3_b32 v117, v118, v119, v117
.LBB2_545:                              ;   in Loop: Header=BB2_519 Depth=2
	s_or_b32 exec_lo, exec_lo, s28
	v_cmp_gt_i16_sdwa s28, v10, v97 src0_sel:BYTE_1 src1_sel:DWORD
	s_mov_b32 s13, 0
	s_and_saveexec_b32 s29, s28
	s_xor_b32 s28, exec_lo, s29
	s_cbranch_execz .LBB2_843
; %bb.546:                              ;   in Loop: Header=BB2_519 Depth=2
	v_cmp_eq_u16_sdwa s40, v10, v98 src0_sel:BYTE_1 src1_sel:DWORD
	s_mov_b32 s13, -1
	s_and_saveexec_b32 s29, s40
; %bb.547:                              ;   in Loop: Header=BB2_519 Depth=2
	s_xor_b32 s13, exec_lo, -1
; %bb.548:                              ;   in Loop: Header=BB2_519 Depth=2
	s_or_b32 exec_lo, exec_lo, s29
	s_and_b32 s13, s13, exec_lo
	s_or_saveexec_b32 s28, s28
	v_mov_b32_e32 v118, 0x7f800001
	s_xor_b32 exec_lo, exec_lo, s28
	s_cbranch_execnz .LBB2_844
.LBB2_549:                              ;   in Loop: Header=BB2_519 Depth=2
	s_or_b32 exec_lo, exec_lo, s28
	s_and_saveexec_b32 s28, s13
	s_cbranch_execz .LBB2_551
.LBB2_550:                              ;   in Loop: Header=BB2_519 Depth=2
	v_and_b32_sdwa v118, v99, v10 dst_sel:DWORD dst_unused:UNUSED_PAD src0_sel:DWORD src1_sel:BYTE_1
	v_and_b32_e32 v119, 7, v118
	v_bfe_u32 v42, v118, 3, 4
	v_ffbh_u32_e32 v40, v119
	v_cmp_eq_u32_e32 vcc_lo, 0, v42
	v_min_u32_e32 v40, 32, v40
	v_subrev_nc_u32_e32 v41, 28, v40
	v_sub_nc_u32_e32 v40, 29, v40
	v_lshlrev_b32_e32 v118, v41, v118
	v_lshlrev_b32_sdwa v41, v100, v10 dst_sel:DWORD dst_unused:UNUSED_PAD src0_sel:DWORD src1_sel:BYTE_1
	v_cndmask_b32_e32 v40, v42, v40, vcc_lo
	v_and_b32_e32 v118, 7, v118
	v_lshl_add_u32 v40, v40, 23, 0x3b800000
	v_cndmask_b32_e32 v118, v119, v118, vcc_lo
	v_and_b32_e32 v119, 0x80000000, v41
	v_lshlrev_b32_e32 v118, 20, v118
	v_or3_b32 v118, v119, v40, v118
.LBB2_551:                              ;   in Loop: Header=BB2_519 Depth=2
	s_or_b32 exec_lo, exec_lo, s28
	v_add_f32_e32 v118, v117, v118
	v_and_b32_e32 v117, 0x7f800000, v118
	v_cmp_ne_u32_e32 vcc_lo, 0x7f800000, v117
	v_mov_b32_e32 v117, 0x8000
	s_and_saveexec_b32 s28, vcc_lo
	s_cbranch_execz .LBB2_559
; %bb.552:                              ;   in Loop: Header=BB2_519 Depth=2
	v_mov_b32_e32 v117, 0
	s_mov_b32 s29, exec_lo
	v_cmpx_ne_u32_e32 0, v118
	s_cbranch_execz .LBB2_558
; %bb.553:                              ;   in Loop: Header=BB2_519 Depth=2
	v_bfe_u32 v117, v118, 23, 8
	v_and_b32_e32 v119, 0x7fffff, v118
	v_sub_nc_u32_e32 v40, 0x78, v117
	v_cmp_gt_u32_e32 vcc_lo, 0x79, v117
	v_or_b32_e32 v41, 0x800000, v119
	v_cndmask_b32_e32 v40, 0, v40, vcc_lo
	v_cmp_eq_u32_e32 vcc_lo, 0, v117
	v_add_nc_u32_e32 v117, 0xffffff89, v117
	v_cndmask_b32_e64 v40, v40, 0x77, vcc_lo
	v_cndmask_b32_e32 v119, v41, v119, vcc_lo
	v_cndmask_b32_e64 v117, v117, 0xffffff8a, vcc_lo
	v_lshl_add_u32 v41, 0x100000, v40, -1
	v_lshrrev_b32_e32 v42, v40, v119
	v_lshlrev_b32_e64 v44, v40, 0x80000
	v_add_nc_u32_e32 v40, v40, v117
	v_and_b32_e32 v119, v41, v119
	v_bfe_u32 v43, v42, 20, 1
	v_cmp_eq_u32_e64 s13, v119, v44
	v_add_nc_u32_e32 v41, -1, v43
	v_cndmask_b32_e64 v119, 0, v41, s13
	v_lshrrev_b32_e32 v41, 23, v42
	s_mov_b32 s13, exec_lo
	v_add_nc_u32_e32 v119, v119, v42
	v_xor_b32_e32 v41, 1, v41
	v_and_b32_e32 v117, 0xfffff, v119
	v_add_nc_u32_e32 v119, v117, v42
                                        ; implicit-def: $vgpr117
	v_cmpx_ne_u32_e64 v40, v41
	s_xor_b32 s13, exec_lo, s13
; %bb.554:                              ;   in Loop: Header=BB2_519 Depth=2
	v_cmp_lt_u32_e32 vcc_lo, 0xffffff, v119
	v_sub_nc_u32_e32 v117, v40, v41
	v_cndmask_b32_e64 v40, 0, 1, vcc_lo
	v_add_co_ci_u32_e64 v117, null, 0, v117, vcc_lo
	v_lshrrev_b32_e32 v119, v40, v119
; %bb.555:                              ;   in Loop: Header=BB2_519 Depth=2
	s_andn2_saveexec_b32 s13, s13
; %bb.556:                              ;   in Loop: Header=BB2_519 Depth=2
	v_bfe_u32 v117, v119, 23, 1
; %bb.557:                              ;   in Loop: Header=BB2_519 Depth=2
	s_or_b32 exec_lo, exec_lo, s13
	v_lshrrev_b32_e32 v119, 20, v119
	v_min_i32_e32 v40, 15, v117
	v_cmp_gt_i32_e32 vcc_lo, 16, v117
	v_and_b32_sdwa v118, v118, v98 dst_sel:DWORD dst_unused:UNUSED_PAD src0_sel:BYTE_3 src1_sel:DWORD
	v_lshlrev_b32_e32 v40, 3, v40
	v_cndmask_b32_e32 v119, 7, v119, vcc_lo
	v_and_b32_e32 v40, 0xf8, v40
	v_and_b32_e32 v41, 7, v119
	v_or_b32_e32 v117, v117, v119
	v_or3_b32 v118, v118, v40, v41
	v_cmp_ne_u32_e32 vcc_lo, 0, v117
	v_lshlrev_b32_e32 v118, 8, v118
	v_cndmask_b32_e32 v117, 0, v118, vcc_lo
.LBB2_558:                              ;   in Loop: Header=BB2_519 Depth=2
	s_or_b32 exec_lo, exec_lo, s29
.LBB2_559:                              ;   in Loop: Header=BB2_519 Depth=2
	s_or_b32 exec_lo, exec_lo, s28
	v_and_b32_sdwa v119, v14, v101 dst_sel:DWORD dst_unused:UNUSED_PAD src0_sel:WORD_1 src1_sel:DWORD
	s_mov_b32 s13, 0
	s_mov_b32 s28, exec_lo
	v_cmpx_lt_i16_e32 0x7f, v119
	s_xor_b32 s28, exec_lo, s28
	s_cbranch_execz .LBB2_845
; %bb.560:                              ;   in Loop: Header=BB2_519 Depth=2
	s_mov_b32 s13, -1
	s_mov_b32 s29, exec_lo
	v_cmpx_eq_u16_e32 0x80, v119
; %bb.561:                              ;   in Loop: Header=BB2_519 Depth=2
	s_xor_b32 s13, exec_lo, -1
; %bb.562:                              ;   in Loop: Header=BB2_519 Depth=2
	s_or_b32 exec_lo, exec_lo, s29
	s_and_b32 s13, s13, exec_lo
                                        ; implicit-def: $vgpr119
	s_or_saveexec_b32 s28, s28
	v_mov_b32_e32 v118, 0x7f800001
	s_xor_b32 exec_lo, exec_lo, s28
	s_cbranch_execnz .LBB2_846
.LBB2_563:                              ;   in Loop: Header=BB2_519 Depth=2
	s_or_b32 exec_lo, exec_lo, s28
	s_and_saveexec_b32 s28, s13
	s_cbranch_execz .LBB2_565
.LBB2_564:                              ;   in Loop: Header=BB2_519 Depth=2
	v_bfe_u32 v118, v14, 16, 3
	v_bfe_u32 v41, v14, 19, 4
	v_lshlrev_b32_e32 v42, 8, v14
	v_ffbh_u32_e32 v119, v118
	v_cmp_eq_u32_e32 vcc_lo, 0, v41
	v_min_u32_e32 v119, 32, v119
	v_subrev_nc_u32_e32 v40, 28, v119
	v_sub_nc_u32_e32 v119, 29, v119
	v_lshlrev_b32_sdwa v40, v40, v14 dst_sel:DWORD dst_unused:UNUSED_PAD src0_sel:DWORD src1_sel:WORD_1
	v_cndmask_b32_e32 v119, v41, v119, vcc_lo
	v_and_b32_e32 v40, 7, v40
	v_lshl_add_u32 v119, v119, 23, 0x3b800000
	v_cndmask_b32_e32 v118, v118, v40, vcc_lo
	v_and_b32_e32 v40, 0x80000000, v42
	v_lshlrev_b32_e32 v118, 20, v118
	v_or3_b32 v118, v40, v119, v118
.LBB2_565:                              ;   in Loop: Header=BB2_519 Depth=2
	s_or_b32 exec_lo, exec_lo, s28
	v_and_b32_sdwa v40, v10, v101 dst_sel:DWORD dst_unused:UNUSED_PAD src0_sel:WORD_1 src1_sel:DWORD
	s_mov_b32 s13, 0
	s_mov_b32 s28, exec_lo
	v_cmpx_lt_i16_e32 0x7f, v40
	s_xor_b32 s28, exec_lo, s28
	s_cbranch_execz .LBB2_847
; %bb.566:                              ;   in Loop: Header=BB2_519 Depth=2
	s_mov_b32 s13, -1
	s_mov_b32 s29, exec_lo
	v_cmpx_eq_u16_e32 0x80, v40
; %bb.567:                              ;   in Loop: Header=BB2_519 Depth=2
	s_xor_b32 s13, exec_lo, -1
; %bb.568:                              ;   in Loop: Header=BB2_519 Depth=2
	s_or_b32 exec_lo, exec_lo, s29
	s_and_b32 s13, s13, exec_lo
                                        ; implicit-def: $vgpr40
	s_or_saveexec_b32 s28, s28
	v_mov_b32_e32 v119, 0x7f800001
	s_xor_b32 exec_lo, exec_lo, s28
	s_cbranch_execnz .LBB2_848
.LBB2_569:                              ;   in Loop: Header=BB2_519 Depth=2
	s_or_b32 exec_lo, exec_lo, s28
	s_and_saveexec_b32 s28, s13
	s_cbranch_execz .LBB2_571
.LBB2_570:                              ;   in Loop: Header=BB2_519 Depth=2
	v_and_b32_sdwa v119, v10, v102 dst_sel:DWORD dst_unused:UNUSED_PAD src0_sel:WORD_1 src1_sel:DWORD
	v_bfe_u32 v42, v10, 19, 4
	v_lshlrev_b32_sdwa v43, v100, v10 dst_sel:DWORD dst_unused:UNUSED_PAD src0_sel:DWORD src1_sel:WORD_1
	v_ffbh_u32_e32 v40, v119
	v_cmp_eq_u32_e32 vcc_lo, 0, v42
	v_min_u32_e32 v40, 32, v40
	v_subrev_nc_u32_e32 v41, 28, v40
	v_sub_nc_u32_e32 v40, 29, v40
	v_lshlrev_b32_sdwa v41, v41, v10 dst_sel:DWORD dst_unused:UNUSED_PAD src0_sel:DWORD src1_sel:WORD_1
	v_cndmask_b32_e32 v40, v42, v40, vcc_lo
	v_and_b32_e32 v41, 7, v41
	v_lshl_add_u32 v40, v40, 23, 0x3b800000
	v_cndmask_b32_e32 v119, v119, v41, vcc_lo
	v_and_b32_e32 v41, 0x80000000, v43
	v_lshlrev_b32_e32 v119, 20, v119
	v_or3_b32 v119, v41, v40, v119
.LBB2_571:                              ;   in Loop: Header=BB2_519 Depth=2
	s_or_b32 exec_lo, exec_lo, s28
	v_add_f32_e32 v119, v118, v119
	v_and_b32_e32 v118, 0x7f800000, v119
	v_cmp_ne_u32_e32 vcc_lo, 0x7f800000, v118
	v_mov_b32_e32 v118, 0x80
	s_and_saveexec_b32 s28, vcc_lo
	s_cbranch_execz .LBB2_579
; %bb.572:                              ;   in Loop: Header=BB2_519 Depth=2
	v_mov_b32_e32 v118, 0
	s_mov_b32 s29, exec_lo
	v_cmpx_ne_u32_e32 0, v119
	s_cbranch_execz .LBB2_578
; %bb.573:                              ;   in Loop: Header=BB2_519 Depth=2
	v_bfe_u32 v118, v119, 23, 8
	v_and_b32_e32 v40, 0x7fffff, v119
	v_sub_nc_u32_e32 v41, 0x78, v118
	v_cmp_gt_u32_e32 vcc_lo, 0x79, v118
	v_or_b32_e32 v42, 0x800000, v40
	v_cndmask_b32_e32 v41, 0, v41, vcc_lo
	v_cmp_eq_u32_e32 vcc_lo, 0, v118
	v_add_nc_u32_e32 v118, 0xffffff89, v118
	v_cndmask_b32_e64 v41, v41, 0x77, vcc_lo
	v_cndmask_b32_e32 v40, v42, v40, vcc_lo
	v_cndmask_b32_e64 v118, v118, 0xffffff8a, vcc_lo
	v_lshl_add_u32 v42, 0x100000, v41, -1
	v_lshrrev_b32_e32 v43, v41, v40
	v_lshlrev_b32_e64 v45, v41, 0x80000
	v_add_nc_u32_e32 v41, v41, v118
	v_and_b32_e32 v40, v42, v40
	v_bfe_u32 v44, v43, 20, 1
	v_cmp_eq_u32_e64 s13, v40, v45
	v_add_nc_u32_e32 v42, -1, v44
	v_cndmask_b32_e64 v40, 0, v42, s13
	v_lshrrev_b32_e32 v42, 23, v43
	s_mov_b32 s13, exec_lo
	v_add_nc_u32_e32 v40, v40, v43
	v_xor_b32_e32 v42, 1, v42
	v_and_b32_e32 v118, 0xfffff, v40
	v_add_nc_u32_e32 v40, v118, v43
                                        ; implicit-def: $vgpr118
	v_cmpx_ne_u32_e64 v41, v42
	s_xor_b32 s13, exec_lo, s13
; %bb.574:                              ;   in Loop: Header=BB2_519 Depth=2
	v_cmp_lt_u32_e32 vcc_lo, 0xffffff, v40
	v_sub_nc_u32_e32 v118, v41, v42
	v_cndmask_b32_e64 v41, 0, 1, vcc_lo
	v_add_co_ci_u32_e64 v118, null, 0, v118, vcc_lo
	v_lshrrev_b32_e32 v40, v41, v40
; %bb.575:                              ;   in Loop: Header=BB2_519 Depth=2
	s_andn2_saveexec_b32 s13, s13
; %bb.576:                              ;   in Loop: Header=BB2_519 Depth=2
	v_bfe_u32 v118, v40, 23, 1
; %bb.577:                              ;   in Loop: Header=BB2_519 Depth=2
	s_or_b32 exec_lo, exec_lo, s13
	v_lshrrev_b32_e32 v40, 20, v40
	v_min_i32_e32 v41, 15, v118
	v_cmp_gt_i32_e32 vcc_lo, 16, v118
	v_and_b32_sdwa v119, v119, v98 dst_sel:DWORD dst_unused:UNUSED_PAD src0_sel:BYTE_3 src1_sel:DWORD
	v_lshlrev_b32_e32 v41, 3, v41
	v_cndmask_b32_e32 v40, 7, v40, vcc_lo
	v_and_b32_e32 v41, 0xf8, v41
	v_and_b32_e32 v42, 7, v40
	v_or_b32_e32 v118, v118, v40
	v_or3_b32 v119, v41, v119, v42
	v_cmp_ne_u32_e32 vcc_lo, 0, v118
	v_cndmask_b32_e32 v118, 0, v119, vcc_lo
.LBB2_578:                              ;   in Loop: Header=BB2_519 Depth=2
	s_or_b32 exec_lo, exec_lo, s29
.LBB2_579:                              ;   in Loop: Header=BB2_519 Depth=2
	s_or_b32 exec_lo, exec_lo, s28
	v_cmp_gt_i16_sdwa s28, v14, v97 src0_sel:BYTE_3 src1_sel:DWORD
	s_mov_b32 s13, 0
	s_and_saveexec_b32 s29, s28
	s_xor_b32 s28, exec_lo, s29
	s_cbranch_execz .LBB2_849
; %bb.580:                              ;   in Loop: Header=BB2_519 Depth=2
	v_cmp_eq_u16_sdwa s40, v14, v98 src0_sel:BYTE_3 src1_sel:DWORD
	s_mov_b32 s13, -1
	s_and_saveexec_b32 s29, s40
; %bb.581:                              ;   in Loop: Header=BB2_519 Depth=2
	s_xor_b32 s13, exec_lo, -1
; %bb.582:                              ;   in Loop: Header=BB2_519 Depth=2
	s_or_b32 exec_lo, exec_lo, s29
	s_and_b32 s13, s13, exec_lo
	s_or_saveexec_b32 s28, s28
	v_mov_b32_e32 v119, 0x7f800001
	s_xor_b32 exec_lo, exec_lo, s28
	s_cbranch_execnz .LBB2_850
.LBB2_583:                              ;   in Loop: Header=BB2_519 Depth=2
	s_or_b32 exec_lo, exec_lo, s28
	s_and_saveexec_b32 s28, s13
	s_cbranch_execz .LBB2_585
.LBB2_584:                              ;   in Loop: Header=BB2_519 Depth=2
	v_bfe_u32 v119, v14, 24, 3
	v_bfe_u32 v42, v14, 27, 4
	v_ffbh_u32_e32 v40, v119
	v_cmp_eq_u32_e32 vcc_lo, 0, v42
	v_min_u32_e32 v40, 32, v40
	v_subrev_nc_u32_e32 v41, 28, v40
	v_sub_nc_u32_e32 v40, 29, v40
	v_lshlrev_b32_sdwa v41, v41, v14 dst_sel:DWORD dst_unused:UNUSED_PAD src0_sel:DWORD src1_sel:BYTE_3
	v_cndmask_b32_e32 v40, v42, v40, vcc_lo
	v_and_b32_e32 v14, 0x80000000, v14
	v_and_b32_e32 v41, 7, v41
	v_lshl_add_u32 v40, v40, 23, 0x3b800000
	v_cndmask_b32_e32 v119, v119, v41, vcc_lo
	v_lshlrev_b32_e32 v119, 20, v119
	v_or3_b32 v119, v14, v40, v119
.LBB2_585:                              ;   in Loop: Header=BB2_519 Depth=2
	s_or_b32 exec_lo, exec_lo, s28
	v_cmp_gt_i16_sdwa s28, v10, v97 src0_sel:BYTE_3 src1_sel:DWORD
	s_mov_b32 s13, 0
	s_and_saveexec_b32 s29, s28
	s_xor_b32 s28, exec_lo, s29
	s_cbranch_execz .LBB2_851
; %bb.586:                              ;   in Loop: Header=BB2_519 Depth=2
	v_cmp_eq_u16_sdwa s40, v10, v98 src0_sel:BYTE_3 src1_sel:DWORD
	s_mov_b32 s13, -1
	s_and_saveexec_b32 s29, s40
; %bb.587:                              ;   in Loop: Header=BB2_519 Depth=2
	s_xor_b32 s13, exec_lo, -1
; %bb.588:                              ;   in Loop: Header=BB2_519 Depth=2
	s_or_b32 exec_lo, exec_lo, s29
	s_and_b32 s13, s13, exec_lo
	s_or_saveexec_b32 s28, s28
	v_mov_b32_e32 v14, 0x7f800001
	s_xor_b32 exec_lo, exec_lo, s28
	s_cbranch_execnz .LBB2_852
.LBB2_589:                              ;   in Loop: Header=BB2_519 Depth=2
	s_or_b32 exec_lo, exec_lo, s28
	s_and_saveexec_b32 s28, s13
	s_cbranch_execz .LBB2_591
.LBB2_590:                              ;   in Loop: Header=BB2_519 Depth=2
	v_and_b32_sdwa v14, v10, v102 dst_sel:DWORD dst_unused:UNUSED_PAD src0_sel:BYTE_3 src1_sel:DWORD
	v_bfe_u32 v42, v10, 27, 4
	v_ffbh_u32_e32 v40, v14
	v_cmp_eq_u32_e32 vcc_lo, 0, v42
	v_min_u32_e32 v40, 32, v40
	v_subrev_nc_u32_e32 v41, 28, v40
	v_sub_nc_u32_e32 v40, 29, v40
	v_lshlrev_b32_sdwa v41, v41, v10 dst_sel:DWORD dst_unused:UNUSED_PAD src0_sel:DWORD src1_sel:BYTE_3
	v_cndmask_b32_e32 v40, v42, v40, vcc_lo
	v_and_b32_e32 v10, 0x80000000, v10
	v_and_b32_e32 v41, 7, v41
	v_lshl_add_u32 v40, v40, 23, 0x3b800000
	v_cndmask_b32_e32 v14, v14, v41, vcc_lo
	v_lshlrev_b32_e32 v14, 20, v14
	v_or3_b32 v14, v10, v40, v14
.LBB2_591:                              ;   in Loop: Header=BB2_519 Depth=2
	s_or_b32 exec_lo, exec_lo, s28
	v_add_f32_e32 v14, v119, v14
	v_and_b32_e32 v10, 0x7f800000, v14
	v_cmp_ne_u32_e32 vcc_lo, 0x7f800000, v10
	v_mov_b32_e32 v10, 0x8000
	s_and_saveexec_b32 s28, vcc_lo
	s_cbranch_execz .LBB2_599
; %bb.592:                              ;   in Loop: Header=BB2_519 Depth=2
	v_mov_b32_e32 v10, 0
	s_mov_b32 s29, exec_lo
	v_cmpx_ne_u32_e32 0, v14
	s_cbranch_execz .LBB2_598
; %bb.593:                              ;   in Loop: Header=BB2_519 Depth=2
	v_bfe_u32 v10, v14, 23, 8
	v_and_b32_e32 v119, 0x7fffff, v14
	v_sub_nc_u32_e32 v40, 0x78, v10
	v_cmp_gt_u32_e32 vcc_lo, 0x79, v10
	v_or_b32_e32 v41, 0x800000, v119
	v_cndmask_b32_e32 v40, 0, v40, vcc_lo
	v_cmp_eq_u32_e32 vcc_lo, 0, v10
	v_add_nc_u32_e32 v10, 0xffffff89, v10
	v_cndmask_b32_e64 v40, v40, 0x77, vcc_lo
	v_cndmask_b32_e32 v119, v41, v119, vcc_lo
	v_cndmask_b32_e64 v10, v10, 0xffffff8a, vcc_lo
	v_lshl_add_u32 v41, 0x100000, v40, -1
	v_lshrrev_b32_e32 v42, v40, v119
	v_lshlrev_b32_e64 v44, v40, 0x80000
	v_add_nc_u32_e32 v40, v40, v10
	v_and_b32_e32 v119, v41, v119
	v_bfe_u32 v43, v42, 20, 1
	v_cmp_eq_u32_e64 s13, v119, v44
	v_add_nc_u32_e32 v41, -1, v43
	v_cndmask_b32_e64 v119, 0, v41, s13
	v_lshrrev_b32_e32 v41, 23, v42
	s_mov_b32 s13, exec_lo
	v_add_nc_u32_e32 v119, v119, v42
	v_xor_b32_e32 v41, 1, v41
	v_and_b32_e32 v10, 0xfffff, v119
	v_add_nc_u32_e32 v119, v10, v42
                                        ; implicit-def: $vgpr10
	v_cmpx_ne_u32_e64 v40, v41
	s_xor_b32 s13, exec_lo, s13
; %bb.594:                              ;   in Loop: Header=BB2_519 Depth=2
	v_cmp_lt_u32_e32 vcc_lo, 0xffffff, v119
	v_sub_nc_u32_e32 v10, v40, v41
	v_cndmask_b32_e64 v40, 0, 1, vcc_lo
	v_add_co_ci_u32_e64 v10, null, 0, v10, vcc_lo
	v_lshrrev_b32_e32 v119, v40, v119
; %bb.595:                              ;   in Loop: Header=BB2_519 Depth=2
	s_andn2_saveexec_b32 s13, s13
; %bb.596:                              ;   in Loop: Header=BB2_519 Depth=2
	v_bfe_u32 v10, v119, 23, 1
; %bb.597:                              ;   in Loop: Header=BB2_519 Depth=2
	s_or_b32 exec_lo, exec_lo, s13
	v_lshrrev_b32_e32 v119, 20, v119
	v_min_i32_e32 v40, 15, v10
	v_cmp_gt_i32_e32 vcc_lo, 16, v10
	v_and_b32_sdwa v14, v14, v98 dst_sel:DWORD dst_unused:UNUSED_PAD src0_sel:BYTE_3 src1_sel:DWORD
	v_lshlrev_b32_e32 v40, 3, v40
	v_cndmask_b32_e32 v119, 7, v119, vcc_lo
	v_and_b32_e32 v40, 0xf8, v40
	v_and_b32_e32 v41, 7, v119
	v_or_b32_e32 v10, v10, v119
	v_or3_b32 v14, v14, v40, v41
	v_cmp_ne_u32_e32 vcc_lo, 0, v10
	v_lshlrev_b32_e32 v14, 8, v14
	v_cndmask_b32_e32 v10, 0, v14, vcc_lo
.LBB2_598:                              ;   in Loop: Header=BB2_519 Depth=2
	s_or_b32 exec_lo, exec_lo, s29
.LBB2_599:                              ;   in Loop: Header=BB2_519 Depth=2
	s_or_b32 exec_lo, exec_lo, s28
	v_cmp_gt_i16_sdwa s28, v15, v97 src0_sel:BYTE_0 src1_sel:DWORD
	s_mov_b32 s13, 0
	s_and_saveexec_b32 s29, s28
	s_xor_b32 s28, exec_lo, s29
	s_cbranch_execz .LBB2_853
; %bb.600:                              ;   in Loop: Header=BB2_519 Depth=2
	v_cmp_eq_u16_sdwa s40, v15, v98 src0_sel:BYTE_0 src1_sel:DWORD
	s_mov_b32 s13, -1
	s_and_saveexec_b32 s29, s40
; %bb.601:                              ;   in Loop: Header=BB2_519 Depth=2
	s_xor_b32 s13, exec_lo, -1
; %bb.602:                              ;   in Loop: Header=BB2_519 Depth=2
	s_or_b32 exec_lo, exec_lo, s29
	s_and_b32 s13, s13, exec_lo
	s_or_saveexec_b32 s28, s28
	v_mov_b32_e32 v14, 0x7f800001
	s_xor_b32 exec_lo, exec_lo, s28
	s_cbranch_execnz .LBB2_854
.LBB2_603:                              ;   in Loop: Header=BB2_519 Depth=2
	s_or_b32 exec_lo, exec_lo, s28
	s_and_saveexec_b32 s28, s13
	s_cbranch_execz .LBB2_605
.LBB2_604:                              ;   in Loop: Header=BB2_519 Depth=2
	v_and_b32_e32 v14, 7, v15
	v_bfe_u32 v41, v15, 3, 4
	v_lshlrev_b32_e32 v42, 24, v15
	v_ffbh_u32_e32 v119, v14
	v_cmp_eq_u32_e32 vcc_lo, 0, v41
	v_min_u32_e32 v119, 32, v119
	v_subrev_nc_u32_e32 v40, 28, v119
	v_sub_nc_u32_e32 v119, 29, v119
	v_lshlrev_b32_e32 v40, v40, v15
	v_cndmask_b32_e32 v119, v41, v119, vcc_lo
	v_and_b32_e32 v40, 7, v40
	v_lshl_add_u32 v119, v119, 23, 0x3b800000
	v_cndmask_b32_e32 v14, v14, v40, vcc_lo
	v_and_b32_e32 v40, 0x80000000, v42
	v_lshlrev_b32_e32 v14, 20, v14
	v_or3_b32 v14, v40, v119, v14
.LBB2_605:                              ;   in Loop: Header=BB2_519 Depth=2
	s_or_b32 exec_lo, exec_lo, s28
	v_cmp_gt_i16_sdwa s28, v11, v97 src0_sel:BYTE_0 src1_sel:DWORD
	s_mov_b32 s13, 0
	s_and_saveexec_b32 s29, s28
	s_xor_b32 s28, exec_lo, s29
	s_cbranch_execz .LBB2_855
; %bb.606:                              ;   in Loop: Header=BB2_519 Depth=2
	v_cmp_eq_u16_sdwa s40, v11, v98 src0_sel:BYTE_0 src1_sel:DWORD
	s_mov_b32 s13, -1
	s_and_saveexec_b32 s29, s40
; %bb.607:                              ;   in Loop: Header=BB2_519 Depth=2
	s_xor_b32 s13, exec_lo, -1
; %bb.608:                              ;   in Loop: Header=BB2_519 Depth=2
	s_or_b32 exec_lo, exec_lo, s29
	s_and_b32 s13, s13, exec_lo
	s_or_saveexec_b32 s28, s28
	v_mov_b32_e32 v119, 0x7f800001
	s_xor_b32 exec_lo, exec_lo, s28
	s_cbranch_execnz .LBB2_856
.LBB2_609:                              ;   in Loop: Header=BB2_519 Depth=2
	s_or_b32 exec_lo, exec_lo, s28
	s_and_saveexec_b32 s28, s13
	s_cbranch_execz .LBB2_611
.LBB2_610:                              ;   in Loop: Header=BB2_519 Depth=2
	v_and_b32_e32 v119, 7, v11
	v_bfe_u32 v42, v11, 3, 4
	v_lshlrev_b32_e32 v43, 24, v11
	v_ffbh_u32_e32 v40, v119
	v_cmp_eq_u32_e32 vcc_lo, 0, v42
	v_min_u32_e32 v40, 32, v40
	v_subrev_nc_u32_e32 v41, 28, v40
	v_sub_nc_u32_e32 v40, 29, v40
	v_lshlrev_b32_e32 v41, v41, v11
	v_cndmask_b32_e32 v40, v42, v40, vcc_lo
	v_and_b32_e32 v41, 7, v41
	v_lshl_add_u32 v40, v40, 23, 0x3b800000
	v_cndmask_b32_e32 v119, v119, v41, vcc_lo
	v_and_b32_e32 v41, 0x80000000, v43
	v_lshlrev_b32_e32 v119, 20, v119
	v_or3_b32 v119, v41, v40, v119
.LBB2_611:                              ;   in Loop: Header=BB2_519 Depth=2
	s_or_b32 exec_lo, exec_lo, s28
	v_add_f32_e32 v119, v14, v119
	v_and_b32_e32 v14, 0x7f800000, v119
	v_cmp_ne_u32_e32 vcc_lo, 0x7f800000, v14
	v_mov_b32_e32 v14, 0x80
	s_and_saveexec_b32 s28, vcc_lo
	s_cbranch_execz .LBB2_619
; %bb.612:                              ;   in Loop: Header=BB2_519 Depth=2
	v_mov_b32_e32 v14, 0
	s_mov_b32 s29, exec_lo
	v_cmpx_ne_u32_e32 0, v119
	s_cbranch_execz .LBB2_618
; %bb.613:                              ;   in Loop: Header=BB2_519 Depth=2
	v_bfe_u32 v14, v119, 23, 8
	v_and_b32_e32 v40, 0x7fffff, v119
	v_sub_nc_u32_e32 v41, 0x78, v14
	v_cmp_gt_u32_e32 vcc_lo, 0x79, v14
	v_or_b32_e32 v42, 0x800000, v40
	v_cndmask_b32_e32 v41, 0, v41, vcc_lo
	v_cmp_eq_u32_e32 vcc_lo, 0, v14
	v_add_nc_u32_e32 v14, 0xffffff89, v14
	v_cndmask_b32_e64 v41, v41, 0x77, vcc_lo
	v_cndmask_b32_e32 v40, v42, v40, vcc_lo
	v_cndmask_b32_e64 v14, v14, 0xffffff8a, vcc_lo
	v_lshl_add_u32 v42, 0x100000, v41, -1
	v_lshrrev_b32_e32 v43, v41, v40
	v_lshlrev_b32_e64 v45, v41, 0x80000
	v_add_nc_u32_e32 v41, v41, v14
	v_and_b32_e32 v40, v42, v40
	v_bfe_u32 v44, v43, 20, 1
	v_cmp_eq_u32_e64 s13, v40, v45
	v_add_nc_u32_e32 v42, -1, v44
	v_cndmask_b32_e64 v40, 0, v42, s13
	v_lshrrev_b32_e32 v42, 23, v43
	s_mov_b32 s13, exec_lo
	v_add_nc_u32_e32 v40, v40, v43
	v_xor_b32_e32 v42, 1, v42
	v_and_b32_e32 v14, 0xfffff, v40
	v_add_nc_u32_e32 v40, v14, v43
                                        ; implicit-def: $vgpr14
	v_cmpx_ne_u32_e64 v41, v42
	s_xor_b32 s13, exec_lo, s13
; %bb.614:                              ;   in Loop: Header=BB2_519 Depth=2
	v_cmp_lt_u32_e32 vcc_lo, 0xffffff, v40
	v_sub_nc_u32_e32 v14, v41, v42
	v_cndmask_b32_e64 v41, 0, 1, vcc_lo
	v_add_co_ci_u32_e64 v14, null, 0, v14, vcc_lo
	v_lshrrev_b32_e32 v40, v41, v40
; %bb.615:                              ;   in Loop: Header=BB2_519 Depth=2
	s_andn2_saveexec_b32 s13, s13
; %bb.616:                              ;   in Loop: Header=BB2_519 Depth=2
	v_bfe_u32 v14, v40, 23, 1
; %bb.617:                              ;   in Loop: Header=BB2_519 Depth=2
	s_or_b32 exec_lo, exec_lo, s13
	v_lshrrev_b32_e32 v40, 20, v40
	v_min_i32_e32 v41, 15, v14
	v_cmp_gt_i32_e32 vcc_lo, 16, v14
	v_and_b32_sdwa v119, v119, v98 dst_sel:DWORD dst_unused:UNUSED_PAD src0_sel:BYTE_3 src1_sel:DWORD
	v_lshlrev_b32_e32 v41, 3, v41
	v_cndmask_b32_e32 v40, 7, v40, vcc_lo
	v_and_b32_e32 v41, 0xf8, v41
	v_and_b32_e32 v42, 7, v40
	v_or_b32_e32 v14, v14, v40
	v_or3_b32 v119, v41, v119, v42
	v_cmp_ne_u32_e32 vcc_lo, 0, v14
	v_cndmask_b32_e32 v14, 0, v119, vcc_lo
.LBB2_618:                              ;   in Loop: Header=BB2_519 Depth=2
	s_or_b32 exec_lo, exec_lo, s29
.LBB2_619:                              ;   in Loop: Header=BB2_519 Depth=2
	s_or_b32 exec_lo, exec_lo, s28
	v_cmp_gt_i16_sdwa s28, v15, v97 src0_sel:BYTE_1 src1_sel:DWORD
	s_mov_b32 s13, 0
	s_and_saveexec_b32 s29, s28
	s_xor_b32 s28, exec_lo, s29
	s_cbranch_execz .LBB2_857
; %bb.620:                              ;   in Loop: Header=BB2_519 Depth=2
	v_cmp_eq_u16_sdwa s40, v15, v98 src0_sel:BYTE_1 src1_sel:DWORD
	s_mov_b32 s13, -1
	s_and_saveexec_b32 s29, s40
; %bb.621:                              ;   in Loop: Header=BB2_519 Depth=2
	s_xor_b32 s13, exec_lo, -1
; %bb.622:                              ;   in Loop: Header=BB2_519 Depth=2
	s_or_b32 exec_lo, exec_lo, s29
	s_and_b32 s13, s13, exec_lo
	s_or_saveexec_b32 s28, s28
	v_mov_b32_e32 v119, 0x7f800001
	s_xor_b32 exec_lo, exec_lo, s28
	s_cbranch_execnz .LBB2_858
.LBB2_623:                              ;   in Loop: Header=BB2_519 Depth=2
	s_or_b32 exec_lo, exec_lo, s28
	s_and_saveexec_b32 s28, s13
	s_cbranch_execz .LBB2_625
.LBB2_624:                              ;   in Loop: Header=BB2_519 Depth=2
	v_and_b32_sdwa v119, v99, v15 dst_sel:DWORD dst_unused:UNUSED_PAD src0_sel:DWORD src1_sel:BYTE_1
	v_and_b32_e32 v40, 7, v119
	v_bfe_u32 v43, v119, 3, 4
	v_ffbh_u32_e32 v41, v40
	v_cmp_eq_u32_e32 vcc_lo, 0, v43
	v_min_u32_e32 v41, 32, v41
	v_subrev_nc_u32_e32 v42, 28, v41
	v_sub_nc_u32_e32 v41, 29, v41
	v_lshlrev_b32_e32 v119, v42, v119
	v_lshlrev_b32_sdwa v42, v100, v15 dst_sel:DWORD dst_unused:UNUSED_PAD src0_sel:DWORD src1_sel:BYTE_1
	v_cndmask_b32_e32 v41, v43, v41, vcc_lo
	v_and_b32_e32 v119, 7, v119
	v_lshl_add_u32 v41, v41, 23, 0x3b800000
	v_cndmask_b32_e32 v119, v40, v119, vcc_lo
	v_and_b32_e32 v40, 0x80000000, v42
	v_lshlrev_b32_e32 v119, 20, v119
	v_or3_b32 v119, v40, v41, v119
.LBB2_625:                              ;   in Loop: Header=BB2_519 Depth=2
	s_or_b32 exec_lo, exec_lo, s28
	v_cmp_gt_i16_sdwa s28, v11, v97 src0_sel:BYTE_1 src1_sel:DWORD
	s_mov_b32 s13, 0
	s_and_saveexec_b32 s29, s28
	s_xor_b32 s28, exec_lo, s29
	s_cbranch_execz .LBB2_859
; %bb.626:                              ;   in Loop: Header=BB2_519 Depth=2
	v_cmp_eq_u16_sdwa s40, v11, v98 src0_sel:BYTE_1 src1_sel:DWORD
	s_mov_b32 s13, -1
	s_and_saveexec_b32 s29, s40
; %bb.627:                              ;   in Loop: Header=BB2_519 Depth=2
	s_xor_b32 s13, exec_lo, -1
; %bb.628:                              ;   in Loop: Header=BB2_519 Depth=2
	s_or_b32 exec_lo, exec_lo, s29
	s_and_b32 s13, s13, exec_lo
	s_or_saveexec_b32 s28, s28
	v_mov_b32_e32 v40, 0x7f800001
	s_xor_b32 exec_lo, exec_lo, s28
	s_cbranch_execnz .LBB2_860
.LBB2_629:                              ;   in Loop: Header=BB2_519 Depth=2
	s_or_b32 exec_lo, exec_lo, s28
	s_and_saveexec_b32 s28, s13
	s_cbranch_execz .LBB2_631
.LBB2_630:                              ;   in Loop: Header=BB2_519 Depth=2
	v_and_b32_sdwa v40, v99, v11 dst_sel:DWORD dst_unused:UNUSED_PAD src0_sel:DWORD src1_sel:BYTE_1
	v_and_b32_e32 v41, 7, v40
	v_bfe_u32 v44, v40, 3, 4
	v_ffbh_u32_e32 v42, v41
	v_cmp_eq_u32_e32 vcc_lo, 0, v44
	v_min_u32_e32 v42, 32, v42
	v_subrev_nc_u32_e32 v43, 28, v42
	v_sub_nc_u32_e32 v42, 29, v42
	v_lshlrev_b32_e32 v40, v43, v40
	v_lshlrev_b32_sdwa v43, v100, v11 dst_sel:DWORD dst_unused:UNUSED_PAD src0_sel:DWORD src1_sel:BYTE_1
	v_cndmask_b32_e32 v42, v44, v42, vcc_lo
	v_and_b32_e32 v40, 7, v40
	v_lshl_add_u32 v42, v42, 23, 0x3b800000
	v_cndmask_b32_e32 v40, v41, v40, vcc_lo
	v_and_b32_e32 v41, 0x80000000, v43
	v_lshlrev_b32_e32 v40, 20, v40
	v_or3_b32 v40, v41, v42, v40
.LBB2_631:                              ;   in Loop: Header=BB2_519 Depth=2
	s_or_b32 exec_lo, exec_lo, s28
	v_add_f32_e32 v40, v119, v40
	v_and_b32_e32 v119, 0x7f800000, v40
	v_cmp_ne_u32_e32 vcc_lo, 0x7f800000, v119
	v_mov_b32_e32 v119, 0x8000
	s_and_saveexec_b32 s28, vcc_lo
	s_cbranch_execz .LBB2_639
; %bb.632:                              ;   in Loop: Header=BB2_519 Depth=2
	v_mov_b32_e32 v119, 0
	s_mov_b32 s29, exec_lo
	v_cmpx_ne_u32_e32 0, v40
	s_cbranch_execz .LBB2_638
; %bb.633:                              ;   in Loop: Header=BB2_519 Depth=2
	v_bfe_u32 v119, v40, 23, 8
	v_and_b32_e32 v41, 0x7fffff, v40
	v_sub_nc_u32_e32 v42, 0x78, v119
	v_cmp_gt_u32_e32 vcc_lo, 0x79, v119
	v_or_b32_e32 v43, 0x800000, v41
	v_cndmask_b32_e32 v42, 0, v42, vcc_lo
	v_cmp_eq_u32_e32 vcc_lo, 0, v119
	v_add_nc_u32_e32 v119, 0xffffff89, v119
	v_cndmask_b32_e64 v42, v42, 0x77, vcc_lo
	v_cndmask_b32_e32 v41, v43, v41, vcc_lo
	v_cndmask_b32_e64 v119, v119, 0xffffff8a, vcc_lo
	v_lshl_add_u32 v43, 0x100000, v42, -1
	v_lshrrev_b32_e32 v44, v42, v41
	v_lshlrev_b32_e64 v46, v42, 0x80000
	v_add_nc_u32_e32 v42, v42, v119
	v_and_b32_e32 v41, v43, v41
	v_bfe_u32 v45, v44, 20, 1
	v_cmp_eq_u32_e64 s13, v41, v46
	v_add_nc_u32_e32 v43, -1, v45
	v_cndmask_b32_e64 v41, 0, v43, s13
	v_lshrrev_b32_e32 v43, 23, v44
	s_mov_b32 s13, exec_lo
	v_add_nc_u32_e32 v41, v41, v44
	v_xor_b32_e32 v43, 1, v43
	v_and_b32_e32 v119, 0xfffff, v41
	v_add_nc_u32_e32 v41, v119, v44
                                        ; implicit-def: $vgpr119
	v_cmpx_ne_u32_e64 v42, v43
	s_xor_b32 s13, exec_lo, s13
; %bb.634:                              ;   in Loop: Header=BB2_519 Depth=2
	v_cmp_lt_u32_e32 vcc_lo, 0xffffff, v41
	v_sub_nc_u32_e32 v119, v42, v43
	v_cndmask_b32_e64 v42, 0, 1, vcc_lo
	v_add_co_ci_u32_e64 v119, null, 0, v119, vcc_lo
	v_lshrrev_b32_e32 v41, v42, v41
; %bb.635:                              ;   in Loop: Header=BB2_519 Depth=2
	s_andn2_saveexec_b32 s13, s13
; %bb.636:                              ;   in Loop: Header=BB2_519 Depth=2
	v_bfe_u32 v119, v41, 23, 1
; %bb.637:                              ;   in Loop: Header=BB2_519 Depth=2
	s_or_b32 exec_lo, exec_lo, s13
	v_lshrrev_b32_e32 v41, 20, v41
	v_min_i32_e32 v42, 15, v119
	v_cmp_gt_i32_e32 vcc_lo, 16, v119
	v_and_b32_sdwa v40, v40, v98 dst_sel:DWORD dst_unused:UNUSED_PAD src0_sel:BYTE_3 src1_sel:DWORD
	v_lshlrev_b32_e32 v42, 3, v42
	v_cndmask_b32_e32 v41, 7, v41, vcc_lo
	v_and_b32_e32 v42, 0xf8, v42
	v_and_b32_e32 v43, 7, v41
	v_or_b32_e32 v119, v119, v41
	v_or3_b32 v40, v40, v42, v43
	v_cmp_ne_u32_e32 vcc_lo, 0, v119
	v_lshlrev_b32_e32 v40, 8, v40
	v_cndmask_b32_e32 v119, 0, v40, vcc_lo
.LBB2_638:                              ;   in Loop: Header=BB2_519 Depth=2
	s_or_b32 exec_lo, exec_lo, s29
.LBB2_639:                              ;   in Loop: Header=BB2_519 Depth=2
	s_or_b32 exec_lo, exec_lo, s28
	v_and_b32_sdwa v41, v15, v101 dst_sel:DWORD dst_unused:UNUSED_PAD src0_sel:WORD_1 src1_sel:DWORD
	s_mov_b32 s13, 0
	s_mov_b32 s28, exec_lo
	v_cmpx_lt_i16_e32 0x7f, v41
	s_xor_b32 s28, exec_lo, s28
	s_cbranch_execz .LBB2_861
; %bb.640:                              ;   in Loop: Header=BB2_519 Depth=2
	s_mov_b32 s13, -1
	s_mov_b32 s29, exec_lo
	v_cmpx_eq_u16_e32 0x80, v41
; %bb.641:                              ;   in Loop: Header=BB2_519 Depth=2
	s_xor_b32 s13, exec_lo, -1
; %bb.642:                              ;   in Loop: Header=BB2_519 Depth=2
	s_or_b32 exec_lo, exec_lo, s29
	s_and_b32 s13, s13, exec_lo
                                        ; implicit-def: $vgpr41
	s_or_saveexec_b32 s28, s28
	v_mov_b32_e32 v40, 0x7f800001
	s_xor_b32 exec_lo, exec_lo, s28
	s_cbranch_execnz .LBB2_862
.LBB2_643:                              ;   in Loop: Header=BB2_519 Depth=2
	s_or_b32 exec_lo, exec_lo, s28
	s_and_saveexec_b32 s28, s13
	s_cbranch_execz .LBB2_645
.LBB2_644:                              ;   in Loop: Header=BB2_519 Depth=2
	v_bfe_u32 v40, v15, 16, 3
	v_bfe_u32 v43, v15, 19, 4
	v_lshlrev_b32_e32 v44, 8, v15
	v_ffbh_u32_e32 v41, v40
	v_cmp_eq_u32_e32 vcc_lo, 0, v43
	v_min_u32_e32 v41, 32, v41
	v_subrev_nc_u32_e32 v42, 28, v41
	v_sub_nc_u32_e32 v41, 29, v41
	v_lshlrev_b32_sdwa v42, v42, v15 dst_sel:DWORD dst_unused:UNUSED_PAD src0_sel:DWORD src1_sel:WORD_1
	v_cndmask_b32_e32 v41, v43, v41, vcc_lo
	v_and_b32_e32 v42, 7, v42
	v_lshl_add_u32 v41, v41, 23, 0x3b800000
	v_cndmask_b32_e32 v40, v40, v42, vcc_lo
	v_and_b32_e32 v42, 0x80000000, v44
	v_lshlrev_b32_e32 v40, 20, v40
	v_or3_b32 v40, v42, v41, v40
.LBB2_645:                              ;   in Loop: Header=BB2_519 Depth=2
	s_or_b32 exec_lo, exec_lo, s28
	v_and_b32_sdwa v42, v11, v101 dst_sel:DWORD dst_unused:UNUSED_PAD src0_sel:WORD_1 src1_sel:DWORD
	s_mov_b32 s13, 0
	s_mov_b32 s28, exec_lo
	v_cmpx_lt_i16_e32 0x7f, v42
	s_xor_b32 s28, exec_lo, s28
	s_cbranch_execz .LBB2_863
; %bb.646:                              ;   in Loop: Header=BB2_519 Depth=2
	s_mov_b32 s13, -1
	s_mov_b32 s29, exec_lo
	v_cmpx_eq_u16_e32 0x80, v42
; %bb.647:                              ;   in Loop: Header=BB2_519 Depth=2
	s_xor_b32 s13, exec_lo, -1
; %bb.648:                              ;   in Loop: Header=BB2_519 Depth=2
	s_or_b32 exec_lo, exec_lo, s29
	s_and_b32 s13, s13, exec_lo
                                        ; implicit-def: $vgpr42
	s_or_saveexec_b32 s28, s28
	v_mov_b32_e32 v41, 0x7f800001
	s_xor_b32 exec_lo, exec_lo, s28
	s_cbranch_execnz .LBB2_864
.LBB2_649:                              ;   in Loop: Header=BB2_519 Depth=2
	s_or_b32 exec_lo, exec_lo, s28
	s_and_saveexec_b32 s28, s13
	s_cbranch_execz .LBB2_651
.LBB2_650:                              ;   in Loop: Header=BB2_519 Depth=2
	v_and_b32_sdwa v41, v11, v102 dst_sel:DWORD dst_unused:UNUSED_PAD src0_sel:WORD_1 src1_sel:DWORD
	v_bfe_u32 v44, v11, 19, 4
	v_lshlrev_b32_sdwa v45, v100, v11 dst_sel:DWORD dst_unused:UNUSED_PAD src0_sel:DWORD src1_sel:WORD_1
	v_ffbh_u32_e32 v42, v41
	v_cmp_eq_u32_e32 vcc_lo, 0, v44
	v_min_u32_e32 v42, 32, v42
	v_subrev_nc_u32_e32 v43, 28, v42
	v_sub_nc_u32_e32 v42, 29, v42
	v_lshlrev_b32_sdwa v43, v43, v11 dst_sel:DWORD dst_unused:UNUSED_PAD src0_sel:DWORD src1_sel:WORD_1
	v_cndmask_b32_e32 v42, v44, v42, vcc_lo
	v_and_b32_e32 v43, 7, v43
	v_lshl_add_u32 v42, v42, 23, 0x3b800000
	v_cndmask_b32_e32 v41, v41, v43, vcc_lo
	v_and_b32_e32 v43, 0x80000000, v45
	v_lshlrev_b32_e32 v41, 20, v41
	v_or3_b32 v41, v43, v42, v41
.LBB2_651:                              ;   in Loop: Header=BB2_519 Depth=2
	s_or_b32 exec_lo, exec_lo, s28
	v_add_f32_e32 v41, v40, v41
	v_and_b32_e32 v40, 0x7f800000, v41
	v_cmp_ne_u32_e32 vcc_lo, 0x7f800000, v40
	v_mov_b32_e32 v40, 0x80
	s_and_saveexec_b32 s28, vcc_lo
	s_cbranch_execz .LBB2_659
; %bb.652:                              ;   in Loop: Header=BB2_519 Depth=2
	v_mov_b32_e32 v40, 0
	s_mov_b32 s29, exec_lo
	v_cmpx_ne_u32_e32 0, v41
	s_cbranch_execz .LBB2_658
; %bb.653:                              ;   in Loop: Header=BB2_519 Depth=2
	v_bfe_u32 v40, v41, 23, 8
	v_and_b32_e32 v42, 0x7fffff, v41
	v_sub_nc_u32_e32 v43, 0x78, v40
	v_cmp_gt_u32_e32 vcc_lo, 0x79, v40
	v_or_b32_e32 v44, 0x800000, v42
	v_cndmask_b32_e32 v43, 0, v43, vcc_lo
	v_cmp_eq_u32_e32 vcc_lo, 0, v40
	v_add_nc_u32_e32 v40, 0xffffff89, v40
	v_cndmask_b32_e64 v43, v43, 0x77, vcc_lo
	v_cndmask_b32_e32 v42, v44, v42, vcc_lo
	v_cndmask_b32_e64 v40, v40, 0xffffff8a, vcc_lo
	v_lshl_add_u32 v44, 0x100000, v43, -1
	v_lshrrev_b32_e32 v45, v43, v42
	v_lshlrev_b32_e64 v47, v43, 0x80000
	v_add_nc_u32_e32 v43, v43, v40
	v_and_b32_e32 v42, v44, v42
	v_bfe_u32 v46, v45, 20, 1
	v_cmp_eq_u32_e64 s13, v42, v47
	v_add_nc_u32_e32 v44, -1, v46
	v_cndmask_b32_e64 v42, 0, v44, s13
	v_lshrrev_b32_e32 v44, 23, v45
	s_mov_b32 s13, exec_lo
	v_add_nc_u32_e32 v42, v42, v45
	v_xor_b32_e32 v44, 1, v44
	v_and_b32_e32 v40, 0xfffff, v42
	v_add_nc_u32_e32 v42, v40, v45
                                        ; implicit-def: $vgpr40
	v_cmpx_ne_u32_e64 v43, v44
	s_xor_b32 s13, exec_lo, s13
; %bb.654:                              ;   in Loop: Header=BB2_519 Depth=2
	v_cmp_lt_u32_e32 vcc_lo, 0xffffff, v42
	v_sub_nc_u32_e32 v40, v43, v44
	v_cndmask_b32_e64 v43, 0, 1, vcc_lo
	v_add_co_ci_u32_e64 v40, null, 0, v40, vcc_lo
	v_lshrrev_b32_e32 v42, v43, v42
; %bb.655:                              ;   in Loop: Header=BB2_519 Depth=2
	s_andn2_saveexec_b32 s13, s13
; %bb.656:                              ;   in Loop: Header=BB2_519 Depth=2
	v_bfe_u32 v40, v42, 23, 1
; %bb.657:                              ;   in Loop: Header=BB2_519 Depth=2
	s_or_b32 exec_lo, exec_lo, s13
	v_lshrrev_b32_e32 v42, 20, v42
	v_min_i32_e32 v43, 15, v40
	v_cmp_gt_i32_e32 vcc_lo, 16, v40
	v_and_b32_sdwa v41, v41, v98 dst_sel:DWORD dst_unused:UNUSED_PAD src0_sel:BYTE_3 src1_sel:DWORD
	v_lshlrev_b32_e32 v43, 3, v43
	v_cndmask_b32_e32 v42, 7, v42, vcc_lo
	v_and_b32_e32 v43, 0xf8, v43
	v_and_b32_e32 v44, 7, v42
	v_or_b32_e32 v40, v40, v42
	v_or3_b32 v41, v43, v41, v44
	v_cmp_ne_u32_e32 vcc_lo, 0, v40
	v_cndmask_b32_e32 v40, 0, v41, vcc_lo
.LBB2_658:                              ;   in Loop: Header=BB2_519 Depth=2
	s_or_b32 exec_lo, exec_lo, s29
.LBB2_659:                              ;   in Loop: Header=BB2_519 Depth=2
	s_or_b32 exec_lo, exec_lo, s28
	v_cmp_gt_i16_sdwa s28, v15, v97 src0_sel:BYTE_3 src1_sel:DWORD
	s_mov_b32 s13, 0
	s_and_saveexec_b32 s29, s28
	s_xor_b32 s28, exec_lo, s29
	s_cbranch_execz .LBB2_865
; %bb.660:                              ;   in Loop: Header=BB2_519 Depth=2
	v_cmp_eq_u16_sdwa s40, v15, v98 src0_sel:BYTE_3 src1_sel:DWORD
	s_mov_b32 s13, -1
	s_and_saveexec_b32 s29, s40
; %bb.661:                              ;   in Loop: Header=BB2_519 Depth=2
	s_xor_b32 s13, exec_lo, -1
; %bb.662:                              ;   in Loop: Header=BB2_519 Depth=2
	s_or_b32 exec_lo, exec_lo, s29
	s_and_b32 s13, s13, exec_lo
	s_or_saveexec_b32 s28, s28
	v_mov_b32_e32 v41, 0x7f800001
	s_xor_b32 exec_lo, exec_lo, s28
	s_cbranch_execnz .LBB2_866
.LBB2_663:                              ;   in Loop: Header=BB2_519 Depth=2
	s_or_b32 exec_lo, exec_lo, s28
	s_and_saveexec_b32 s28, s13
	s_cbranch_execz .LBB2_665
.LBB2_664:                              ;   in Loop: Header=BB2_519 Depth=2
	v_bfe_u32 v41, v15, 24, 3
	v_bfe_u32 v44, v15, 27, 4
	v_ffbh_u32_e32 v42, v41
	v_cmp_eq_u32_e32 vcc_lo, 0, v44
	v_min_u32_e32 v42, 32, v42
	v_subrev_nc_u32_e32 v43, 28, v42
	v_sub_nc_u32_e32 v42, 29, v42
	v_lshlrev_b32_sdwa v43, v43, v15 dst_sel:DWORD dst_unused:UNUSED_PAD src0_sel:DWORD src1_sel:BYTE_3
	v_cndmask_b32_e32 v42, v44, v42, vcc_lo
	v_and_b32_e32 v15, 0x80000000, v15
	v_and_b32_e32 v43, 7, v43
	v_lshl_add_u32 v42, v42, 23, 0x3b800000
	v_cndmask_b32_e32 v41, v41, v43, vcc_lo
	v_lshlrev_b32_e32 v41, 20, v41
	v_or3_b32 v41, v15, v42, v41
.LBB2_665:                              ;   in Loop: Header=BB2_519 Depth=2
	s_or_b32 exec_lo, exec_lo, s28
	v_cmp_gt_i16_sdwa s28, v11, v97 src0_sel:BYTE_3 src1_sel:DWORD
	s_mov_b32 s13, 0
	s_and_saveexec_b32 s29, s28
	s_xor_b32 s28, exec_lo, s29
	s_cbranch_execz .LBB2_867
; %bb.666:                              ;   in Loop: Header=BB2_519 Depth=2
	v_cmp_eq_u16_sdwa s40, v11, v98 src0_sel:BYTE_3 src1_sel:DWORD
	s_mov_b32 s13, -1
	s_and_saveexec_b32 s29, s40
; %bb.667:                              ;   in Loop: Header=BB2_519 Depth=2
	s_xor_b32 s13, exec_lo, -1
; %bb.668:                              ;   in Loop: Header=BB2_519 Depth=2
	s_or_b32 exec_lo, exec_lo, s29
	s_and_b32 s13, s13, exec_lo
	s_or_saveexec_b32 s28, s28
	v_mov_b32_e32 v15, 0x7f800001
	s_xor_b32 exec_lo, exec_lo, s28
	s_cbranch_execnz .LBB2_868
.LBB2_669:                              ;   in Loop: Header=BB2_519 Depth=2
	s_or_b32 exec_lo, exec_lo, s28
	s_and_saveexec_b32 s28, s13
	s_cbranch_execz .LBB2_671
.LBB2_670:                              ;   in Loop: Header=BB2_519 Depth=2
	v_and_b32_sdwa v15, v11, v102 dst_sel:DWORD dst_unused:UNUSED_PAD src0_sel:BYTE_3 src1_sel:DWORD
	v_bfe_u32 v44, v11, 27, 4
	v_ffbh_u32_e32 v42, v15
	v_cmp_eq_u32_e32 vcc_lo, 0, v44
	v_min_u32_e32 v42, 32, v42
	v_subrev_nc_u32_e32 v43, 28, v42
	v_sub_nc_u32_e32 v42, 29, v42
	v_lshlrev_b32_sdwa v43, v43, v11 dst_sel:DWORD dst_unused:UNUSED_PAD src0_sel:DWORD src1_sel:BYTE_3
	v_cndmask_b32_e32 v42, v44, v42, vcc_lo
	v_and_b32_e32 v11, 0x80000000, v11
	v_and_b32_e32 v43, 7, v43
	v_lshl_add_u32 v42, v42, 23, 0x3b800000
	v_cndmask_b32_e32 v15, v15, v43, vcc_lo
	v_lshlrev_b32_e32 v15, 20, v15
	v_or3_b32 v15, v11, v42, v15
.LBB2_671:                              ;   in Loop: Header=BB2_519 Depth=2
	s_or_b32 exec_lo, exec_lo, s28
	v_add_f32_e32 v15, v41, v15
	v_and_b32_e32 v11, 0x7f800000, v15
	v_cmp_ne_u32_e32 vcc_lo, 0x7f800000, v11
	v_mov_b32_e32 v11, 0x8000
	s_and_saveexec_b32 s28, vcc_lo
	s_cbranch_execz .LBB2_679
; %bb.672:                              ;   in Loop: Header=BB2_519 Depth=2
	v_mov_b32_e32 v11, 0
	s_mov_b32 s29, exec_lo
	v_cmpx_ne_u32_e32 0, v15
	s_cbranch_execz .LBB2_678
; %bb.673:                              ;   in Loop: Header=BB2_519 Depth=2
	v_bfe_u32 v11, v15, 23, 8
	v_and_b32_e32 v41, 0x7fffff, v15
	v_sub_nc_u32_e32 v42, 0x78, v11
	v_cmp_gt_u32_e32 vcc_lo, 0x79, v11
	v_or_b32_e32 v43, 0x800000, v41
	v_cndmask_b32_e32 v42, 0, v42, vcc_lo
	v_cmp_eq_u32_e32 vcc_lo, 0, v11
	v_add_nc_u32_e32 v11, 0xffffff89, v11
	v_cndmask_b32_e64 v42, v42, 0x77, vcc_lo
	v_cndmask_b32_e32 v41, v43, v41, vcc_lo
	v_cndmask_b32_e64 v11, v11, 0xffffff8a, vcc_lo
	v_lshl_add_u32 v43, 0x100000, v42, -1
	v_lshrrev_b32_e32 v44, v42, v41
	v_lshlrev_b32_e64 v46, v42, 0x80000
	v_add_nc_u32_e32 v42, v42, v11
	v_and_b32_e32 v41, v43, v41
	v_bfe_u32 v45, v44, 20, 1
	v_cmp_eq_u32_e64 s13, v41, v46
	v_add_nc_u32_e32 v43, -1, v45
	v_cndmask_b32_e64 v41, 0, v43, s13
	v_lshrrev_b32_e32 v43, 23, v44
	s_mov_b32 s13, exec_lo
	v_add_nc_u32_e32 v41, v41, v44
	v_xor_b32_e32 v43, 1, v43
	v_and_b32_e32 v11, 0xfffff, v41
	v_add_nc_u32_e32 v41, v11, v44
                                        ; implicit-def: $vgpr11
	v_cmpx_ne_u32_e64 v42, v43
	s_xor_b32 s13, exec_lo, s13
; %bb.674:                              ;   in Loop: Header=BB2_519 Depth=2
	v_cmp_lt_u32_e32 vcc_lo, 0xffffff, v41
	v_sub_nc_u32_e32 v11, v42, v43
	v_cndmask_b32_e64 v42, 0, 1, vcc_lo
	v_add_co_ci_u32_e64 v11, null, 0, v11, vcc_lo
	v_lshrrev_b32_e32 v41, v42, v41
; %bb.675:                              ;   in Loop: Header=BB2_519 Depth=2
	s_andn2_saveexec_b32 s13, s13
; %bb.676:                              ;   in Loop: Header=BB2_519 Depth=2
	v_bfe_u32 v11, v41, 23, 1
; %bb.677:                              ;   in Loop: Header=BB2_519 Depth=2
	s_or_b32 exec_lo, exec_lo, s13
	v_lshrrev_b32_e32 v41, 20, v41
	v_min_i32_e32 v42, 15, v11
	v_cmp_gt_i32_e32 vcc_lo, 16, v11
	v_and_b32_sdwa v15, v15, v98 dst_sel:DWORD dst_unused:UNUSED_PAD src0_sel:BYTE_3 src1_sel:DWORD
	v_lshlrev_b32_e32 v42, 3, v42
	v_cndmask_b32_e32 v41, 7, v41, vcc_lo
	v_and_b32_e32 v42, 0xf8, v42
	v_and_b32_e32 v43, 7, v41
	v_or_b32_e32 v11, v11, v41
	v_or3_b32 v15, v15, v42, v43
	v_cmp_ne_u32_e32 vcc_lo, 0, v11
	v_lshlrev_b32_e32 v15, 8, v15
	v_cndmask_b32_e32 v11, 0, v15, vcc_lo
.LBB2_678:                              ;   in Loop: Header=BB2_519 Depth=2
	s_or_b32 exec_lo, exec_lo, s29
.LBB2_679:                              ;   in Loop: Header=BB2_519 Depth=2
	s_or_b32 exec_lo, exec_lo, s28
	v_cmp_gt_i16_sdwa s28, v16, v97 src0_sel:BYTE_0 src1_sel:DWORD
	s_mov_b32 s13, 0
	s_and_saveexec_b32 s29, s28
	s_xor_b32 s28, exec_lo, s29
	s_cbranch_execz .LBB2_869
; %bb.680:                              ;   in Loop: Header=BB2_519 Depth=2
	v_cmp_eq_u16_sdwa s40, v16, v98 src0_sel:BYTE_0 src1_sel:DWORD
	s_mov_b32 s13, -1
	s_and_saveexec_b32 s29, s40
; %bb.681:                              ;   in Loop: Header=BB2_519 Depth=2
	s_xor_b32 s13, exec_lo, -1
; %bb.682:                              ;   in Loop: Header=BB2_519 Depth=2
	s_or_b32 exec_lo, exec_lo, s29
	s_and_b32 s13, s13, exec_lo
	s_or_saveexec_b32 s28, s28
	v_mov_b32_e32 v15, 0x7f800001
	s_xor_b32 exec_lo, exec_lo, s28
	s_cbranch_execnz .LBB2_870
.LBB2_683:                              ;   in Loop: Header=BB2_519 Depth=2
	s_or_b32 exec_lo, exec_lo, s28
	s_and_saveexec_b32 s28, s13
	s_cbranch_execz .LBB2_685
.LBB2_684:                              ;   in Loop: Header=BB2_519 Depth=2
	v_and_b32_e32 v15, 7, v16
	v_bfe_u32 v43, v16, 3, 4
	v_lshlrev_b32_e32 v44, 24, v16
	v_ffbh_u32_e32 v41, v15
	v_cmp_eq_u32_e32 vcc_lo, 0, v43
	v_min_u32_e32 v41, 32, v41
	v_subrev_nc_u32_e32 v42, 28, v41
	v_sub_nc_u32_e32 v41, 29, v41
	v_lshlrev_b32_e32 v42, v42, v16
	v_cndmask_b32_e32 v41, v43, v41, vcc_lo
	v_and_b32_e32 v42, 7, v42
	v_lshl_add_u32 v41, v41, 23, 0x3b800000
	v_cndmask_b32_e32 v15, v15, v42, vcc_lo
	v_and_b32_e32 v42, 0x80000000, v44
	v_lshlrev_b32_e32 v15, 20, v15
	v_or3_b32 v15, v42, v41, v15
.LBB2_685:                              ;   in Loop: Header=BB2_519 Depth=2
	s_or_b32 exec_lo, exec_lo, s28
	v_cmp_gt_i16_sdwa s28, v12, v97 src0_sel:BYTE_0 src1_sel:DWORD
	s_mov_b32 s13, 0
	s_and_saveexec_b32 s29, s28
	s_xor_b32 s28, exec_lo, s29
	s_cbranch_execz .LBB2_871
; %bb.686:                              ;   in Loop: Header=BB2_519 Depth=2
	v_cmp_eq_u16_sdwa s40, v12, v98 src0_sel:BYTE_0 src1_sel:DWORD
	s_mov_b32 s13, -1
	s_and_saveexec_b32 s29, s40
; %bb.687:                              ;   in Loop: Header=BB2_519 Depth=2
	s_xor_b32 s13, exec_lo, -1
; %bb.688:                              ;   in Loop: Header=BB2_519 Depth=2
	s_or_b32 exec_lo, exec_lo, s29
	s_and_b32 s13, s13, exec_lo
	s_or_saveexec_b32 s28, s28
	v_mov_b32_e32 v41, 0x7f800001
	s_xor_b32 exec_lo, exec_lo, s28
	s_cbranch_execnz .LBB2_872
.LBB2_689:                              ;   in Loop: Header=BB2_519 Depth=2
	s_or_b32 exec_lo, exec_lo, s28
	s_and_saveexec_b32 s28, s13
	s_cbranch_execz .LBB2_691
.LBB2_690:                              ;   in Loop: Header=BB2_519 Depth=2
	v_and_b32_e32 v41, 7, v12
	v_bfe_u32 v44, v12, 3, 4
	v_lshlrev_b32_e32 v45, 24, v12
	v_ffbh_u32_e32 v42, v41
	v_cmp_eq_u32_e32 vcc_lo, 0, v44
	v_min_u32_e32 v42, 32, v42
	v_subrev_nc_u32_e32 v43, 28, v42
	v_sub_nc_u32_e32 v42, 29, v42
	v_lshlrev_b32_e32 v43, v43, v12
	v_cndmask_b32_e32 v42, v44, v42, vcc_lo
	v_and_b32_e32 v43, 7, v43
	v_lshl_add_u32 v42, v42, 23, 0x3b800000
	v_cndmask_b32_e32 v41, v41, v43, vcc_lo
	v_and_b32_e32 v43, 0x80000000, v45
	v_lshlrev_b32_e32 v41, 20, v41
	v_or3_b32 v41, v43, v42, v41
.LBB2_691:                              ;   in Loop: Header=BB2_519 Depth=2
	s_or_b32 exec_lo, exec_lo, s28
	v_add_f32_e32 v41, v15, v41
	v_and_b32_e32 v15, 0x7f800000, v41
	v_cmp_ne_u32_e32 vcc_lo, 0x7f800000, v15
	v_mov_b32_e32 v15, 0x80
	s_and_saveexec_b32 s28, vcc_lo
	s_cbranch_execz .LBB2_699
; %bb.692:                              ;   in Loop: Header=BB2_519 Depth=2
	v_mov_b32_e32 v15, 0
	s_mov_b32 s29, exec_lo
	v_cmpx_ne_u32_e32 0, v41
	s_cbranch_execz .LBB2_698
; %bb.693:                              ;   in Loop: Header=BB2_519 Depth=2
	v_bfe_u32 v15, v41, 23, 8
	v_and_b32_e32 v42, 0x7fffff, v41
	v_sub_nc_u32_e32 v43, 0x78, v15
	v_cmp_gt_u32_e32 vcc_lo, 0x79, v15
	v_or_b32_e32 v44, 0x800000, v42
	v_cndmask_b32_e32 v43, 0, v43, vcc_lo
	v_cmp_eq_u32_e32 vcc_lo, 0, v15
	v_add_nc_u32_e32 v15, 0xffffff89, v15
	v_cndmask_b32_e64 v43, v43, 0x77, vcc_lo
	v_cndmask_b32_e32 v42, v44, v42, vcc_lo
	v_cndmask_b32_e64 v15, v15, 0xffffff8a, vcc_lo
	v_lshl_add_u32 v44, 0x100000, v43, -1
	v_lshrrev_b32_e32 v45, v43, v42
	v_lshlrev_b32_e64 v47, v43, 0x80000
	v_add_nc_u32_e32 v43, v43, v15
	v_and_b32_e32 v42, v44, v42
	v_bfe_u32 v46, v45, 20, 1
	v_cmp_eq_u32_e64 s13, v42, v47
	v_add_nc_u32_e32 v44, -1, v46
	v_cndmask_b32_e64 v42, 0, v44, s13
	v_lshrrev_b32_e32 v44, 23, v45
	s_mov_b32 s13, exec_lo
	v_add_nc_u32_e32 v42, v42, v45
	v_xor_b32_e32 v44, 1, v44
	v_and_b32_e32 v15, 0xfffff, v42
	v_add_nc_u32_e32 v42, v15, v45
                                        ; implicit-def: $vgpr15
	v_cmpx_ne_u32_e64 v43, v44
	s_xor_b32 s13, exec_lo, s13
; %bb.694:                              ;   in Loop: Header=BB2_519 Depth=2
	v_cmp_lt_u32_e32 vcc_lo, 0xffffff, v42
	v_sub_nc_u32_e32 v15, v43, v44
	v_cndmask_b32_e64 v43, 0, 1, vcc_lo
	v_add_co_ci_u32_e64 v15, null, 0, v15, vcc_lo
	v_lshrrev_b32_e32 v42, v43, v42
; %bb.695:                              ;   in Loop: Header=BB2_519 Depth=2
	s_andn2_saveexec_b32 s13, s13
; %bb.696:                              ;   in Loop: Header=BB2_519 Depth=2
	v_bfe_u32 v15, v42, 23, 1
; %bb.697:                              ;   in Loop: Header=BB2_519 Depth=2
	s_or_b32 exec_lo, exec_lo, s13
	v_lshrrev_b32_e32 v42, 20, v42
	v_min_i32_e32 v43, 15, v15
	v_cmp_gt_i32_e32 vcc_lo, 16, v15
	v_and_b32_sdwa v41, v41, v98 dst_sel:DWORD dst_unused:UNUSED_PAD src0_sel:BYTE_3 src1_sel:DWORD
	v_lshlrev_b32_e32 v43, 3, v43
	v_cndmask_b32_e32 v42, 7, v42, vcc_lo
	v_and_b32_e32 v43, 0xf8, v43
	v_and_b32_e32 v44, 7, v42
	v_or_b32_e32 v15, v15, v42
	v_or3_b32 v41, v43, v41, v44
	v_cmp_ne_u32_e32 vcc_lo, 0, v15
	v_cndmask_b32_e32 v15, 0, v41, vcc_lo
.LBB2_698:                              ;   in Loop: Header=BB2_519 Depth=2
	s_or_b32 exec_lo, exec_lo, s29
.LBB2_699:                              ;   in Loop: Header=BB2_519 Depth=2
	s_or_b32 exec_lo, exec_lo, s28
	v_cmp_gt_i16_sdwa s28, v16, v97 src0_sel:BYTE_1 src1_sel:DWORD
	s_mov_b32 s13, 0
	s_and_saveexec_b32 s29, s28
	s_xor_b32 s28, exec_lo, s29
	s_cbranch_execz .LBB2_873
; %bb.700:                              ;   in Loop: Header=BB2_519 Depth=2
	v_cmp_eq_u16_sdwa s40, v16, v98 src0_sel:BYTE_1 src1_sel:DWORD
	s_mov_b32 s13, -1
	s_and_saveexec_b32 s29, s40
; %bb.701:                              ;   in Loop: Header=BB2_519 Depth=2
	s_xor_b32 s13, exec_lo, -1
; %bb.702:                              ;   in Loop: Header=BB2_519 Depth=2
	s_or_b32 exec_lo, exec_lo, s29
	s_and_b32 s13, s13, exec_lo
	s_or_saveexec_b32 s28, s28
	v_mov_b32_e32 v41, 0x7f800001
	s_xor_b32 exec_lo, exec_lo, s28
	s_cbranch_execnz .LBB2_874
.LBB2_703:                              ;   in Loop: Header=BB2_519 Depth=2
	s_or_b32 exec_lo, exec_lo, s28
	s_and_saveexec_b32 s28, s13
	s_cbranch_execz .LBB2_705
.LBB2_704:                              ;   in Loop: Header=BB2_519 Depth=2
	v_and_b32_sdwa v41, v99, v16 dst_sel:DWORD dst_unused:UNUSED_PAD src0_sel:DWORD src1_sel:BYTE_1
	v_and_b32_e32 v42, 7, v41
	v_bfe_u32 v45, v41, 3, 4
	v_ffbh_u32_e32 v43, v42
	v_cmp_eq_u32_e32 vcc_lo, 0, v45
	v_min_u32_e32 v43, 32, v43
	v_subrev_nc_u32_e32 v44, 28, v43
	v_sub_nc_u32_e32 v43, 29, v43
	v_lshlrev_b32_e32 v41, v44, v41
	v_lshlrev_b32_sdwa v44, v100, v16 dst_sel:DWORD dst_unused:UNUSED_PAD src0_sel:DWORD src1_sel:BYTE_1
	v_cndmask_b32_e32 v43, v45, v43, vcc_lo
	v_and_b32_e32 v41, 7, v41
	v_lshl_add_u32 v43, v43, 23, 0x3b800000
	v_cndmask_b32_e32 v41, v42, v41, vcc_lo
	v_and_b32_e32 v42, 0x80000000, v44
	v_lshlrev_b32_e32 v41, 20, v41
	v_or3_b32 v41, v42, v43, v41
.LBB2_705:                              ;   in Loop: Header=BB2_519 Depth=2
	s_or_b32 exec_lo, exec_lo, s28
	v_cmp_gt_i16_sdwa s28, v12, v97 src0_sel:BYTE_1 src1_sel:DWORD
	s_mov_b32 s13, 0
	s_and_saveexec_b32 s29, s28
	s_xor_b32 s28, exec_lo, s29
	s_cbranch_execz .LBB2_875
; %bb.706:                              ;   in Loop: Header=BB2_519 Depth=2
	v_cmp_eq_u16_sdwa s40, v12, v98 src0_sel:BYTE_1 src1_sel:DWORD
	s_mov_b32 s13, -1
	s_and_saveexec_b32 s29, s40
; %bb.707:                              ;   in Loop: Header=BB2_519 Depth=2
	s_xor_b32 s13, exec_lo, -1
; %bb.708:                              ;   in Loop: Header=BB2_519 Depth=2
	s_or_b32 exec_lo, exec_lo, s29
	s_and_b32 s13, s13, exec_lo
	s_or_saveexec_b32 s28, s28
	v_mov_b32_e32 v42, 0x7f800001
	s_xor_b32 exec_lo, exec_lo, s28
	s_cbranch_execnz .LBB2_876
.LBB2_709:                              ;   in Loop: Header=BB2_519 Depth=2
	s_or_b32 exec_lo, exec_lo, s28
	s_and_saveexec_b32 s28, s13
	s_cbranch_execz .LBB2_711
.LBB2_710:                              ;   in Loop: Header=BB2_519 Depth=2
	v_and_b32_sdwa v42, v99, v12 dst_sel:DWORD dst_unused:UNUSED_PAD src0_sel:DWORD src1_sel:BYTE_1
	v_and_b32_e32 v43, 7, v42
	v_bfe_u32 v46, v42, 3, 4
	v_ffbh_u32_e32 v44, v43
	v_cmp_eq_u32_e32 vcc_lo, 0, v46
	v_min_u32_e32 v44, 32, v44
	v_subrev_nc_u32_e32 v45, 28, v44
	v_sub_nc_u32_e32 v44, 29, v44
	v_lshlrev_b32_e32 v42, v45, v42
	v_lshlrev_b32_sdwa v45, v100, v12 dst_sel:DWORD dst_unused:UNUSED_PAD src0_sel:DWORD src1_sel:BYTE_1
	v_cndmask_b32_e32 v44, v46, v44, vcc_lo
	v_and_b32_e32 v42, 7, v42
	v_lshl_add_u32 v44, v44, 23, 0x3b800000
	v_cndmask_b32_e32 v42, v43, v42, vcc_lo
	v_and_b32_e32 v43, 0x80000000, v45
	v_lshlrev_b32_e32 v42, 20, v42
	v_or3_b32 v42, v43, v44, v42
.LBB2_711:                              ;   in Loop: Header=BB2_519 Depth=2
	s_or_b32 exec_lo, exec_lo, s28
	v_add_f32_e32 v42, v41, v42
	v_and_b32_e32 v41, 0x7f800000, v42
	v_cmp_ne_u32_e32 vcc_lo, 0x7f800000, v41
	v_mov_b32_e32 v41, 0x8000
	s_and_saveexec_b32 s28, vcc_lo
	s_cbranch_execz .LBB2_719
; %bb.712:                              ;   in Loop: Header=BB2_519 Depth=2
	v_mov_b32_e32 v41, 0
	s_mov_b32 s29, exec_lo
	v_cmpx_ne_u32_e32 0, v42
	s_cbranch_execz .LBB2_718
; %bb.713:                              ;   in Loop: Header=BB2_519 Depth=2
	v_bfe_u32 v41, v42, 23, 8
	v_and_b32_e32 v43, 0x7fffff, v42
	v_sub_nc_u32_e32 v44, 0x78, v41
	v_cmp_gt_u32_e32 vcc_lo, 0x79, v41
	v_or_b32_e32 v45, 0x800000, v43
	v_cndmask_b32_e32 v44, 0, v44, vcc_lo
	v_cmp_eq_u32_e32 vcc_lo, 0, v41
	v_add_nc_u32_e32 v41, 0xffffff89, v41
	v_cndmask_b32_e64 v44, v44, 0x77, vcc_lo
	v_cndmask_b32_e32 v43, v45, v43, vcc_lo
	v_cndmask_b32_e64 v41, v41, 0xffffff8a, vcc_lo
	v_lshl_add_u32 v45, 0x100000, v44, -1
	v_lshrrev_b32_e32 v46, v44, v43
	v_lshlrev_b32_e64 v56, v44, 0x80000
	v_add_nc_u32_e32 v44, v44, v41
	v_and_b32_e32 v43, v45, v43
	v_bfe_u32 v47, v46, 20, 1
	v_cmp_eq_u32_e64 s13, v43, v56
	v_add_nc_u32_e32 v45, -1, v47
	v_cndmask_b32_e64 v43, 0, v45, s13
	v_lshrrev_b32_e32 v45, 23, v46
	s_mov_b32 s13, exec_lo
	v_add_nc_u32_e32 v43, v43, v46
	v_xor_b32_e32 v45, 1, v45
	v_and_b32_e32 v41, 0xfffff, v43
	v_add_nc_u32_e32 v43, v41, v46
                                        ; implicit-def: $vgpr41
	v_cmpx_ne_u32_e64 v44, v45
	s_xor_b32 s13, exec_lo, s13
; %bb.714:                              ;   in Loop: Header=BB2_519 Depth=2
	v_cmp_lt_u32_e32 vcc_lo, 0xffffff, v43
	v_sub_nc_u32_e32 v41, v44, v45
	v_cndmask_b32_e64 v44, 0, 1, vcc_lo
	v_add_co_ci_u32_e64 v41, null, 0, v41, vcc_lo
	v_lshrrev_b32_e32 v43, v44, v43
; %bb.715:                              ;   in Loop: Header=BB2_519 Depth=2
	s_andn2_saveexec_b32 s13, s13
; %bb.716:                              ;   in Loop: Header=BB2_519 Depth=2
	v_bfe_u32 v41, v43, 23, 1
; %bb.717:                              ;   in Loop: Header=BB2_519 Depth=2
	s_or_b32 exec_lo, exec_lo, s13
	v_lshrrev_b32_e32 v43, 20, v43
	v_min_i32_e32 v44, 15, v41
	v_cmp_gt_i32_e32 vcc_lo, 16, v41
	v_and_b32_sdwa v42, v42, v98 dst_sel:DWORD dst_unused:UNUSED_PAD src0_sel:BYTE_3 src1_sel:DWORD
	v_lshlrev_b32_e32 v44, 3, v44
	v_cndmask_b32_e32 v43, 7, v43, vcc_lo
	v_and_b32_e32 v44, 0xf8, v44
	v_and_b32_e32 v45, 7, v43
	v_or_b32_e32 v41, v41, v43
	v_or3_b32 v42, v42, v44, v45
	v_cmp_ne_u32_e32 vcc_lo, 0, v41
	v_lshlrev_b32_e32 v42, 8, v42
	v_cndmask_b32_e32 v41, 0, v42, vcc_lo
.LBB2_718:                              ;   in Loop: Header=BB2_519 Depth=2
	s_or_b32 exec_lo, exec_lo, s29
.LBB2_719:                              ;   in Loop: Header=BB2_519 Depth=2
	s_or_b32 exec_lo, exec_lo, s28
	v_and_b32_sdwa v43, v16, v101 dst_sel:DWORD dst_unused:UNUSED_PAD src0_sel:WORD_1 src1_sel:DWORD
	s_mov_b32 s13, 0
	s_mov_b32 s28, exec_lo
	v_cmpx_lt_i16_e32 0x7f, v43
	s_xor_b32 s28, exec_lo, s28
	s_cbranch_execz .LBB2_877
; %bb.720:                              ;   in Loop: Header=BB2_519 Depth=2
	s_mov_b32 s13, -1
	s_mov_b32 s29, exec_lo
	v_cmpx_eq_u16_e32 0x80, v43
; %bb.721:                              ;   in Loop: Header=BB2_519 Depth=2
	s_xor_b32 s13, exec_lo, -1
; %bb.722:                              ;   in Loop: Header=BB2_519 Depth=2
	s_or_b32 exec_lo, exec_lo, s29
	s_and_b32 s13, s13, exec_lo
                                        ; implicit-def: $vgpr43
	s_or_saveexec_b32 s28, s28
	v_mov_b32_e32 v42, 0x7f800001
	s_xor_b32 exec_lo, exec_lo, s28
	s_cbranch_execnz .LBB2_878
.LBB2_723:                              ;   in Loop: Header=BB2_519 Depth=2
	s_or_b32 exec_lo, exec_lo, s28
	s_and_saveexec_b32 s28, s13
	s_cbranch_execz .LBB2_725
.LBB2_724:                              ;   in Loop: Header=BB2_519 Depth=2
	v_bfe_u32 v42, v16, 16, 3
	v_bfe_u32 v45, v16, 19, 4
	v_lshlrev_b32_e32 v46, 8, v16
	v_ffbh_u32_e32 v43, v42
	v_cmp_eq_u32_e32 vcc_lo, 0, v45
	v_min_u32_e32 v43, 32, v43
	v_subrev_nc_u32_e32 v44, 28, v43
	v_sub_nc_u32_e32 v43, 29, v43
	v_lshlrev_b32_sdwa v44, v44, v16 dst_sel:DWORD dst_unused:UNUSED_PAD src0_sel:DWORD src1_sel:WORD_1
	v_cndmask_b32_e32 v43, v45, v43, vcc_lo
	v_and_b32_e32 v44, 7, v44
	v_lshl_add_u32 v43, v43, 23, 0x3b800000
	v_cndmask_b32_e32 v42, v42, v44, vcc_lo
	v_and_b32_e32 v44, 0x80000000, v46
	v_lshlrev_b32_e32 v42, 20, v42
	v_or3_b32 v42, v44, v43, v42
.LBB2_725:                              ;   in Loop: Header=BB2_519 Depth=2
	s_or_b32 exec_lo, exec_lo, s28
	v_and_b32_sdwa v44, v12, v101 dst_sel:DWORD dst_unused:UNUSED_PAD src0_sel:WORD_1 src1_sel:DWORD
	s_mov_b32 s13, 0
	s_mov_b32 s28, exec_lo
	v_cmpx_lt_i16_e32 0x7f, v44
	s_xor_b32 s28, exec_lo, s28
	s_cbranch_execz .LBB2_879
; %bb.726:                              ;   in Loop: Header=BB2_519 Depth=2
	s_mov_b32 s13, -1
	s_mov_b32 s29, exec_lo
	v_cmpx_eq_u16_e32 0x80, v44
; %bb.727:                              ;   in Loop: Header=BB2_519 Depth=2
	s_xor_b32 s13, exec_lo, -1
; %bb.728:                              ;   in Loop: Header=BB2_519 Depth=2
	s_or_b32 exec_lo, exec_lo, s29
	s_and_b32 s13, s13, exec_lo
                                        ; implicit-def: $vgpr44
	s_or_saveexec_b32 s28, s28
	v_mov_b32_e32 v43, 0x7f800001
	s_xor_b32 exec_lo, exec_lo, s28
	s_cbranch_execnz .LBB2_880
.LBB2_729:                              ;   in Loop: Header=BB2_519 Depth=2
	s_or_b32 exec_lo, exec_lo, s28
	s_and_saveexec_b32 s28, s13
	s_cbranch_execz .LBB2_731
.LBB2_730:                              ;   in Loop: Header=BB2_519 Depth=2
	v_and_b32_sdwa v43, v12, v102 dst_sel:DWORD dst_unused:UNUSED_PAD src0_sel:WORD_1 src1_sel:DWORD
	v_bfe_u32 v46, v12, 19, 4
	v_lshlrev_b32_sdwa v47, v100, v12 dst_sel:DWORD dst_unused:UNUSED_PAD src0_sel:DWORD src1_sel:WORD_1
	v_ffbh_u32_e32 v44, v43
	v_cmp_eq_u32_e32 vcc_lo, 0, v46
	v_min_u32_e32 v44, 32, v44
	v_subrev_nc_u32_e32 v45, 28, v44
	v_sub_nc_u32_e32 v44, 29, v44
	v_lshlrev_b32_sdwa v45, v45, v12 dst_sel:DWORD dst_unused:UNUSED_PAD src0_sel:DWORD src1_sel:WORD_1
	v_cndmask_b32_e32 v44, v46, v44, vcc_lo
	v_and_b32_e32 v45, 7, v45
	v_lshl_add_u32 v44, v44, 23, 0x3b800000
	v_cndmask_b32_e32 v43, v43, v45, vcc_lo
	v_and_b32_e32 v45, 0x80000000, v47
	v_lshlrev_b32_e32 v43, 20, v43
	v_or3_b32 v43, v45, v44, v43
.LBB2_731:                              ;   in Loop: Header=BB2_519 Depth=2
	s_or_b32 exec_lo, exec_lo, s28
	v_add_f32_e32 v43, v42, v43
	v_and_b32_e32 v42, 0x7f800000, v43
	v_cmp_ne_u32_e32 vcc_lo, 0x7f800000, v42
	v_mov_b32_e32 v42, 0x80
	s_and_saveexec_b32 s28, vcc_lo
	s_cbranch_execz .LBB2_739
; %bb.732:                              ;   in Loop: Header=BB2_519 Depth=2
	v_mov_b32_e32 v42, 0
	s_mov_b32 s29, exec_lo
	v_cmpx_ne_u32_e32 0, v43
	s_cbranch_execz .LBB2_738
; %bb.733:                              ;   in Loop: Header=BB2_519 Depth=2
	v_bfe_u32 v42, v43, 23, 8
	v_and_b32_e32 v44, 0x7fffff, v43
	v_sub_nc_u32_e32 v45, 0x78, v42
	v_cmp_gt_u32_e32 vcc_lo, 0x79, v42
	v_or_b32_e32 v46, 0x800000, v44
	v_cndmask_b32_e32 v45, 0, v45, vcc_lo
	v_cmp_eq_u32_e32 vcc_lo, 0, v42
	v_add_nc_u32_e32 v42, 0xffffff89, v42
	v_cndmask_b32_e64 v45, v45, 0x77, vcc_lo
	v_cndmask_b32_e32 v44, v46, v44, vcc_lo
	v_cndmask_b32_e64 v42, v42, 0xffffff8a, vcc_lo
	v_lshl_add_u32 v46, 0x100000, v45, -1
	v_lshrrev_b32_e32 v47, v45, v44
	v_lshlrev_b32_e64 v57, v45, 0x80000
	v_add_nc_u32_e32 v45, v45, v42
	v_and_b32_e32 v44, v46, v44
	v_bfe_u32 v56, v47, 20, 1
	v_cmp_eq_u32_e64 s13, v44, v57
	v_add_nc_u32_e32 v46, -1, v56
	v_cndmask_b32_e64 v44, 0, v46, s13
	v_lshrrev_b32_e32 v46, 23, v47
	s_mov_b32 s13, exec_lo
	v_add_nc_u32_e32 v44, v44, v47
	v_xor_b32_e32 v46, 1, v46
	v_and_b32_e32 v42, 0xfffff, v44
	v_add_nc_u32_e32 v44, v42, v47
                                        ; implicit-def: $vgpr42
	v_cmpx_ne_u32_e64 v45, v46
	s_xor_b32 s13, exec_lo, s13
; %bb.734:                              ;   in Loop: Header=BB2_519 Depth=2
	v_cmp_lt_u32_e32 vcc_lo, 0xffffff, v44
	v_sub_nc_u32_e32 v42, v45, v46
	v_cndmask_b32_e64 v45, 0, 1, vcc_lo
	v_add_co_ci_u32_e64 v42, null, 0, v42, vcc_lo
	v_lshrrev_b32_e32 v44, v45, v44
; %bb.735:                              ;   in Loop: Header=BB2_519 Depth=2
	s_andn2_saveexec_b32 s13, s13
; %bb.736:                              ;   in Loop: Header=BB2_519 Depth=2
	v_bfe_u32 v42, v44, 23, 1
; %bb.737:                              ;   in Loop: Header=BB2_519 Depth=2
	s_or_b32 exec_lo, exec_lo, s13
	v_lshrrev_b32_e32 v44, 20, v44
	v_min_i32_e32 v45, 15, v42
	v_cmp_gt_i32_e32 vcc_lo, 16, v42
	v_and_b32_sdwa v43, v43, v98 dst_sel:DWORD dst_unused:UNUSED_PAD src0_sel:BYTE_3 src1_sel:DWORD
	v_lshlrev_b32_e32 v45, 3, v45
	v_cndmask_b32_e32 v44, 7, v44, vcc_lo
	v_and_b32_e32 v45, 0xf8, v45
	v_and_b32_e32 v46, 7, v44
	v_or_b32_e32 v42, v42, v44
	v_or3_b32 v43, v45, v43, v46
	v_cmp_ne_u32_e32 vcc_lo, 0, v42
	v_cndmask_b32_e32 v42, 0, v43, vcc_lo
.LBB2_738:                              ;   in Loop: Header=BB2_519 Depth=2
	s_or_b32 exec_lo, exec_lo, s29
.LBB2_739:                              ;   in Loop: Header=BB2_519 Depth=2
	s_or_b32 exec_lo, exec_lo, s28
	v_cmp_gt_i16_sdwa s28, v16, v97 src0_sel:BYTE_3 src1_sel:DWORD
	s_mov_b32 s13, 0
	s_and_saveexec_b32 s29, s28
	s_xor_b32 s28, exec_lo, s29
	s_cbranch_execz .LBB2_881
; %bb.740:                              ;   in Loop: Header=BB2_519 Depth=2
	v_cmp_eq_u16_sdwa s40, v16, v98 src0_sel:BYTE_3 src1_sel:DWORD
	s_mov_b32 s13, -1
	s_and_saveexec_b32 s29, s40
; %bb.741:                              ;   in Loop: Header=BB2_519 Depth=2
	s_xor_b32 s13, exec_lo, -1
; %bb.742:                              ;   in Loop: Header=BB2_519 Depth=2
	s_or_b32 exec_lo, exec_lo, s29
	s_and_b32 s13, s13, exec_lo
	s_or_saveexec_b32 s28, s28
	v_mov_b32_e32 v43, 0x7f800001
	s_xor_b32 exec_lo, exec_lo, s28
	s_cbranch_execnz .LBB2_882
.LBB2_743:                              ;   in Loop: Header=BB2_519 Depth=2
	s_or_b32 exec_lo, exec_lo, s28
	s_and_saveexec_b32 s28, s13
	s_cbranch_execz .LBB2_745
.LBB2_744:                              ;   in Loop: Header=BB2_519 Depth=2
	v_bfe_u32 v43, v16, 24, 3
	v_bfe_u32 v46, v16, 27, 4
	v_ffbh_u32_e32 v44, v43
	v_cmp_eq_u32_e32 vcc_lo, 0, v46
	v_min_u32_e32 v44, 32, v44
	v_subrev_nc_u32_e32 v45, 28, v44
	v_sub_nc_u32_e32 v44, 29, v44
	v_lshlrev_b32_sdwa v45, v45, v16 dst_sel:DWORD dst_unused:UNUSED_PAD src0_sel:DWORD src1_sel:BYTE_3
	v_cndmask_b32_e32 v44, v46, v44, vcc_lo
	v_and_b32_e32 v16, 0x80000000, v16
	v_and_b32_e32 v45, 7, v45
	v_lshl_add_u32 v44, v44, 23, 0x3b800000
	v_cndmask_b32_e32 v43, v43, v45, vcc_lo
	v_lshlrev_b32_e32 v43, 20, v43
	v_or3_b32 v43, v16, v44, v43
.LBB2_745:                              ;   in Loop: Header=BB2_519 Depth=2
	s_or_b32 exec_lo, exec_lo, s28
	v_cmp_gt_i16_sdwa s28, v12, v97 src0_sel:BYTE_3 src1_sel:DWORD
	s_mov_b32 s13, 0
	s_and_saveexec_b32 s29, s28
	s_xor_b32 s28, exec_lo, s29
	s_cbranch_execz .LBB2_883
; %bb.746:                              ;   in Loop: Header=BB2_519 Depth=2
	v_cmp_eq_u16_sdwa s40, v12, v98 src0_sel:BYTE_3 src1_sel:DWORD
	s_mov_b32 s13, -1
	s_and_saveexec_b32 s29, s40
; %bb.747:                              ;   in Loop: Header=BB2_519 Depth=2
	s_xor_b32 s13, exec_lo, -1
; %bb.748:                              ;   in Loop: Header=BB2_519 Depth=2
	s_or_b32 exec_lo, exec_lo, s29
	s_and_b32 s13, s13, exec_lo
	s_or_saveexec_b32 s28, s28
	v_mov_b32_e32 v16, 0x7f800001
	s_xor_b32 exec_lo, exec_lo, s28
	s_cbranch_execnz .LBB2_884
.LBB2_749:                              ;   in Loop: Header=BB2_519 Depth=2
	s_or_b32 exec_lo, exec_lo, s28
	s_and_saveexec_b32 s28, s13
	s_cbranch_execz .LBB2_751
.LBB2_750:                              ;   in Loop: Header=BB2_519 Depth=2
	v_and_b32_sdwa v16, v12, v102 dst_sel:DWORD dst_unused:UNUSED_PAD src0_sel:BYTE_3 src1_sel:DWORD
	v_bfe_u32 v46, v12, 27, 4
	v_ffbh_u32_e32 v44, v16
	v_cmp_eq_u32_e32 vcc_lo, 0, v46
	v_min_u32_e32 v44, 32, v44
	v_subrev_nc_u32_e32 v45, 28, v44
	v_sub_nc_u32_e32 v44, 29, v44
	v_lshlrev_b32_sdwa v45, v45, v12 dst_sel:DWORD dst_unused:UNUSED_PAD src0_sel:DWORD src1_sel:BYTE_3
	v_cndmask_b32_e32 v44, v46, v44, vcc_lo
	v_and_b32_e32 v12, 0x80000000, v12
	v_and_b32_e32 v45, 7, v45
	v_lshl_add_u32 v44, v44, 23, 0x3b800000
	v_cndmask_b32_e32 v16, v16, v45, vcc_lo
	v_lshlrev_b32_e32 v16, 20, v16
	v_or3_b32 v16, v12, v44, v16
.LBB2_751:                              ;   in Loop: Header=BB2_519 Depth=2
	s_or_b32 exec_lo, exec_lo, s28
	v_add_f32_e32 v16, v43, v16
	v_and_b32_e32 v12, 0x7f800000, v16
	v_cmp_ne_u32_e32 vcc_lo, 0x7f800000, v12
	v_mov_b32_e32 v12, 0x8000
	s_and_saveexec_b32 s28, vcc_lo
	s_cbranch_execz .LBB2_759
; %bb.752:                              ;   in Loop: Header=BB2_519 Depth=2
	v_mov_b32_e32 v12, 0
	s_mov_b32 s29, exec_lo
	v_cmpx_ne_u32_e32 0, v16
	s_cbranch_execz .LBB2_758
; %bb.753:                              ;   in Loop: Header=BB2_519 Depth=2
	v_bfe_u32 v12, v16, 23, 8
	v_and_b32_e32 v43, 0x7fffff, v16
	v_sub_nc_u32_e32 v44, 0x78, v12
	v_cmp_gt_u32_e32 vcc_lo, 0x79, v12
	v_or_b32_e32 v45, 0x800000, v43
	v_cndmask_b32_e32 v44, 0, v44, vcc_lo
	v_cmp_eq_u32_e32 vcc_lo, 0, v12
	v_add_nc_u32_e32 v12, 0xffffff89, v12
	v_cndmask_b32_e64 v44, v44, 0x77, vcc_lo
	v_cndmask_b32_e32 v43, v45, v43, vcc_lo
	v_cndmask_b32_e64 v12, v12, 0xffffff8a, vcc_lo
	v_lshl_add_u32 v45, 0x100000, v44, -1
	v_lshrrev_b32_e32 v46, v44, v43
	v_lshlrev_b32_e64 v56, v44, 0x80000
	v_add_nc_u32_e32 v44, v44, v12
	v_and_b32_e32 v43, v45, v43
	v_bfe_u32 v47, v46, 20, 1
	v_cmp_eq_u32_e64 s13, v43, v56
	v_add_nc_u32_e32 v45, -1, v47
	v_cndmask_b32_e64 v43, 0, v45, s13
	v_lshrrev_b32_e32 v45, 23, v46
	s_mov_b32 s13, exec_lo
	v_add_nc_u32_e32 v43, v43, v46
	v_xor_b32_e32 v45, 1, v45
	v_and_b32_e32 v12, 0xfffff, v43
	v_add_nc_u32_e32 v43, v12, v46
                                        ; implicit-def: $vgpr12
	v_cmpx_ne_u32_e64 v44, v45
	s_xor_b32 s13, exec_lo, s13
; %bb.754:                              ;   in Loop: Header=BB2_519 Depth=2
	v_cmp_lt_u32_e32 vcc_lo, 0xffffff, v43
	v_sub_nc_u32_e32 v12, v44, v45
	v_cndmask_b32_e64 v44, 0, 1, vcc_lo
	v_add_co_ci_u32_e64 v12, null, 0, v12, vcc_lo
	v_lshrrev_b32_e32 v43, v44, v43
; %bb.755:                              ;   in Loop: Header=BB2_519 Depth=2
	s_andn2_saveexec_b32 s13, s13
; %bb.756:                              ;   in Loop: Header=BB2_519 Depth=2
	v_bfe_u32 v12, v43, 23, 1
; %bb.757:                              ;   in Loop: Header=BB2_519 Depth=2
	s_or_b32 exec_lo, exec_lo, s13
	v_lshrrev_b32_e32 v43, 20, v43
	v_min_i32_e32 v44, 15, v12
	v_cmp_gt_i32_e32 vcc_lo, 16, v12
	v_and_b32_sdwa v16, v16, v98 dst_sel:DWORD dst_unused:UNUSED_PAD src0_sel:BYTE_3 src1_sel:DWORD
	v_lshlrev_b32_e32 v44, 3, v44
	v_cndmask_b32_e32 v43, 7, v43, vcc_lo
	v_and_b32_e32 v44, 0xf8, v44
	v_and_b32_e32 v45, 7, v43
	v_or_b32_e32 v12, v12, v43
	v_or3_b32 v16, v16, v44, v45
	v_cmp_ne_u32_e32 vcc_lo, 0, v12
	v_lshlrev_b32_e32 v16, 8, v16
	v_cndmask_b32_e32 v12, 0, v16, vcc_lo
.LBB2_758:                              ;   in Loop: Header=BB2_519 Depth=2
	s_or_b32 exec_lo, exec_lo, s29
.LBB2_759:                              ;   in Loop: Header=BB2_519 Depth=2
	s_or_b32 exec_lo, exec_lo, s28
	v_cmp_gt_i16_sdwa s28, v17, v97 src0_sel:BYTE_0 src1_sel:DWORD
	s_mov_b32 s13, 0
	s_and_saveexec_b32 s29, s28
	s_xor_b32 s28, exec_lo, s29
	s_cbranch_execz .LBB2_885
; %bb.760:                              ;   in Loop: Header=BB2_519 Depth=2
	v_cmp_eq_u16_sdwa s40, v17, v98 src0_sel:BYTE_0 src1_sel:DWORD
	s_mov_b32 s13, -1
	s_and_saveexec_b32 s29, s40
; %bb.761:                              ;   in Loop: Header=BB2_519 Depth=2
	s_xor_b32 s13, exec_lo, -1
; %bb.762:                              ;   in Loop: Header=BB2_519 Depth=2
	s_or_b32 exec_lo, exec_lo, s29
	s_and_b32 s13, s13, exec_lo
	s_or_saveexec_b32 s28, s28
	v_mov_b32_e32 v16, 0x7f800001
	s_xor_b32 exec_lo, exec_lo, s28
	s_cbranch_execnz .LBB2_886
.LBB2_763:                              ;   in Loop: Header=BB2_519 Depth=2
	s_or_b32 exec_lo, exec_lo, s28
	s_and_saveexec_b32 s28, s13
	s_cbranch_execz .LBB2_765
.LBB2_764:                              ;   in Loop: Header=BB2_519 Depth=2
	v_and_b32_e32 v16, 7, v17
	v_bfe_u32 v45, v17, 3, 4
	v_lshlrev_b32_e32 v46, 24, v17
	v_ffbh_u32_e32 v43, v16
	v_cmp_eq_u32_e32 vcc_lo, 0, v45
	v_min_u32_e32 v43, 32, v43
	v_subrev_nc_u32_e32 v44, 28, v43
	v_sub_nc_u32_e32 v43, 29, v43
	v_lshlrev_b32_e32 v44, v44, v17
	v_cndmask_b32_e32 v43, v45, v43, vcc_lo
	v_and_b32_e32 v44, 7, v44
	v_lshl_add_u32 v43, v43, 23, 0x3b800000
	v_cndmask_b32_e32 v16, v16, v44, vcc_lo
	v_and_b32_e32 v44, 0x80000000, v46
	v_lshlrev_b32_e32 v16, 20, v16
	v_or3_b32 v16, v44, v43, v16
.LBB2_765:                              ;   in Loop: Header=BB2_519 Depth=2
	s_or_b32 exec_lo, exec_lo, s28
	v_cmp_gt_i16_sdwa s28, v13, v97 src0_sel:BYTE_0 src1_sel:DWORD
	s_mov_b32 s13, 0
	s_and_saveexec_b32 s29, s28
	s_xor_b32 s28, exec_lo, s29
	s_cbranch_execz .LBB2_887
; %bb.766:                              ;   in Loop: Header=BB2_519 Depth=2
	v_cmp_eq_u16_sdwa s40, v13, v98 src0_sel:BYTE_0 src1_sel:DWORD
	s_mov_b32 s13, -1
	s_and_saveexec_b32 s29, s40
; %bb.767:                              ;   in Loop: Header=BB2_519 Depth=2
	s_xor_b32 s13, exec_lo, -1
; %bb.768:                              ;   in Loop: Header=BB2_519 Depth=2
	s_or_b32 exec_lo, exec_lo, s29
	s_and_b32 s13, s13, exec_lo
	s_or_saveexec_b32 s28, s28
	v_mov_b32_e32 v43, 0x7f800001
	s_xor_b32 exec_lo, exec_lo, s28
	s_cbranch_execnz .LBB2_888
.LBB2_769:                              ;   in Loop: Header=BB2_519 Depth=2
	s_or_b32 exec_lo, exec_lo, s28
	s_and_saveexec_b32 s28, s13
	s_cbranch_execz .LBB2_771
.LBB2_770:                              ;   in Loop: Header=BB2_519 Depth=2
	v_and_b32_e32 v43, 7, v13
	v_bfe_u32 v46, v13, 3, 4
	v_lshlrev_b32_e32 v47, 24, v13
	v_ffbh_u32_e32 v44, v43
	v_cmp_eq_u32_e32 vcc_lo, 0, v46
	v_min_u32_e32 v44, 32, v44
	v_subrev_nc_u32_e32 v45, 28, v44
	v_sub_nc_u32_e32 v44, 29, v44
	v_lshlrev_b32_e32 v45, v45, v13
	v_cndmask_b32_e32 v44, v46, v44, vcc_lo
	v_and_b32_e32 v45, 7, v45
	v_lshl_add_u32 v44, v44, 23, 0x3b800000
	v_cndmask_b32_e32 v43, v43, v45, vcc_lo
	v_and_b32_e32 v45, 0x80000000, v47
	v_lshlrev_b32_e32 v43, 20, v43
	v_or3_b32 v43, v45, v44, v43
.LBB2_771:                              ;   in Loop: Header=BB2_519 Depth=2
	s_or_b32 exec_lo, exec_lo, s28
	v_add_f32_e32 v43, v16, v43
	v_and_b32_e32 v16, 0x7f800000, v43
	v_cmp_ne_u32_e32 vcc_lo, 0x7f800000, v16
	v_mov_b32_e32 v16, 0x80
	s_and_saveexec_b32 s28, vcc_lo
	s_cbranch_execz .LBB2_779
; %bb.772:                              ;   in Loop: Header=BB2_519 Depth=2
	v_mov_b32_e32 v16, 0
	s_mov_b32 s29, exec_lo
	v_cmpx_ne_u32_e32 0, v43
	s_cbranch_execz .LBB2_778
; %bb.773:                              ;   in Loop: Header=BB2_519 Depth=2
	v_bfe_u32 v16, v43, 23, 8
	v_and_b32_e32 v44, 0x7fffff, v43
	v_sub_nc_u32_e32 v45, 0x78, v16
	v_cmp_gt_u32_e32 vcc_lo, 0x79, v16
	v_or_b32_e32 v46, 0x800000, v44
	v_cndmask_b32_e32 v45, 0, v45, vcc_lo
	v_cmp_eq_u32_e32 vcc_lo, 0, v16
	v_add_nc_u32_e32 v16, 0xffffff89, v16
	v_cndmask_b32_e64 v45, v45, 0x77, vcc_lo
	v_cndmask_b32_e32 v44, v46, v44, vcc_lo
	v_cndmask_b32_e64 v16, v16, 0xffffff8a, vcc_lo
	v_lshl_add_u32 v46, 0x100000, v45, -1
	v_lshrrev_b32_e32 v47, v45, v44
	v_lshlrev_b32_e64 v57, v45, 0x80000
	v_add_nc_u32_e32 v45, v45, v16
	v_and_b32_e32 v44, v46, v44
	v_bfe_u32 v56, v47, 20, 1
	v_cmp_eq_u32_e64 s13, v44, v57
	v_add_nc_u32_e32 v46, -1, v56
	v_cndmask_b32_e64 v44, 0, v46, s13
	v_lshrrev_b32_e32 v46, 23, v47
	s_mov_b32 s13, exec_lo
	v_add_nc_u32_e32 v44, v44, v47
	v_xor_b32_e32 v46, 1, v46
	v_and_b32_e32 v16, 0xfffff, v44
	v_add_nc_u32_e32 v44, v16, v47
                                        ; implicit-def: $vgpr16
	v_cmpx_ne_u32_e64 v45, v46
	s_xor_b32 s13, exec_lo, s13
; %bb.774:                              ;   in Loop: Header=BB2_519 Depth=2
	v_cmp_lt_u32_e32 vcc_lo, 0xffffff, v44
	v_sub_nc_u32_e32 v16, v45, v46
	v_cndmask_b32_e64 v45, 0, 1, vcc_lo
	v_add_co_ci_u32_e64 v16, null, 0, v16, vcc_lo
	v_lshrrev_b32_e32 v44, v45, v44
; %bb.775:                              ;   in Loop: Header=BB2_519 Depth=2
	s_andn2_saveexec_b32 s13, s13
; %bb.776:                              ;   in Loop: Header=BB2_519 Depth=2
	v_bfe_u32 v16, v44, 23, 1
; %bb.777:                              ;   in Loop: Header=BB2_519 Depth=2
	s_or_b32 exec_lo, exec_lo, s13
	v_lshrrev_b32_e32 v44, 20, v44
	v_min_i32_e32 v45, 15, v16
	v_cmp_gt_i32_e32 vcc_lo, 16, v16
	v_and_b32_sdwa v43, v43, v98 dst_sel:DWORD dst_unused:UNUSED_PAD src0_sel:BYTE_3 src1_sel:DWORD
	v_lshlrev_b32_e32 v45, 3, v45
	v_cndmask_b32_e32 v44, 7, v44, vcc_lo
	v_and_b32_e32 v45, 0xf8, v45
	v_and_b32_e32 v46, 7, v44
	v_or_b32_e32 v16, v16, v44
	v_or3_b32 v43, v45, v43, v46
	v_cmp_ne_u32_e32 vcc_lo, 0, v16
	v_cndmask_b32_e32 v16, 0, v43, vcc_lo
.LBB2_778:                              ;   in Loop: Header=BB2_519 Depth=2
	s_or_b32 exec_lo, exec_lo, s29
.LBB2_779:                              ;   in Loop: Header=BB2_519 Depth=2
	s_or_b32 exec_lo, exec_lo, s28
	v_cmp_gt_i16_sdwa s28, v17, v97 src0_sel:BYTE_1 src1_sel:DWORD
	s_mov_b32 s13, 0
	s_and_saveexec_b32 s29, s28
	s_xor_b32 s28, exec_lo, s29
	s_cbranch_execz .LBB2_889
; %bb.780:                              ;   in Loop: Header=BB2_519 Depth=2
	v_cmp_eq_u16_sdwa s40, v17, v98 src0_sel:BYTE_1 src1_sel:DWORD
	s_mov_b32 s13, -1
	s_and_saveexec_b32 s29, s40
; %bb.781:                              ;   in Loop: Header=BB2_519 Depth=2
	s_xor_b32 s13, exec_lo, -1
; %bb.782:                              ;   in Loop: Header=BB2_519 Depth=2
	s_or_b32 exec_lo, exec_lo, s29
	s_and_b32 s13, s13, exec_lo
	s_or_saveexec_b32 s28, s28
	v_mov_b32_e32 v43, 0x7f800001
	s_xor_b32 exec_lo, exec_lo, s28
	s_cbranch_execnz .LBB2_890
.LBB2_783:                              ;   in Loop: Header=BB2_519 Depth=2
	s_or_b32 exec_lo, exec_lo, s28
	s_and_saveexec_b32 s28, s13
	s_cbranch_execz .LBB2_785
.LBB2_784:                              ;   in Loop: Header=BB2_519 Depth=2
	v_and_b32_sdwa v43, v99, v17 dst_sel:DWORD dst_unused:UNUSED_PAD src0_sel:DWORD src1_sel:BYTE_1
	v_and_b32_e32 v44, 7, v43
	v_bfe_u32 v47, v43, 3, 4
	v_ffbh_u32_e32 v45, v44
	v_cmp_eq_u32_e32 vcc_lo, 0, v47
	v_min_u32_e32 v45, 32, v45
	v_subrev_nc_u32_e32 v46, 28, v45
	v_sub_nc_u32_e32 v45, 29, v45
	v_lshlrev_b32_e32 v43, v46, v43
	v_lshlrev_b32_sdwa v46, v100, v17 dst_sel:DWORD dst_unused:UNUSED_PAD src0_sel:DWORD src1_sel:BYTE_1
	v_cndmask_b32_e32 v45, v47, v45, vcc_lo
	v_and_b32_e32 v43, 7, v43
	v_lshl_add_u32 v45, v45, 23, 0x3b800000
	v_cndmask_b32_e32 v43, v44, v43, vcc_lo
	v_and_b32_e32 v44, 0x80000000, v46
	v_lshlrev_b32_e32 v43, 20, v43
	v_or3_b32 v43, v44, v45, v43
.LBB2_785:                              ;   in Loop: Header=BB2_519 Depth=2
	s_or_b32 exec_lo, exec_lo, s28
	v_cmp_gt_i16_sdwa s28, v13, v97 src0_sel:BYTE_1 src1_sel:DWORD
	s_mov_b32 s13, 0
	s_and_saveexec_b32 s29, s28
	s_xor_b32 s28, exec_lo, s29
	s_cbranch_execz .LBB2_891
; %bb.786:                              ;   in Loop: Header=BB2_519 Depth=2
	v_cmp_eq_u16_sdwa s40, v13, v98 src0_sel:BYTE_1 src1_sel:DWORD
	s_mov_b32 s13, -1
	s_and_saveexec_b32 s29, s40
; %bb.787:                              ;   in Loop: Header=BB2_519 Depth=2
	s_xor_b32 s13, exec_lo, -1
; %bb.788:                              ;   in Loop: Header=BB2_519 Depth=2
	s_or_b32 exec_lo, exec_lo, s29
	s_and_b32 s13, s13, exec_lo
	s_or_saveexec_b32 s28, s28
	v_mov_b32_e32 v44, 0x7f800001
	s_xor_b32 exec_lo, exec_lo, s28
	s_cbranch_execnz .LBB2_892
.LBB2_789:                              ;   in Loop: Header=BB2_519 Depth=2
	s_or_b32 exec_lo, exec_lo, s28
	s_and_saveexec_b32 s28, s13
	s_cbranch_execz .LBB2_791
.LBB2_790:                              ;   in Loop: Header=BB2_519 Depth=2
	v_and_b32_sdwa v44, v99, v13 dst_sel:DWORD dst_unused:UNUSED_PAD src0_sel:DWORD src1_sel:BYTE_1
	v_and_b32_e32 v45, 7, v44
	v_bfe_u32 v56, v44, 3, 4
	v_ffbh_u32_e32 v46, v45
	v_cmp_eq_u32_e32 vcc_lo, 0, v56
	v_min_u32_e32 v46, 32, v46
	v_subrev_nc_u32_e32 v47, 28, v46
	v_sub_nc_u32_e32 v46, 29, v46
	v_lshlrev_b32_e32 v44, v47, v44
	v_lshlrev_b32_sdwa v47, v100, v13 dst_sel:DWORD dst_unused:UNUSED_PAD src0_sel:DWORD src1_sel:BYTE_1
	v_cndmask_b32_e32 v46, v56, v46, vcc_lo
	v_and_b32_e32 v44, 7, v44
	v_lshl_add_u32 v46, v46, 23, 0x3b800000
	v_cndmask_b32_e32 v44, v45, v44, vcc_lo
	v_and_b32_e32 v45, 0x80000000, v47
	v_lshlrev_b32_e32 v44, 20, v44
	v_or3_b32 v44, v45, v46, v44
.LBB2_791:                              ;   in Loop: Header=BB2_519 Depth=2
	s_or_b32 exec_lo, exec_lo, s28
	v_add_f32_e32 v44, v43, v44
	v_and_b32_e32 v43, 0x7f800000, v44
	v_cmp_ne_u32_e32 vcc_lo, 0x7f800000, v43
	v_mov_b32_e32 v43, 0x8000
	s_and_saveexec_b32 s28, vcc_lo
	s_cbranch_execz .LBB2_799
; %bb.792:                              ;   in Loop: Header=BB2_519 Depth=2
	v_mov_b32_e32 v43, 0
	s_mov_b32 s29, exec_lo
	v_cmpx_ne_u32_e32 0, v44
	s_cbranch_execz .LBB2_798
; %bb.793:                              ;   in Loop: Header=BB2_519 Depth=2
	v_bfe_u32 v43, v44, 23, 8
	v_and_b32_e32 v45, 0x7fffff, v44
	v_sub_nc_u32_e32 v46, 0x78, v43
	v_cmp_gt_u32_e32 vcc_lo, 0x79, v43
	v_or_b32_e32 v47, 0x800000, v45
	v_cndmask_b32_e32 v46, 0, v46, vcc_lo
	v_cmp_eq_u32_e32 vcc_lo, 0, v43
	v_add_nc_u32_e32 v43, 0xffffff89, v43
	v_cndmask_b32_e64 v46, v46, 0x77, vcc_lo
	v_cndmask_b32_e32 v45, v47, v45, vcc_lo
	v_cndmask_b32_e64 v43, v43, 0xffffff8a, vcc_lo
	v_lshl_add_u32 v47, 0x100000, v46, -1
	v_lshrrev_b32_e32 v56, v46, v45
	v_lshlrev_b32_e64 v58, v46, 0x80000
	v_add_nc_u32_e32 v46, v46, v43
	v_and_b32_e32 v45, v47, v45
	v_bfe_u32 v57, v56, 20, 1
	v_cmp_eq_u32_e64 s13, v45, v58
	v_add_nc_u32_e32 v47, -1, v57
	v_cndmask_b32_e64 v45, 0, v47, s13
	v_lshrrev_b32_e32 v47, 23, v56
	s_mov_b32 s13, exec_lo
	v_add_nc_u32_e32 v45, v45, v56
	v_xor_b32_e32 v47, 1, v47
	v_and_b32_e32 v43, 0xfffff, v45
	v_add_nc_u32_e32 v45, v43, v56
                                        ; implicit-def: $vgpr43
	v_cmpx_ne_u32_e64 v46, v47
	s_xor_b32 s13, exec_lo, s13
; %bb.794:                              ;   in Loop: Header=BB2_519 Depth=2
	v_cmp_lt_u32_e32 vcc_lo, 0xffffff, v45
	v_sub_nc_u32_e32 v43, v46, v47
	v_cndmask_b32_e64 v46, 0, 1, vcc_lo
	v_add_co_ci_u32_e64 v43, null, 0, v43, vcc_lo
	v_lshrrev_b32_e32 v45, v46, v45
; %bb.795:                              ;   in Loop: Header=BB2_519 Depth=2
	s_andn2_saveexec_b32 s13, s13
; %bb.796:                              ;   in Loop: Header=BB2_519 Depth=2
	v_bfe_u32 v43, v45, 23, 1
; %bb.797:                              ;   in Loop: Header=BB2_519 Depth=2
	s_or_b32 exec_lo, exec_lo, s13
	v_lshrrev_b32_e32 v45, 20, v45
	v_min_i32_e32 v46, 15, v43
	v_cmp_gt_i32_e32 vcc_lo, 16, v43
	v_and_b32_sdwa v44, v44, v98 dst_sel:DWORD dst_unused:UNUSED_PAD src0_sel:BYTE_3 src1_sel:DWORD
	v_lshlrev_b32_e32 v46, 3, v46
	v_cndmask_b32_e32 v45, 7, v45, vcc_lo
	v_and_b32_e32 v46, 0xf8, v46
	v_and_b32_e32 v47, 7, v45
	v_or_b32_e32 v43, v43, v45
	v_or3_b32 v44, v44, v46, v47
	v_cmp_ne_u32_e32 vcc_lo, 0, v43
	v_lshlrev_b32_e32 v44, 8, v44
	v_cndmask_b32_e32 v43, 0, v44, vcc_lo
.LBB2_798:                              ;   in Loop: Header=BB2_519 Depth=2
	s_or_b32 exec_lo, exec_lo, s29
.LBB2_799:                              ;   in Loop: Header=BB2_519 Depth=2
	s_or_b32 exec_lo, exec_lo, s28
	v_and_b32_sdwa v45, v17, v101 dst_sel:DWORD dst_unused:UNUSED_PAD src0_sel:WORD_1 src1_sel:DWORD
	s_mov_b32 s13, 0
	s_mov_b32 s28, exec_lo
	v_cmpx_lt_i16_e32 0x7f, v45
	s_xor_b32 s28, exec_lo, s28
	s_cbranch_execz .LBB2_893
; %bb.800:                              ;   in Loop: Header=BB2_519 Depth=2
	s_mov_b32 s13, -1
	s_mov_b32 s29, exec_lo
	v_cmpx_eq_u16_e32 0x80, v45
; %bb.801:                              ;   in Loop: Header=BB2_519 Depth=2
	s_xor_b32 s13, exec_lo, -1
; %bb.802:                              ;   in Loop: Header=BB2_519 Depth=2
	s_or_b32 exec_lo, exec_lo, s29
	s_and_b32 s13, s13, exec_lo
                                        ; implicit-def: $vgpr45
	s_or_saveexec_b32 s28, s28
	v_mov_b32_e32 v44, 0x7f800001
	s_xor_b32 exec_lo, exec_lo, s28
	s_cbranch_execnz .LBB2_894
.LBB2_803:                              ;   in Loop: Header=BB2_519 Depth=2
	s_or_b32 exec_lo, exec_lo, s28
	s_and_saveexec_b32 s28, s13
	s_cbranch_execz .LBB2_805
.LBB2_804:                              ;   in Loop: Header=BB2_519 Depth=2
	v_bfe_u32 v44, v17, 16, 3
	v_bfe_u32 v47, v17, 19, 4
	v_lshlrev_b32_e32 v56, 8, v17
	v_ffbh_u32_e32 v45, v44
	v_cmp_eq_u32_e32 vcc_lo, 0, v47
	v_min_u32_e32 v45, 32, v45
	v_subrev_nc_u32_e32 v46, 28, v45
	v_sub_nc_u32_e32 v45, 29, v45
	v_lshlrev_b32_sdwa v46, v46, v17 dst_sel:DWORD dst_unused:UNUSED_PAD src0_sel:DWORD src1_sel:WORD_1
	v_cndmask_b32_e32 v45, v47, v45, vcc_lo
	v_and_b32_e32 v46, 7, v46
	v_lshl_add_u32 v45, v45, 23, 0x3b800000
	v_cndmask_b32_e32 v44, v44, v46, vcc_lo
	v_and_b32_e32 v46, 0x80000000, v56
	v_lshlrev_b32_e32 v44, 20, v44
	v_or3_b32 v44, v46, v45, v44
.LBB2_805:                              ;   in Loop: Header=BB2_519 Depth=2
	s_or_b32 exec_lo, exec_lo, s28
	v_and_b32_sdwa v46, v13, v101 dst_sel:DWORD dst_unused:UNUSED_PAD src0_sel:WORD_1 src1_sel:DWORD
	s_mov_b32 s13, 0
	s_mov_b32 s28, exec_lo
	v_cmpx_lt_i16_e32 0x7f, v46
	s_xor_b32 s28, exec_lo, s28
	s_cbranch_execz .LBB2_895
; %bb.806:                              ;   in Loop: Header=BB2_519 Depth=2
	s_mov_b32 s13, -1
	s_mov_b32 s29, exec_lo
	v_cmpx_eq_u16_e32 0x80, v46
; %bb.807:                              ;   in Loop: Header=BB2_519 Depth=2
	s_xor_b32 s13, exec_lo, -1
; %bb.808:                              ;   in Loop: Header=BB2_519 Depth=2
	s_or_b32 exec_lo, exec_lo, s29
	s_and_b32 s13, s13, exec_lo
                                        ; implicit-def: $vgpr46
	s_or_saveexec_b32 s28, s28
	v_mov_b32_e32 v45, 0x7f800001
	s_xor_b32 exec_lo, exec_lo, s28
	s_cbranch_execnz .LBB2_896
.LBB2_809:                              ;   in Loop: Header=BB2_519 Depth=2
	s_or_b32 exec_lo, exec_lo, s28
	s_and_saveexec_b32 s28, s13
	s_cbranch_execz .LBB2_811
.LBB2_810:                              ;   in Loop: Header=BB2_519 Depth=2
	v_and_b32_sdwa v45, v13, v102 dst_sel:DWORD dst_unused:UNUSED_PAD src0_sel:WORD_1 src1_sel:DWORD
	v_bfe_u32 v56, v13, 19, 4
	v_lshlrev_b32_sdwa v57, v100, v13 dst_sel:DWORD dst_unused:UNUSED_PAD src0_sel:DWORD src1_sel:WORD_1
	v_ffbh_u32_e32 v46, v45
	v_cmp_eq_u32_e32 vcc_lo, 0, v56
	v_min_u32_e32 v46, 32, v46
	v_subrev_nc_u32_e32 v47, 28, v46
	v_sub_nc_u32_e32 v46, 29, v46
	v_lshlrev_b32_sdwa v47, v47, v13 dst_sel:DWORD dst_unused:UNUSED_PAD src0_sel:DWORD src1_sel:WORD_1
	v_cndmask_b32_e32 v46, v56, v46, vcc_lo
	v_and_b32_e32 v47, 7, v47
	v_lshl_add_u32 v46, v46, 23, 0x3b800000
	v_cndmask_b32_e32 v45, v45, v47, vcc_lo
	v_and_b32_e32 v47, 0x80000000, v57
	v_lshlrev_b32_e32 v45, 20, v45
	v_or3_b32 v45, v47, v46, v45
.LBB2_811:                              ;   in Loop: Header=BB2_519 Depth=2
	s_or_b32 exec_lo, exec_lo, s28
	v_add_f32_e32 v45, v44, v45
	v_and_b32_e32 v44, 0x7f800000, v45
	v_cmp_ne_u32_e32 vcc_lo, 0x7f800000, v44
	v_mov_b32_e32 v44, 0x80
	s_and_saveexec_b32 s28, vcc_lo
	s_cbranch_execz .LBB2_819
; %bb.812:                              ;   in Loop: Header=BB2_519 Depth=2
	v_mov_b32_e32 v44, 0
	s_mov_b32 s29, exec_lo
	v_cmpx_ne_u32_e32 0, v45
	s_cbranch_execz .LBB2_818
; %bb.813:                              ;   in Loop: Header=BB2_519 Depth=2
	v_bfe_u32 v44, v45, 23, 8
	v_and_b32_e32 v46, 0x7fffff, v45
	v_sub_nc_u32_e32 v47, 0x78, v44
	v_cmp_gt_u32_e32 vcc_lo, 0x79, v44
	v_or_b32_e32 v56, 0x800000, v46
	v_cndmask_b32_e32 v47, 0, v47, vcc_lo
	v_cmp_eq_u32_e32 vcc_lo, 0, v44
	v_add_nc_u32_e32 v44, 0xffffff89, v44
	v_cndmask_b32_e64 v47, v47, 0x77, vcc_lo
	v_cndmask_b32_e32 v46, v56, v46, vcc_lo
	v_cndmask_b32_e64 v44, v44, 0xffffff8a, vcc_lo
	v_lshl_add_u32 v56, 0x100000, v47, -1
	v_lshrrev_b32_e32 v57, v47, v46
	v_lshlrev_b32_e64 v59, v47, 0x80000
	v_add_nc_u32_e32 v47, v47, v44
	v_and_b32_e32 v46, v56, v46
	v_bfe_u32 v58, v57, 20, 1
	v_cmp_eq_u32_e64 s13, v46, v59
	v_add_nc_u32_e32 v56, -1, v58
	v_cndmask_b32_e64 v46, 0, v56, s13
	v_lshrrev_b32_e32 v56, 23, v57
	s_mov_b32 s13, exec_lo
	v_add_nc_u32_e32 v46, v46, v57
	v_xor_b32_e32 v56, 1, v56
	v_and_b32_e32 v44, 0xfffff, v46
	v_add_nc_u32_e32 v46, v44, v57
                                        ; implicit-def: $vgpr44
	v_cmpx_ne_u32_e64 v47, v56
	s_xor_b32 s13, exec_lo, s13
; %bb.814:                              ;   in Loop: Header=BB2_519 Depth=2
	v_cmp_lt_u32_e32 vcc_lo, 0xffffff, v46
	v_sub_nc_u32_e32 v44, v47, v56
	v_cndmask_b32_e64 v47, 0, 1, vcc_lo
	v_add_co_ci_u32_e64 v44, null, 0, v44, vcc_lo
	v_lshrrev_b32_e32 v46, v47, v46
; %bb.815:                              ;   in Loop: Header=BB2_519 Depth=2
	s_andn2_saveexec_b32 s13, s13
; %bb.816:                              ;   in Loop: Header=BB2_519 Depth=2
	v_bfe_u32 v44, v46, 23, 1
; %bb.817:                              ;   in Loop: Header=BB2_519 Depth=2
	s_or_b32 exec_lo, exec_lo, s13
	v_lshrrev_b32_e32 v46, 20, v46
	v_min_i32_e32 v47, 15, v44
	v_cmp_gt_i32_e32 vcc_lo, 16, v44
	v_and_b32_sdwa v45, v45, v98 dst_sel:DWORD dst_unused:UNUSED_PAD src0_sel:BYTE_3 src1_sel:DWORD
	v_lshlrev_b32_e32 v47, 3, v47
	v_cndmask_b32_e32 v46, 7, v46, vcc_lo
	v_and_b32_e32 v47, 0xf8, v47
	v_and_b32_e32 v56, 7, v46
	v_or_b32_e32 v44, v44, v46
	v_or3_b32 v45, v47, v45, v56
	v_cmp_ne_u32_e32 vcc_lo, 0, v44
	v_cndmask_b32_e32 v44, 0, v45, vcc_lo
.LBB2_818:                              ;   in Loop: Header=BB2_519 Depth=2
	s_or_b32 exec_lo, exec_lo, s29
.LBB2_819:                              ;   in Loop: Header=BB2_519 Depth=2
	s_or_b32 exec_lo, exec_lo, s28
	v_cmp_gt_i16_sdwa s28, v17, v97 src0_sel:BYTE_3 src1_sel:DWORD
	s_mov_b32 s13, 0
	s_and_saveexec_b32 s29, s28
	s_xor_b32 s28, exec_lo, s29
	s_cbranch_execz .LBB2_897
; %bb.820:                              ;   in Loop: Header=BB2_519 Depth=2
	v_cmp_eq_u16_sdwa s40, v17, v98 src0_sel:BYTE_3 src1_sel:DWORD
	s_mov_b32 s13, -1
	s_and_saveexec_b32 s29, s40
; %bb.821:                              ;   in Loop: Header=BB2_519 Depth=2
	s_xor_b32 s13, exec_lo, -1
; %bb.822:                              ;   in Loop: Header=BB2_519 Depth=2
	s_or_b32 exec_lo, exec_lo, s29
	s_and_b32 s13, s13, exec_lo
	s_or_saveexec_b32 s28, s28
	v_mov_b32_e32 v45, 0x7f800001
	s_xor_b32 exec_lo, exec_lo, s28
	s_cbranch_execnz .LBB2_898
.LBB2_823:                              ;   in Loop: Header=BB2_519 Depth=2
	s_or_b32 exec_lo, exec_lo, s28
	s_and_saveexec_b32 s28, s13
	s_cbranch_execz .LBB2_825
.LBB2_824:                              ;   in Loop: Header=BB2_519 Depth=2
	v_bfe_u32 v45, v17, 24, 3
	v_bfe_u32 v56, v17, 27, 4
	v_ffbh_u32_e32 v46, v45
	v_cmp_eq_u32_e32 vcc_lo, 0, v56
	v_min_u32_e32 v46, 32, v46
	v_subrev_nc_u32_e32 v47, 28, v46
	v_sub_nc_u32_e32 v46, 29, v46
	v_lshlrev_b32_sdwa v47, v47, v17 dst_sel:DWORD dst_unused:UNUSED_PAD src0_sel:DWORD src1_sel:BYTE_3
	v_cndmask_b32_e32 v46, v56, v46, vcc_lo
	v_and_b32_e32 v17, 0x80000000, v17
	v_and_b32_e32 v47, 7, v47
	v_lshl_add_u32 v46, v46, 23, 0x3b800000
	v_cndmask_b32_e32 v45, v45, v47, vcc_lo
	v_lshlrev_b32_e32 v45, 20, v45
	v_or3_b32 v45, v17, v46, v45
.LBB2_825:                              ;   in Loop: Header=BB2_519 Depth=2
	s_or_b32 exec_lo, exec_lo, s28
	v_cmp_gt_i16_sdwa s28, v13, v97 src0_sel:BYTE_3 src1_sel:DWORD
	s_mov_b32 s13, 0
	s_and_saveexec_b32 s29, s28
	s_xor_b32 s28, exec_lo, s29
	s_cbranch_execz .LBB2_899
; %bb.826:                              ;   in Loop: Header=BB2_519 Depth=2
	v_cmp_eq_u16_sdwa s40, v13, v98 src0_sel:BYTE_3 src1_sel:DWORD
	s_mov_b32 s13, -1
	s_and_saveexec_b32 s29, s40
; %bb.827:                              ;   in Loop: Header=BB2_519 Depth=2
	s_xor_b32 s13, exec_lo, -1
; %bb.828:                              ;   in Loop: Header=BB2_519 Depth=2
	s_or_b32 exec_lo, exec_lo, s29
	s_and_b32 s13, s13, exec_lo
	s_or_saveexec_b32 s28, s28
	v_mov_b32_e32 v17, 0x7f800001
	s_xor_b32 exec_lo, exec_lo, s28
	s_cbranch_execnz .LBB2_900
.LBB2_829:                              ;   in Loop: Header=BB2_519 Depth=2
	s_or_b32 exec_lo, exec_lo, s28
	s_and_saveexec_b32 s28, s13
	s_cbranch_execz .LBB2_831
.LBB2_830:                              ;   in Loop: Header=BB2_519 Depth=2
	v_and_b32_sdwa v17, v13, v102 dst_sel:DWORD dst_unused:UNUSED_PAD src0_sel:BYTE_3 src1_sel:DWORD
	v_bfe_u32 v56, v13, 27, 4
	v_ffbh_u32_e32 v46, v17
	v_cmp_eq_u32_e32 vcc_lo, 0, v56
	v_min_u32_e32 v46, 32, v46
	v_subrev_nc_u32_e32 v47, 28, v46
	v_sub_nc_u32_e32 v46, 29, v46
	v_lshlrev_b32_sdwa v47, v47, v13 dst_sel:DWORD dst_unused:UNUSED_PAD src0_sel:DWORD src1_sel:BYTE_3
	v_cndmask_b32_e32 v46, v56, v46, vcc_lo
	v_and_b32_e32 v13, 0x80000000, v13
	v_and_b32_e32 v47, 7, v47
	v_lshl_add_u32 v46, v46, 23, 0x3b800000
	v_cndmask_b32_e32 v17, v17, v47, vcc_lo
	v_lshlrev_b32_e32 v17, 20, v17
	v_or3_b32 v17, v13, v46, v17
.LBB2_831:                              ;   in Loop: Header=BB2_519 Depth=2
	s_or_b32 exec_lo, exec_lo, s28
	v_add_f32_e32 v13, v45, v17
	v_and_b32_e32 v17, 0x7f800000, v13
	v_cmp_ne_u32_e32 vcc_lo, 0x7f800000, v17
	v_mov_b32_e32 v17, 0x8000
	s_and_saveexec_b32 s28, vcc_lo
	s_cbranch_execz .LBB2_518
; %bb.832:                              ;   in Loop: Header=BB2_519 Depth=2
	v_mov_b32_e32 v17, 0
	s_mov_b32 s29, exec_lo
	v_cmpx_ne_u32_e32 0, v13
	s_cbranch_execz .LBB2_517
; %bb.833:                              ;   in Loop: Header=BB2_519 Depth=2
	v_bfe_u32 v17, v13, 23, 8
	v_and_b32_e32 v45, 0x7fffff, v13
	v_sub_nc_u32_e32 v46, 0x78, v17
	v_cmp_gt_u32_e32 vcc_lo, 0x79, v17
	v_or_b32_e32 v47, 0x800000, v45
	v_cndmask_b32_e32 v46, 0, v46, vcc_lo
	v_cmp_eq_u32_e32 vcc_lo, 0, v17
	v_add_nc_u32_e32 v17, 0xffffff89, v17
	v_cndmask_b32_e64 v46, v46, 0x77, vcc_lo
	v_cndmask_b32_e32 v45, v47, v45, vcc_lo
	v_cndmask_b32_e64 v17, v17, 0xffffff8a, vcc_lo
	v_lshl_add_u32 v47, 0x100000, v46, -1
	v_lshrrev_b32_e32 v56, v46, v45
	v_lshlrev_b32_e64 v58, v46, 0x80000
	v_add_nc_u32_e32 v46, v46, v17
	v_and_b32_e32 v45, v47, v45
	v_bfe_u32 v57, v56, 20, 1
	v_cmp_eq_u32_e64 s13, v45, v58
	v_add_nc_u32_e32 v47, -1, v57
	v_cndmask_b32_e64 v45, 0, v47, s13
	v_lshrrev_b32_e32 v47, 23, v56
	s_mov_b32 s13, exec_lo
	v_add_nc_u32_e32 v45, v45, v56
	v_xor_b32_e32 v47, 1, v47
	v_and_b32_e32 v17, 0xfffff, v45
	v_add_nc_u32_e32 v45, v17, v56
                                        ; implicit-def: $vgpr17
	v_cmpx_ne_u32_e64 v46, v47
	s_xor_b32 s13, exec_lo, s13
; %bb.834:                              ;   in Loop: Header=BB2_519 Depth=2
	v_cmp_lt_u32_e32 vcc_lo, 0xffffff, v45
	v_sub_nc_u32_e32 v17, v46, v47
	v_cndmask_b32_e64 v46, 0, 1, vcc_lo
	v_add_co_ci_u32_e64 v17, null, 0, v17, vcc_lo
	v_lshrrev_b32_e32 v45, v46, v45
; %bb.835:                              ;   in Loop: Header=BB2_519 Depth=2
	s_andn2_saveexec_b32 s13, s13
	s_cbranch_execz .LBB2_516
; %bb.836:                              ;   in Loop: Header=BB2_519 Depth=2
	v_bfe_u32 v17, v45, 23, 1
	s_branch .LBB2_516
.LBB2_837:                              ;   in Loop: Header=BB2_519 Depth=2
	s_or_saveexec_b32 s28, s28
	v_mov_b32_e32 v116, 0x7f800001
	s_xor_b32 exec_lo, exec_lo, s28
	s_cbranch_execz .LBB2_523
.LBB2_838:                              ;   in Loop: Header=BB2_519 Depth=2
	v_cmp_ne_u16_sdwa s29, v14, v36 src0_sel:BYTE_0 src1_sel:DWORD
	v_mov_b32_e32 v116, 0
	s_andn2_b32 s13, s13, exec_lo
	s_and_b32 s29, s29, exec_lo
	s_or_b32 s13, s13, s29
	s_or_b32 exec_lo, exec_lo, s28
	s_and_saveexec_b32 s28, s13
	s_cbranch_execnz .LBB2_524
	s_branch .LBB2_525
.LBB2_839:                              ;   in Loop: Header=BB2_519 Depth=2
	s_or_saveexec_b32 s28, s28
	v_mov_b32_e32 v117, 0x7f800001
	s_xor_b32 exec_lo, exec_lo, s28
	s_cbranch_execz .LBB2_529
.LBB2_840:                              ;   in Loop: Header=BB2_519 Depth=2
	v_cmp_ne_u16_sdwa s29, v10, v36 src0_sel:BYTE_0 src1_sel:DWORD
	v_mov_b32_e32 v117, 0
	s_andn2_b32 s13, s13, exec_lo
	s_and_b32 s29, s29, exec_lo
	s_or_b32 s13, s13, s29
	s_or_b32 exec_lo, exec_lo, s28
	s_and_saveexec_b32 s28, s13
	s_cbranch_execnz .LBB2_530
	s_branch .LBB2_531
.LBB2_841:                              ;   in Loop: Header=BB2_519 Depth=2
	s_or_saveexec_b32 s28, s28
	v_mov_b32_e32 v117, 0x7f800001
	s_xor_b32 exec_lo, exec_lo, s28
	s_cbranch_execz .LBB2_543
.LBB2_842:                              ;   in Loop: Header=BB2_519 Depth=2
	v_cmp_ne_u16_sdwa s29, v14, v36 src0_sel:BYTE_1 src1_sel:DWORD
	v_mov_b32_e32 v117, 0
	s_andn2_b32 s13, s13, exec_lo
	s_and_b32 s29, s29, exec_lo
	s_or_b32 s13, s13, s29
	s_or_b32 exec_lo, exec_lo, s28
	s_and_saveexec_b32 s28, s13
	s_cbranch_execnz .LBB2_544
	s_branch .LBB2_545
.LBB2_843:                              ;   in Loop: Header=BB2_519 Depth=2
	s_or_saveexec_b32 s28, s28
	v_mov_b32_e32 v118, 0x7f800001
	s_xor_b32 exec_lo, exec_lo, s28
	s_cbranch_execz .LBB2_549
.LBB2_844:                              ;   in Loop: Header=BB2_519 Depth=2
	v_cmp_ne_u16_sdwa s29, v10, v36 src0_sel:BYTE_1 src1_sel:DWORD
	v_mov_b32_e32 v118, 0
	s_andn2_b32 s13, s13, exec_lo
	s_and_b32 s29, s29, exec_lo
	s_or_b32 s13, s13, s29
	s_or_b32 exec_lo, exec_lo, s28
	s_and_saveexec_b32 s28, s13
	s_cbranch_execnz .LBB2_550
	s_branch .LBB2_551
.LBB2_845:                              ;   in Loop: Header=BB2_519 Depth=2
	s_or_saveexec_b32 s28, s28
	v_mov_b32_e32 v118, 0x7f800001
	s_xor_b32 exec_lo, exec_lo, s28
	s_cbranch_execz .LBB2_563
.LBB2_846:                              ;   in Loop: Header=BB2_519 Depth=2
	v_cmp_ne_u16_e32 vcc_lo, 0, v119
	v_mov_b32_e32 v118, 0
	s_andn2_b32 s13, s13, exec_lo
	s_and_b32 s29, vcc_lo, exec_lo
	s_or_b32 s13, s13, s29
	s_or_b32 exec_lo, exec_lo, s28
	s_and_saveexec_b32 s28, s13
	s_cbranch_execnz .LBB2_564
	s_branch .LBB2_565
.LBB2_847:                              ;   in Loop: Header=BB2_519 Depth=2
	s_or_saveexec_b32 s28, s28
	v_mov_b32_e32 v119, 0x7f800001
	s_xor_b32 exec_lo, exec_lo, s28
	s_cbranch_execz .LBB2_569
.LBB2_848:                              ;   in Loop: Header=BB2_519 Depth=2
	v_cmp_ne_u16_e32 vcc_lo, 0, v40
	v_mov_b32_e32 v119, 0
	s_andn2_b32 s13, s13, exec_lo
	s_and_b32 s29, vcc_lo, exec_lo
	s_or_b32 s13, s13, s29
	s_or_b32 exec_lo, exec_lo, s28
	s_and_saveexec_b32 s28, s13
	s_cbranch_execnz .LBB2_570
	s_branch .LBB2_571
.LBB2_849:                              ;   in Loop: Header=BB2_519 Depth=2
	s_or_saveexec_b32 s28, s28
	v_mov_b32_e32 v119, 0x7f800001
	s_xor_b32 exec_lo, exec_lo, s28
	s_cbranch_execz .LBB2_583
.LBB2_850:                              ;   in Loop: Header=BB2_519 Depth=2
	v_cmp_ne_u16_sdwa s29, v14, v36 src0_sel:BYTE_3 src1_sel:DWORD
	v_mov_b32_e32 v119, 0
	s_andn2_b32 s13, s13, exec_lo
	s_and_b32 s29, s29, exec_lo
	s_or_b32 s13, s13, s29
	s_or_b32 exec_lo, exec_lo, s28
	s_and_saveexec_b32 s28, s13
	s_cbranch_execnz .LBB2_584
	s_branch .LBB2_585
.LBB2_851:                              ;   in Loop: Header=BB2_519 Depth=2
	s_or_saveexec_b32 s28, s28
	v_mov_b32_e32 v14, 0x7f800001
	s_xor_b32 exec_lo, exec_lo, s28
	s_cbranch_execz .LBB2_589
.LBB2_852:                              ;   in Loop: Header=BB2_519 Depth=2
	v_cmp_ne_u16_sdwa s29, v10, v36 src0_sel:BYTE_3 src1_sel:DWORD
	v_mov_b32_e32 v14, 0
	s_andn2_b32 s13, s13, exec_lo
	s_and_b32 s29, s29, exec_lo
	s_or_b32 s13, s13, s29
	s_or_b32 exec_lo, exec_lo, s28
	s_and_saveexec_b32 s28, s13
	s_cbranch_execnz .LBB2_590
	s_branch .LBB2_591
.LBB2_853:                              ;   in Loop: Header=BB2_519 Depth=2
	s_or_saveexec_b32 s28, s28
	v_mov_b32_e32 v14, 0x7f800001
	s_xor_b32 exec_lo, exec_lo, s28
	s_cbranch_execz .LBB2_603
.LBB2_854:                              ;   in Loop: Header=BB2_519 Depth=2
	v_cmp_ne_u16_sdwa s29, v15, v36 src0_sel:BYTE_0 src1_sel:DWORD
	v_mov_b32_e32 v14, 0
	s_andn2_b32 s13, s13, exec_lo
	s_and_b32 s29, s29, exec_lo
	s_or_b32 s13, s13, s29
	s_or_b32 exec_lo, exec_lo, s28
	s_and_saveexec_b32 s28, s13
	s_cbranch_execnz .LBB2_604
	s_branch .LBB2_605
.LBB2_855:                              ;   in Loop: Header=BB2_519 Depth=2
	s_or_saveexec_b32 s28, s28
	v_mov_b32_e32 v119, 0x7f800001
	s_xor_b32 exec_lo, exec_lo, s28
	s_cbranch_execz .LBB2_609
.LBB2_856:                              ;   in Loop: Header=BB2_519 Depth=2
	v_cmp_ne_u16_sdwa s29, v11, v36 src0_sel:BYTE_0 src1_sel:DWORD
	v_mov_b32_e32 v119, 0
	s_andn2_b32 s13, s13, exec_lo
	s_and_b32 s29, s29, exec_lo
	s_or_b32 s13, s13, s29
	s_or_b32 exec_lo, exec_lo, s28
	s_and_saveexec_b32 s28, s13
	s_cbranch_execnz .LBB2_610
	s_branch .LBB2_611
.LBB2_857:                              ;   in Loop: Header=BB2_519 Depth=2
	s_or_saveexec_b32 s28, s28
	v_mov_b32_e32 v119, 0x7f800001
	s_xor_b32 exec_lo, exec_lo, s28
	s_cbranch_execz .LBB2_623
.LBB2_858:                              ;   in Loop: Header=BB2_519 Depth=2
	v_cmp_ne_u16_sdwa s29, v15, v36 src0_sel:BYTE_1 src1_sel:DWORD
	v_mov_b32_e32 v119, 0
	s_andn2_b32 s13, s13, exec_lo
	s_and_b32 s29, s29, exec_lo
	s_or_b32 s13, s13, s29
	s_or_b32 exec_lo, exec_lo, s28
	s_and_saveexec_b32 s28, s13
	s_cbranch_execnz .LBB2_624
	s_branch .LBB2_625
.LBB2_859:                              ;   in Loop: Header=BB2_519 Depth=2
	s_or_saveexec_b32 s28, s28
	v_mov_b32_e32 v40, 0x7f800001
	s_xor_b32 exec_lo, exec_lo, s28
	s_cbranch_execz .LBB2_629
.LBB2_860:                              ;   in Loop: Header=BB2_519 Depth=2
	v_cmp_ne_u16_sdwa s29, v11, v36 src0_sel:BYTE_1 src1_sel:DWORD
	v_mov_b32_e32 v40, 0
	s_andn2_b32 s13, s13, exec_lo
	s_and_b32 s29, s29, exec_lo
	s_or_b32 s13, s13, s29
	s_or_b32 exec_lo, exec_lo, s28
	s_and_saveexec_b32 s28, s13
	s_cbranch_execnz .LBB2_630
	s_branch .LBB2_631
.LBB2_861:                              ;   in Loop: Header=BB2_519 Depth=2
	s_or_saveexec_b32 s28, s28
	v_mov_b32_e32 v40, 0x7f800001
	s_xor_b32 exec_lo, exec_lo, s28
	s_cbranch_execz .LBB2_643
.LBB2_862:                              ;   in Loop: Header=BB2_519 Depth=2
	v_cmp_ne_u16_e32 vcc_lo, 0, v41
	v_mov_b32_e32 v40, 0
	s_andn2_b32 s13, s13, exec_lo
	s_and_b32 s29, vcc_lo, exec_lo
	s_or_b32 s13, s13, s29
	s_or_b32 exec_lo, exec_lo, s28
	s_and_saveexec_b32 s28, s13
	s_cbranch_execnz .LBB2_644
	s_branch .LBB2_645
.LBB2_863:                              ;   in Loop: Header=BB2_519 Depth=2
	s_or_saveexec_b32 s28, s28
	v_mov_b32_e32 v41, 0x7f800001
	s_xor_b32 exec_lo, exec_lo, s28
	s_cbranch_execz .LBB2_649
.LBB2_864:                              ;   in Loop: Header=BB2_519 Depth=2
	v_cmp_ne_u16_e32 vcc_lo, 0, v42
	v_mov_b32_e32 v41, 0
	s_andn2_b32 s13, s13, exec_lo
	s_and_b32 s29, vcc_lo, exec_lo
	s_or_b32 s13, s13, s29
	s_or_b32 exec_lo, exec_lo, s28
	s_and_saveexec_b32 s28, s13
	s_cbranch_execnz .LBB2_650
	s_branch .LBB2_651
.LBB2_865:                              ;   in Loop: Header=BB2_519 Depth=2
	s_or_saveexec_b32 s28, s28
	v_mov_b32_e32 v41, 0x7f800001
	s_xor_b32 exec_lo, exec_lo, s28
	s_cbranch_execz .LBB2_663
.LBB2_866:                              ;   in Loop: Header=BB2_519 Depth=2
	v_cmp_ne_u16_sdwa s29, v15, v36 src0_sel:BYTE_3 src1_sel:DWORD
	v_mov_b32_e32 v41, 0
	s_andn2_b32 s13, s13, exec_lo
	s_and_b32 s29, s29, exec_lo
	s_or_b32 s13, s13, s29
	s_or_b32 exec_lo, exec_lo, s28
	s_and_saveexec_b32 s28, s13
	s_cbranch_execnz .LBB2_664
	s_branch .LBB2_665
.LBB2_867:                              ;   in Loop: Header=BB2_519 Depth=2
	s_or_saveexec_b32 s28, s28
	v_mov_b32_e32 v15, 0x7f800001
	s_xor_b32 exec_lo, exec_lo, s28
	s_cbranch_execz .LBB2_669
.LBB2_868:                              ;   in Loop: Header=BB2_519 Depth=2
	v_cmp_ne_u16_sdwa s29, v11, v36 src0_sel:BYTE_3 src1_sel:DWORD
	v_mov_b32_e32 v15, 0
	s_andn2_b32 s13, s13, exec_lo
	s_and_b32 s29, s29, exec_lo
	s_or_b32 s13, s13, s29
	s_or_b32 exec_lo, exec_lo, s28
	s_and_saveexec_b32 s28, s13
	s_cbranch_execnz .LBB2_670
	s_branch .LBB2_671
.LBB2_869:                              ;   in Loop: Header=BB2_519 Depth=2
	s_or_saveexec_b32 s28, s28
	v_mov_b32_e32 v15, 0x7f800001
	s_xor_b32 exec_lo, exec_lo, s28
	s_cbranch_execz .LBB2_683
.LBB2_870:                              ;   in Loop: Header=BB2_519 Depth=2
	v_cmp_ne_u16_sdwa s29, v16, v36 src0_sel:BYTE_0 src1_sel:DWORD
	v_mov_b32_e32 v15, 0
	s_andn2_b32 s13, s13, exec_lo
	s_and_b32 s29, s29, exec_lo
	s_or_b32 s13, s13, s29
	s_or_b32 exec_lo, exec_lo, s28
	s_and_saveexec_b32 s28, s13
	s_cbranch_execnz .LBB2_684
	s_branch .LBB2_685
.LBB2_871:                              ;   in Loop: Header=BB2_519 Depth=2
	s_or_saveexec_b32 s28, s28
	v_mov_b32_e32 v41, 0x7f800001
	s_xor_b32 exec_lo, exec_lo, s28
	s_cbranch_execz .LBB2_689
.LBB2_872:                              ;   in Loop: Header=BB2_519 Depth=2
	v_cmp_ne_u16_sdwa s29, v12, v36 src0_sel:BYTE_0 src1_sel:DWORD
	v_mov_b32_e32 v41, 0
	s_andn2_b32 s13, s13, exec_lo
	s_and_b32 s29, s29, exec_lo
	s_or_b32 s13, s13, s29
	s_or_b32 exec_lo, exec_lo, s28
	s_and_saveexec_b32 s28, s13
	s_cbranch_execnz .LBB2_690
	s_branch .LBB2_691
.LBB2_873:                              ;   in Loop: Header=BB2_519 Depth=2
	s_or_saveexec_b32 s28, s28
	v_mov_b32_e32 v41, 0x7f800001
	s_xor_b32 exec_lo, exec_lo, s28
	s_cbranch_execz .LBB2_703
.LBB2_874:                              ;   in Loop: Header=BB2_519 Depth=2
	v_cmp_ne_u16_sdwa s29, v16, v36 src0_sel:BYTE_1 src1_sel:DWORD
	v_mov_b32_e32 v41, 0
	s_andn2_b32 s13, s13, exec_lo
	s_and_b32 s29, s29, exec_lo
	s_or_b32 s13, s13, s29
	s_or_b32 exec_lo, exec_lo, s28
	s_and_saveexec_b32 s28, s13
	s_cbranch_execnz .LBB2_704
	s_branch .LBB2_705
.LBB2_875:                              ;   in Loop: Header=BB2_519 Depth=2
	s_or_saveexec_b32 s28, s28
	v_mov_b32_e32 v42, 0x7f800001
	s_xor_b32 exec_lo, exec_lo, s28
	s_cbranch_execz .LBB2_709
.LBB2_876:                              ;   in Loop: Header=BB2_519 Depth=2
	v_cmp_ne_u16_sdwa s29, v12, v36 src0_sel:BYTE_1 src1_sel:DWORD
	v_mov_b32_e32 v42, 0
	s_andn2_b32 s13, s13, exec_lo
	s_and_b32 s29, s29, exec_lo
	s_or_b32 s13, s13, s29
	s_or_b32 exec_lo, exec_lo, s28
	s_and_saveexec_b32 s28, s13
	s_cbranch_execnz .LBB2_710
	s_branch .LBB2_711
.LBB2_877:                              ;   in Loop: Header=BB2_519 Depth=2
	s_or_saveexec_b32 s28, s28
	v_mov_b32_e32 v42, 0x7f800001
	s_xor_b32 exec_lo, exec_lo, s28
	s_cbranch_execz .LBB2_723
.LBB2_878:                              ;   in Loop: Header=BB2_519 Depth=2
	v_cmp_ne_u16_e32 vcc_lo, 0, v43
	v_mov_b32_e32 v42, 0
	s_andn2_b32 s13, s13, exec_lo
	s_and_b32 s29, vcc_lo, exec_lo
	s_or_b32 s13, s13, s29
	s_or_b32 exec_lo, exec_lo, s28
	s_and_saveexec_b32 s28, s13
	s_cbranch_execnz .LBB2_724
	s_branch .LBB2_725
.LBB2_879:                              ;   in Loop: Header=BB2_519 Depth=2
	s_or_saveexec_b32 s28, s28
	v_mov_b32_e32 v43, 0x7f800001
	s_xor_b32 exec_lo, exec_lo, s28
	s_cbranch_execz .LBB2_729
.LBB2_880:                              ;   in Loop: Header=BB2_519 Depth=2
	v_cmp_ne_u16_e32 vcc_lo, 0, v44
	v_mov_b32_e32 v43, 0
	s_andn2_b32 s13, s13, exec_lo
	s_and_b32 s29, vcc_lo, exec_lo
	s_or_b32 s13, s13, s29
	s_or_b32 exec_lo, exec_lo, s28
	s_and_saveexec_b32 s28, s13
	s_cbranch_execnz .LBB2_730
	s_branch .LBB2_731
.LBB2_881:                              ;   in Loop: Header=BB2_519 Depth=2
	s_or_saveexec_b32 s28, s28
	v_mov_b32_e32 v43, 0x7f800001
	s_xor_b32 exec_lo, exec_lo, s28
	s_cbranch_execz .LBB2_743
.LBB2_882:                              ;   in Loop: Header=BB2_519 Depth=2
	v_cmp_ne_u16_sdwa s29, v16, v36 src0_sel:BYTE_3 src1_sel:DWORD
	v_mov_b32_e32 v43, 0
	s_andn2_b32 s13, s13, exec_lo
	s_and_b32 s29, s29, exec_lo
	s_or_b32 s13, s13, s29
	s_or_b32 exec_lo, exec_lo, s28
	s_and_saveexec_b32 s28, s13
	s_cbranch_execnz .LBB2_744
	s_branch .LBB2_745
.LBB2_883:                              ;   in Loop: Header=BB2_519 Depth=2
	s_or_saveexec_b32 s28, s28
	v_mov_b32_e32 v16, 0x7f800001
	s_xor_b32 exec_lo, exec_lo, s28
	s_cbranch_execz .LBB2_749
.LBB2_884:                              ;   in Loop: Header=BB2_519 Depth=2
	v_cmp_ne_u16_sdwa s29, v12, v36 src0_sel:BYTE_3 src1_sel:DWORD
	v_mov_b32_e32 v16, 0
	s_andn2_b32 s13, s13, exec_lo
	s_and_b32 s29, s29, exec_lo
	s_or_b32 s13, s13, s29
	s_or_b32 exec_lo, exec_lo, s28
	s_and_saveexec_b32 s28, s13
	s_cbranch_execnz .LBB2_750
	s_branch .LBB2_751
.LBB2_885:                              ;   in Loop: Header=BB2_519 Depth=2
	s_or_saveexec_b32 s28, s28
	v_mov_b32_e32 v16, 0x7f800001
	s_xor_b32 exec_lo, exec_lo, s28
	s_cbranch_execz .LBB2_763
.LBB2_886:                              ;   in Loop: Header=BB2_519 Depth=2
	v_cmp_ne_u16_sdwa s29, v17, v36 src0_sel:BYTE_0 src1_sel:DWORD
	v_mov_b32_e32 v16, 0
	s_andn2_b32 s13, s13, exec_lo
	s_and_b32 s29, s29, exec_lo
	s_or_b32 s13, s13, s29
	s_or_b32 exec_lo, exec_lo, s28
	s_and_saveexec_b32 s28, s13
	s_cbranch_execnz .LBB2_764
	s_branch .LBB2_765
.LBB2_887:                              ;   in Loop: Header=BB2_519 Depth=2
	s_or_saveexec_b32 s28, s28
	v_mov_b32_e32 v43, 0x7f800001
	s_xor_b32 exec_lo, exec_lo, s28
	s_cbranch_execz .LBB2_769
.LBB2_888:                              ;   in Loop: Header=BB2_519 Depth=2
	v_cmp_ne_u16_sdwa s29, v13, v36 src0_sel:BYTE_0 src1_sel:DWORD
	v_mov_b32_e32 v43, 0
	s_andn2_b32 s13, s13, exec_lo
	s_and_b32 s29, s29, exec_lo
	s_or_b32 s13, s13, s29
	s_or_b32 exec_lo, exec_lo, s28
	s_and_saveexec_b32 s28, s13
	s_cbranch_execnz .LBB2_770
	s_branch .LBB2_771
.LBB2_889:                              ;   in Loop: Header=BB2_519 Depth=2
	s_or_saveexec_b32 s28, s28
	v_mov_b32_e32 v43, 0x7f800001
	s_xor_b32 exec_lo, exec_lo, s28
	s_cbranch_execz .LBB2_783
.LBB2_890:                              ;   in Loop: Header=BB2_519 Depth=2
	v_cmp_ne_u16_sdwa s29, v17, v36 src0_sel:BYTE_1 src1_sel:DWORD
	v_mov_b32_e32 v43, 0
	s_andn2_b32 s13, s13, exec_lo
	s_and_b32 s29, s29, exec_lo
	s_or_b32 s13, s13, s29
	s_or_b32 exec_lo, exec_lo, s28
	s_and_saveexec_b32 s28, s13
	s_cbranch_execnz .LBB2_784
	s_branch .LBB2_785
.LBB2_891:                              ;   in Loop: Header=BB2_519 Depth=2
	s_or_saveexec_b32 s28, s28
	v_mov_b32_e32 v44, 0x7f800001
	s_xor_b32 exec_lo, exec_lo, s28
	s_cbranch_execz .LBB2_789
.LBB2_892:                              ;   in Loop: Header=BB2_519 Depth=2
	v_cmp_ne_u16_sdwa s29, v13, v36 src0_sel:BYTE_1 src1_sel:DWORD
	v_mov_b32_e32 v44, 0
	s_andn2_b32 s13, s13, exec_lo
	s_and_b32 s29, s29, exec_lo
	s_or_b32 s13, s13, s29
	s_or_b32 exec_lo, exec_lo, s28
	s_and_saveexec_b32 s28, s13
	s_cbranch_execnz .LBB2_790
	s_branch .LBB2_791
.LBB2_893:                              ;   in Loop: Header=BB2_519 Depth=2
	s_or_saveexec_b32 s28, s28
	v_mov_b32_e32 v44, 0x7f800001
	s_xor_b32 exec_lo, exec_lo, s28
	s_cbranch_execz .LBB2_803
.LBB2_894:                              ;   in Loop: Header=BB2_519 Depth=2
	v_cmp_ne_u16_e32 vcc_lo, 0, v45
	v_mov_b32_e32 v44, 0
	s_andn2_b32 s13, s13, exec_lo
	s_and_b32 s29, vcc_lo, exec_lo
	s_or_b32 s13, s13, s29
	s_or_b32 exec_lo, exec_lo, s28
	s_and_saveexec_b32 s28, s13
	s_cbranch_execnz .LBB2_804
	s_branch .LBB2_805
.LBB2_895:                              ;   in Loop: Header=BB2_519 Depth=2
	s_or_saveexec_b32 s28, s28
	v_mov_b32_e32 v45, 0x7f800001
	s_xor_b32 exec_lo, exec_lo, s28
	s_cbranch_execz .LBB2_809
.LBB2_896:                              ;   in Loop: Header=BB2_519 Depth=2
	v_cmp_ne_u16_e32 vcc_lo, 0, v46
	v_mov_b32_e32 v45, 0
	s_andn2_b32 s13, s13, exec_lo
	s_and_b32 s29, vcc_lo, exec_lo
	s_or_b32 s13, s13, s29
	s_or_b32 exec_lo, exec_lo, s28
	s_and_saveexec_b32 s28, s13
	s_cbranch_execnz .LBB2_810
	s_branch .LBB2_811
.LBB2_897:                              ;   in Loop: Header=BB2_519 Depth=2
	s_or_saveexec_b32 s28, s28
	v_mov_b32_e32 v45, 0x7f800001
	s_xor_b32 exec_lo, exec_lo, s28
	s_cbranch_execz .LBB2_823
.LBB2_898:                              ;   in Loop: Header=BB2_519 Depth=2
	v_cmp_ne_u16_sdwa s29, v17, v36 src0_sel:BYTE_3 src1_sel:DWORD
	v_mov_b32_e32 v45, 0
	s_andn2_b32 s13, s13, exec_lo
	s_and_b32 s29, s29, exec_lo
	s_or_b32 s13, s13, s29
	s_or_b32 exec_lo, exec_lo, s28
	s_and_saveexec_b32 s28, s13
	s_cbranch_execnz .LBB2_824
	s_branch .LBB2_825
.LBB2_899:                              ;   in Loop: Header=BB2_519 Depth=2
	s_or_saveexec_b32 s28, s28
	v_mov_b32_e32 v17, 0x7f800001
	s_xor_b32 exec_lo, exec_lo, s28
	s_cbranch_execz .LBB2_829
.LBB2_900:                              ;   in Loop: Header=BB2_519 Depth=2
	v_cmp_ne_u16_sdwa s29, v13, v36 src0_sel:BYTE_3 src1_sel:DWORD
	v_mov_b32_e32 v17, 0
	s_andn2_b32 s13, s13, exec_lo
	s_and_b32 s29, s29, exec_lo
	s_or_b32 s13, s13, s29
	s_or_b32 exec_lo, exec_lo, s28
	s_and_saveexec_b32 s28, s13
	s_cbranch_execnz .LBB2_830
	s_branch .LBB2_831
.LBB2_901:                              ;   in Loop: Header=BB2_49 Depth=1
	s_or_b32 exec_lo, exec_lo, s27
.LBB2_902:                              ;   in Loop: Header=BB2_49 Depth=1
	s_or_b32 exec_lo, exec_lo, s26
	v_cmp_lt_i32_e32 vcc_lo, 0, v114
	s_mov_b32 s26, exec_lo
	v_cndmask_b32_e32 v10, 0, v71, vcc_lo
	v_sub_nc_u32_e32 v10, v10, v114
	v_lshl_add_u32 v16, v10, 5, v113
.LBB2_903:                              ;   in Loop: Header=BB2_49 Depth=1
	s_or_b32 exec_lo, exec_lo, s14
	s_and_saveexec_b32 s14, s26
	s_cbranch_execz .LBB2_1128
.LBB2_904:                              ;   in Loop: Header=BB2_49 Depth=1
	v_ashrrev_i32_e32 v10, 31, v16
	v_lshrrev_b32_e32 v11, 8, v112
	s_mov_b32 s26, exec_lo
	v_lshrrev_b32_e32 v10, 27, v10
	v_add_nc_u32_e32 v10, v16, v10
	v_ashrrev_i32_e32 v17, 5, v10
	v_sub_nc_u32_e32 v54, v11, v17
	v_cmpx_lt_i32_e32 0, v54
	s_cbranch_execz .LBB2_1100
; %bb.905:                              ;   in Loop: Header=BB2_49 Depth=1
	v_and_b32_e32 v10, 0xffffffe0, v10
	s_trap 2
	ds_read_b64 v[12:13], v0
	v_lshlrev_b32_e32 v11, 8, v17
	v_add_co_u32 v52, vcc_lo, 0xe0, v52
	v_sub_nc_u32_e32 v10, v16, v10
	v_add_co_ci_u32_e64 v53, null, 0, v53, vcc_lo
	s_mov_b32 s27, 0
	v_add3_u32 v14, v103, v10, v11
	v_ashrrev_i32_e32 v15, 31, v14
	v_add_co_u32 v10, vcc_lo, v14, v50
	v_add_co_ci_u32_e64 v11, null, v15, v51, vcc_lo
	s_waitcnt lgkmcnt(0)
	v_add_co_u32 v12, vcc_lo, v12, v14
	v_add_co_ci_u32_e64 v13, null, v13, v15, vcc_lo
	v_add_co_u32 v14, vcc_lo, v52, v14
	v_add_co_ci_u32_e64 v15, null, v53, v15, vcc_lo
	s_branch .LBB2_909
.LBB2_906:                              ;   in Loop: Header=BB2_909 Depth=2
	s_or_b32 exec_lo, exec_lo, s13
	v_lshrrev_b32_e32 v55, 20, v55
	v_cmp_gt_i32_e32 vcc_lo, 16, v51
	v_min_i32_e32 v66, 15, v51
	v_and_b32_sdwa v50, v50, v98 dst_sel:DWORD dst_unused:UNUSED_PAD src0_sel:BYTE_3 src1_sel:DWORD
	v_cndmask_b32_e32 v55, 7, v55, vcc_lo
	v_lshlrev_b32_e32 v66, 3, v66
	v_and_b32_e32 v114, 7, v55
	v_or_b32_e32 v51, v51, v55
	v_or3_b32 v50, v66, v50, v114
	v_cmp_ne_u32_e32 vcc_lo, 0, v51
	v_cndmask_b32_e32 v51, 0, v50, vcc_lo
.LBB2_907:                              ;   in Loop: Header=BB2_909 Depth=2
	s_or_b32 exec_lo, exec_lo, s29
.LBB2_908:                              ;   in Loop: Header=BB2_909 Depth=2
	s_or_b32 exec_lo, exec_lo, s28
	v_add_co_u32 v116, vcc_lo, 0xffffff20, v14
	v_add_co_ci_u32_e64 v117, null, -1, v15, vcc_lo
	v_add_co_u32 v118, vcc_lo, 0xffffff40, v14
	v_add_co_ci_u32_e64 v119, null, -1, v15, vcc_lo
	flat_store_byte v[116:117], v52 glc slc
	flat_store_byte v[118:119], v64 glc slc
	v_add_co_u32 v116, vcc_lo, 0xffffff60, v14
	v_add_co_ci_u32_e64 v117, null, -1, v15, vcc_lo
	v_add_co_u32 v118, vcc_lo, 0xffffff80, v14
	v_add_co_ci_u32_e64 v119, null, -1, v15, vcc_lo
	v_add_co_u32 v40, vcc_lo, 0xffffffa0, v14
	v_add_co_ci_u32_e64 v41, null, -1, v15, vcc_lo
	v_add_co_u32 v42, vcc_lo, 0xffffffc0, v14
	v_add_co_ci_u32_e64 v43, null, -1, v15, vcc_lo
	v_add_co_u32 v44, vcc_lo, 0xffffffe0, v14
	v_sub_nc_u32_e32 v54, v54, v71
	v_add_co_ci_u32_e64 v45, null, -1, v15, vcc_lo
	v_add_co_u32 v10, vcc_lo, v10, v85
	v_add_co_ci_u32_e64 v11, null, 0, v11, vcc_lo
	v_add_co_u32 v12, vcc_lo, v12, v85
	flat_store_byte v[116:117], v67 glc slc
	flat_store_byte v[118:119], v115 glc slc
	;; [unrolled: 1-line block ×6, first 2 shown]
	v_add_co_ci_u32_e64 v13, null, 0, v13, vcc_lo
	v_cmp_gt_i32_e32 vcc_lo, 1, v54
	v_add_co_u32 v14, s13, v14, v85
	v_add_co_ci_u32_e64 v15, null, 0, v15, s13
	s_or_b32 s27, vcc_lo, s27
	s_andn2_b32 exec_lo, exec_lo, s27
	s_cbranch_execz .LBB2_1099
.LBB2_909:                              ;   Parent Loop BB2_49 Depth=1
                                        ; =>  This Inner Loop Header: Depth=2
	s_clause 0x7
	flat_load_ubyte v40, v[10:11] slc
	flat_load_ubyte v118, v[10:11] offset:32 slc
	flat_load_ubyte v117, v[10:11] offset:64 slc
	;; [unrolled: 1-line block ×7, first 2 shown]
	s_clause 0x7
	flat_load_ubyte v52, v[12:13] slc
	flat_load_ubyte v64, v[12:13] offset:32 slc
	flat_load_ubyte v67, v[12:13] offset:64 slc
	;; [unrolled: 1-line block ×7, first 2 shown]
	s_mov_b32 s13, 0
	s_mov_b32 s28, exec_lo
	s_waitcnt vmcnt(15) lgkmcnt(15)
	v_cmpx_lt_i16_e32 0x7f, v40
	s_xor_b32 s28, exec_lo, s28
	s_cbranch_execz .LBB2_1067
; %bb.910:                              ;   in Loop: Header=BB2_909 Depth=2
	s_mov_b32 s13, -1
	s_mov_b32 s29, exec_lo
	v_cmpx_eq_u16_e32 0x80, v40
; %bb.911:                              ;   in Loop: Header=BB2_909 Depth=2
	s_xor_b32 s13, exec_lo, -1
; %bb.912:                              ;   in Loop: Header=BB2_909 Depth=2
	s_or_b32 exec_lo, exec_lo, s29
	s_and_b32 s13, s13, exec_lo
	s_or_saveexec_b32 s28, s28
	v_mov_b32_e32 v119, 0x7f800001
	s_xor_b32 exec_lo, exec_lo, s28
	s_cbranch_execnz .LBB2_1068
.LBB2_913:                              ;   in Loop: Header=BB2_909 Depth=2
	s_or_b32 exec_lo, exec_lo, s28
	s_and_saveexec_b32 s28, s13
	s_cbranch_execz .LBB2_915
.LBB2_914:                              ;   in Loop: Header=BB2_909 Depth=2
	v_and_b32_e32 v119, 0xffff, v40
	v_lshlrev_b32_e32 v40, 24, v40
	v_and_b32_e32 v41, 7, v119
	v_bfe_u32 v44, v119, 3, 4
	v_and_b32_e32 v40, 0x80000000, v40
	v_ffbh_u32_e32 v42, v41
	v_cmp_eq_u32_e32 vcc_lo, 0, v44
	v_min_u32_e32 v42, 32, v42
	v_subrev_nc_u32_e32 v43, 28, v42
	v_sub_nc_u32_e32 v42, 29, v42
	v_lshlrev_b32_e32 v119, v43, v119
	v_cndmask_b32_e32 v42, v44, v42, vcc_lo
	v_and_b32_e32 v119, 7, v119
	v_cndmask_b32_e32 v119, v41, v119, vcc_lo
	v_lshl_add_u32 v41, v42, 23, 0x3b800000
	v_lshlrev_b32_e32 v119, 20, v119
	v_or3_b32 v119, v40, v41, v119
.LBB2_915:                              ;   in Loop: Header=BB2_909 Depth=2
	s_or_b32 exec_lo, exec_lo, s28
	s_waitcnt vmcnt(7) lgkmcnt(7)
	v_cmp_gt_i16_sdwa s28, v52, v97 src0_sel:BYTE_0 src1_sel:DWORD
	s_mov_b32 s13, 0
	s_and_saveexec_b32 s29, s28
	s_xor_b32 s28, exec_lo, s29
	s_cbranch_execz .LBB2_1069
; %bb.916:                              ;   in Loop: Header=BB2_909 Depth=2
	v_cmp_eq_u16_sdwa s40, v52, v98 src0_sel:BYTE_0 src1_sel:DWORD
	s_mov_b32 s13, -1
	s_and_saveexec_b32 s29, s40
; %bb.917:                              ;   in Loop: Header=BB2_909 Depth=2
	s_xor_b32 s13, exec_lo, -1
; %bb.918:                              ;   in Loop: Header=BB2_909 Depth=2
	s_or_b32 exec_lo, exec_lo, s29
	s_and_b32 s13, s13, exec_lo
	s_or_saveexec_b32 s28, s28
	v_mov_b32_e32 v40, 0x7f800001
	s_xor_b32 exec_lo, exec_lo, s28
	s_cbranch_execnz .LBB2_1070
.LBB2_919:                              ;   in Loop: Header=BB2_909 Depth=2
	s_or_b32 exec_lo, exec_lo, s28
	s_and_saveexec_b32 s28, s13
	s_cbranch_execz .LBB2_921
.LBB2_920:                              ;   in Loop: Header=BB2_909 Depth=2
	v_and_b32_e32 v40, 7, v52
	v_lshrrev_b16 v42, 3, v52
	v_ffbh_u32_e32 v41, v40
	v_and_b32_e32 v42, 15, v42
	v_min_u32_e32 v41, 32, v41
	v_cmp_eq_u32_e32 vcc_lo, 0, v42
	v_subrev_nc_u32_e32 v43, 28, v41
	v_sub_nc_u32_e32 v41, 29, v41
	v_lshlrev_b32_e32 v43, v43, v52
	v_lshlrev_b32_e32 v52, 24, v52
	v_cndmask_b32_e32 v41, v42, v41, vcc_lo
	v_and_b32_e32 v43, 7, v43
	v_and_b32_e32 v52, 0x80000000, v52
	v_lshl_add_u32 v41, v41, 23, 0x3b800000
	v_cndmask_b32_e32 v40, v40, v43, vcc_lo
	v_lshlrev_b32_e32 v40, 20, v40
	v_or3_b32 v40, v52, v41, v40
.LBB2_921:                              ;   in Loop: Header=BB2_909 Depth=2
	s_or_b32 exec_lo, exec_lo, s28
	v_add_f32_e32 v119, v119, v40
	v_and_b32_e32 v52, 0x7f800000, v119
	v_cmp_ne_u32_e32 vcc_lo, 0x7f800000, v52
	v_mov_b32_e32 v52, 0x80
	s_and_saveexec_b32 s28, vcc_lo
	s_cbranch_execz .LBB2_929
; %bb.922:                              ;   in Loop: Header=BB2_909 Depth=2
	v_mov_b32_e32 v52, 0
	s_mov_b32 s29, exec_lo
	v_cmpx_ne_u32_e32 0, v119
	s_cbranch_execz .LBB2_928
; %bb.923:                              ;   in Loop: Header=BB2_909 Depth=2
	v_bfe_u32 v52, v119, 23, 8
	v_and_b32_e32 v40, 0x7fffff, v119
	v_sub_nc_u32_e32 v41, 0x78, v52
	v_cmp_gt_u32_e32 vcc_lo, 0x79, v52
	v_or_b32_e32 v42, 0x800000, v40
	v_cndmask_b32_e32 v41, 0, v41, vcc_lo
	v_cmp_eq_u32_e32 vcc_lo, 0, v52
	v_add_nc_u32_e32 v52, 0xffffff89, v52
	v_cndmask_b32_e64 v41, v41, 0x77, vcc_lo
	v_cndmask_b32_e32 v40, v42, v40, vcc_lo
	v_cndmask_b32_e64 v52, v52, 0xffffff8a, vcc_lo
	v_lshl_add_u32 v42, 0x100000, v41, -1
	v_lshrrev_b32_e32 v43, v41, v40
	v_lshlrev_b32_e64 v45, v41, 0x80000
	v_add_nc_u32_e32 v41, v41, v52
	v_and_b32_e32 v40, v42, v40
	v_bfe_u32 v44, v43, 20, 1
	v_cmp_eq_u32_e64 s13, v40, v45
	v_add_nc_u32_e32 v42, -1, v44
	v_cndmask_b32_e64 v40, 0, v42, s13
	v_lshrrev_b32_e32 v42, 23, v43
	s_mov_b32 s13, exec_lo
	v_add_nc_u32_e32 v40, v40, v43
	v_xor_b32_e32 v42, 1, v42
	v_and_b32_e32 v52, 0xfffff, v40
	v_add_nc_u32_e32 v40, v52, v43
                                        ; implicit-def: $vgpr52
	v_cmpx_ne_u32_e64 v41, v42
	s_xor_b32 s13, exec_lo, s13
; %bb.924:                              ;   in Loop: Header=BB2_909 Depth=2
	v_cmp_lt_u32_e32 vcc_lo, 0xffffff, v40
	v_sub_nc_u32_e32 v52, v41, v42
	v_cndmask_b32_e64 v41, 0, 1, vcc_lo
	v_add_co_ci_u32_e64 v52, null, 0, v52, vcc_lo
	v_lshrrev_b32_e32 v40, v41, v40
; %bb.925:                              ;   in Loop: Header=BB2_909 Depth=2
	s_andn2_saveexec_b32 s13, s13
; %bb.926:                              ;   in Loop: Header=BB2_909 Depth=2
	v_bfe_u32 v52, v40, 23, 1
; %bb.927:                              ;   in Loop: Header=BB2_909 Depth=2
	s_or_b32 exec_lo, exec_lo, s13
	v_lshrrev_b32_e32 v40, 20, v40
	v_cmp_gt_i32_e32 vcc_lo, 16, v52
	v_min_i32_e32 v41, 15, v52
	v_and_b32_sdwa v119, v119, v98 dst_sel:DWORD dst_unused:UNUSED_PAD src0_sel:BYTE_3 src1_sel:DWORD
	v_cndmask_b32_e32 v40, 7, v40, vcc_lo
	v_lshlrev_b32_e32 v41, 3, v41
	v_and_b32_e32 v42, 7, v40
	v_or_b32_e32 v52, v52, v40
	v_or3_b32 v119, v41, v119, v42
	v_cmp_ne_u32_e32 vcc_lo, 0, v52
	v_cndmask_b32_e32 v52, 0, v119, vcc_lo
.LBB2_928:                              ;   in Loop: Header=BB2_909 Depth=2
	s_or_b32 exec_lo, exec_lo, s29
.LBB2_929:                              ;   in Loop: Header=BB2_909 Depth=2
	s_or_b32 exec_lo, exec_lo, s28
	v_cmp_gt_i16_sdwa s28, v118, v97 src0_sel:BYTE_0 src1_sel:DWORD
	s_mov_b32 s13, 0
	s_and_saveexec_b32 s29, s28
	s_xor_b32 s28, exec_lo, s29
	s_cbranch_execz .LBB2_1071
; %bb.930:                              ;   in Loop: Header=BB2_909 Depth=2
	v_cmp_eq_u16_sdwa s40, v118, v98 src0_sel:BYTE_0 src1_sel:DWORD
	s_mov_b32 s13, -1
	s_and_saveexec_b32 s29, s40
; %bb.931:                              ;   in Loop: Header=BB2_909 Depth=2
	s_xor_b32 s13, exec_lo, -1
; %bb.932:                              ;   in Loop: Header=BB2_909 Depth=2
	s_or_b32 exec_lo, exec_lo, s29
	s_and_b32 s13, s13, exec_lo
	s_or_saveexec_b32 s28, s28
	v_mov_b32_e32 v119, 0x7f800001
	s_xor_b32 exec_lo, exec_lo, s28
	s_cbranch_execnz .LBB2_1072
.LBB2_933:                              ;   in Loop: Header=BB2_909 Depth=2
	s_or_b32 exec_lo, exec_lo, s28
	s_and_saveexec_b32 s28, s13
	s_cbranch_execz .LBB2_935
.LBB2_934:                              ;   in Loop: Header=BB2_909 Depth=2
	v_and_b32_e32 v119, 7, v118
	v_lshrrev_b16 v41, 3, v118
	v_ffbh_u32_e32 v40, v119
	v_and_b32_e32 v41, 15, v41
	v_min_u32_e32 v40, 32, v40
	v_cmp_eq_u32_e32 vcc_lo, 0, v41
	v_subrev_nc_u32_e32 v42, 28, v40
	v_sub_nc_u32_e32 v40, 29, v40
	v_lshlrev_b32_e32 v42, v42, v118
	v_lshlrev_b32_e32 v118, 24, v118
	v_cndmask_b32_e32 v40, v41, v40, vcc_lo
	v_and_b32_e32 v42, 7, v42
	v_and_b32_e32 v118, 0x80000000, v118
	v_lshl_add_u32 v40, v40, 23, 0x3b800000
	v_cndmask_b32_e32 v119, v119, v42, vcc_lo
	v_lshlrev_b32_e32 v119, 20, v119
	v_or3_b32 v119, v118, v40, v119
.LBB2_935:                              ;   in Loop: Header=BB2_909 Depth=2
	s_or_b32 exec_lo, exec_lo, s28
	s_waitcnt vmcnt(6) lgkmcnt(6)
	v_cmp_gt_i16_sdwa s28, v64, v97 src0_sel:BYTE_0 src1_sel:DWORD
	s_mov_b32 s13, 0
	s_and_saveexec_b32 s29, s28
	s_xor_b32 s28, exec_lo, s29
	s_cbranch_execz .LBB2_1073
; %bb.936:                              ;   in Loop: Header=BB2_909 Depth=2
	v_cmp_eq_u16_sdwa s40, v64, v98 src0_sel:BYTE_0 src1_sel:DWORD
	s_mov_b32 s13, -1
	s_and_saveexec_b32 s29, s40
; %bb.937:                              ;   in Loop: Header=BB2_909 Depth=2
	s_xor_b32 s13, exec_lo, -1
; %bb.938:                              ;   in Loop: Header=BB2_909 Depth=2
	s_or_b32 exec_lo, exec_lo, s29
	s_and_b32 s13, s13, exec_lo
	s_or_saveexec_b32 s28, s28
	v_mov_b32_e32 v118, 0x7f800001
	s_xor_b32 exec_lo, exec_lo, s28
	s_cbranch_execnz .LBB2_1074
.LBB2_939:                              ;   in Loop: Header=BB2_909 Depth=2
	s_or_b32 exec_lo, exec_lo, s28
	s_and_saveexec_b32 s28, s13
	s_cbranch_execz .LBB2_941
.LBB2_940:                              ;   in Loop: Header=BB2_909 Depth=2
	v_and_b32_e32 v118, 7, v64
	v_lshrrev_b16 v41, 3, v64
	v_ffbh_u32_e32 v40, v118
	v_and_b32_e32 v41, 15, v41
	v_min_u32_e32 v40, 32, v40
	v_cmp_eq_u32_e32 vcc_lo, 0, v41
	v_subrev_nc_u32_e32 v42, 28, v40
	v_sub_nc_u32_e32 v40, 29, v40
	v_lshlrev_b32_e32 v42, v42, v64
	v_lshlrev_b32_e32 v64, 24, v64
	v_cndmask_b32_e32 v40, v41, v40, vcc_lo
	v_and_b32_e32 v42, 7, v42
	v_and_b32_e32 v64, 0x80000000, v64
	v_lshl_add_u32 v40, v40, 23, 0x3b800000
	v_cndmask_b32_e32 v118, v118, v42, vcc_lo
	v_lshlrev_b32_e32 v118, 20, v118
	v_or3_b32 v118, v64, v40, v118
.LBB2_941:                              ;   in Loop: Header=BB2_909 Depth=2
	s_or_b32 exec_lo, exec_lo, s28
	v_add_f32_e32 v118, v119, v118
	v_and_b32_e32 v64, 0x7f800000, v118
	v_cmp_ne_u32_e32 vcc_lo, 0x7f800000, v64
	v_mov_b32_e32 v64, 0x80
	s_and_saveexec_b32 s28, vcc_lo
	s_cbranch_execz .LBB2_949
; %bb.942:                              ;   in Loop: Header=BB2_909 Depth=2
	v_mov_b32_e32 v64, 0
	s_mov_b32 s29, exec_lo
	v_cmpx_ne_u32_e32 0, v118
	s_cbranch_execz .LBB2_948
; %bb.943:                              ;   in Loop: Header=BB2_909 Depth=2
	v_bfe_u32 v64, v118, 23, 8
	v_and_b32_e32 v119, 0x7fffff, v118
	v_sub_nc_u32_e32 v40, 0x78, v64
	v_cmp_gt_u32_e32 vcc_lo, 0x79, v64
	v_or_b32_e32 v41, 0x800000, v119
	v_cndmask_b32_e32 v40, 0, v40, vcc_lo
	v_cmp_eq_u32_e32 vcc_lo, 0, v64
	v_add_nc_u32_e32 v64, 0xffffff89, v64
	v_cndmask_b32_e64 v40, v40, 0x77, vcc_lo
	v_cndmask_b32_e32 v119, v41, v119, vcc_lo
	v_cndmask_b32_e64 v64, v64, 0xffffff8a, vcc_lo
	v_lshl_add_u32 v41, 0x100000, v40, -1
	v_lshrrev_b32_e32 v42, v40, v119
	v_lshlrev_b32_e64 v44, v40, 0x80000
	v_add_nc_u32_e32 v40, v40, v64
	v_and_b32_e32 v119, v41, v119
	v_bfe_u32 v43, v42, 20, 1
	v_cmp_eq_u32_e64 s13, v119, v44
	v_add_nc_u32_e32 v41, -1, v43
	v_cndmask_b32_e64 v119, 0, v41, s13
	v_lshrrev_b32_e32 v41, 23, v42
	s_mov_b32 s13, exec_lo
	v_add_nc_u32_e32 v119, v119, v42
	v_xor_b32_e32 v41, 1, v41
	v_and_b32_e32 v64, 0xfffff, v119
	v_add_nc_u32_e32 v119, v64, v42
                                        ; implicit-def: $vgpr64
	v_cmpx_ne_u32_e64 v40, v41
	s_xor_b32 s13, exec_lo, s13
; %bb.944:                              ;   in Loop: Header=BB2_909 Depth=2
	v_cmp_lt_u32_e32 vcc_lo, 0xffffff, v119
	v_sub_nc_u32_e32 v64, v40, v41
	v_cndmask_b32_e64 v40, 0, 1, vcc_lo
	v_add_co_ci_u32_e64 v64, null, 0, v64, vcc_lo
	v_lshrrev_b32_e32 v119, v40, v119
; %bb.945:                              ;   in Loop: Header=BB2_909 Depth=2
	s_andn2_saveexec_b32 s13, s13
; %bb.946:                              ;   in Loop: Header=BB2_909 Depth=2
	v_bfe_u32 v64, v119, 23, 1
; %bb.947:                              ;   in Loop: Header=BB2_909 Depth=2
	s_or_b32 exec_lo, exec_lo, s13
	v_lshrrev_b32_e32 v119, 20, v119
	v_cmp_gt_i32_e32 vcc_lo, 16, v64
	v_min_i32_e32 v40, 15, v64
	v_and_b32_sdwa v118, v118, v98 dst_sel:DWORD dst_unused:UNUSED_PAD src0_sel:BYTE_3 src1_sel:DWORD
	v_cndmask_b32_e32 v119, 7, v119, vcc_lo
	v_lshlrev_b32_e32 v40, 3, v40
	v_and_b32_e32 v41, 7, v119
	v_or_b32_e32 v64, v64, v119
	v_or3_b32 v118, v40, v118, v41
	v_cmp_ne_u32_e32 vcc_lo, 0, v64
	v_cndmask_b32_e32 v64, 0, v118, vcc_lo
.LBB2_948:                              ;   in Loop: Header=BB2_909 Depth=2
	s_or_b32 exec_lo, exec_lo, s29
.LBB2_949:                              ;   in Loop: Header=BB2_909 Depth=2
	s_or_b32 exec_lo, exec_lo, s28
	v_cmp_gt_i16_sdwa s28, v117, v97 src0_sel:BYTE_0 src1_sel:DWORD
	s_mov_b32 s13, 0
	s_and_saveexec_b32 s29, s28
	s_xor_b32 s28, exec_lo, s29
	s_cbranch_execz .LBB2_1075
; %bb.950:                              ;   in Loop: Header=BB2_909 Depth=2
	v_cmp_eq_u16_sdwa s40, v117, v98 src0_sel:BYTE_0 src1_sel:DWORD
	s_mov_b32 s13, -1
	s_and_saveexec_b32 s29, s40
; %bb.951:                              ;   in Loop: Header=BB2_909 Depth=2
	s_xor_b32 s13, exec_lo, -1
; %bb.952:                              ;   in Loop: Header=BB2_909 Depth=2
	s_or_b32 exec_lo, exec_lo, s29
	s_and_b32 s13, s13, exec_lo
	s_or_saveexec_b32 s28, s28
	v_mov_b32_e32 v118, 0x7f800001
	s_xor_b32 exec_lo, exec_lo, s28
	s_cbranch_execnz .LBB2_1076
.LBB2_953:                              ;   in Loop: Header=BB2_909 Depth=2
	s_or_b32 exec_lo, exec_lo, s28
	s_and_saveexec_b32 s28, s13
	s_cbranch_execz .LBB2_955
.LBB2_954:                              ;   in Loop: Header=BB2_909 Depth=2
	v_and_b32_e32 v118, 7, v117
	v_lshrrev_b16 v40, 3, v117
	v_ffbh_u32_e32 v119, v118
	v_and_b32_e32 v40, 15, v40
	v_min_u32_e32 v119, 32, v119
	v_cmp_eq_u32_e32 vcc_lo, 0, v40
	v_subrev_nc_u32_e32 v41, 28, v119
	v_sub_nc_u32_e32 v119, 29, v119
	v_lshlrev_b32_e32 v41, v41, v117
	v_lshlrev_b32_e32 v117, 24, v117
	v_cndmask_b32_e32 v119, v40, v119, vcc_lo
	v_and_b32_e32 v41, 7, v41
	v_and_b32_e32 v117, 0x80000000, v117
	v_lshl_add_u32 v119, v119, 23, 0x3b800000
	v_cndmask_b32_e32 v118, v118, v41, vcc_lo
	v_lshlrev_b32_e32 v118, 20, v118
	v_or3_b32 v118, v117, v119, v118
.LBB2_955:                              ;   in Loop: Header=BB2_909 Depth=2
	s_or_b32 exec_lo, exec_lo, s28
	s_waitcnt vmcnt(5) lgkmcnt(5)
	v_cmp_gt_i16_sdwa s28, v67, v97 src0_sel:BYTE_0 src1_sel:DWORD
	s_mov_b32 s13, 0
	s_and_saveexec_b32 s29, s28
	s_xor_b32 s28, exec_lo, s29
	s_cbranch_execz .LBB2_1077
; %bb.956:                              ;   in Loop: Header=BB2_909 Depth=2
	v_cmp_eq_u16_sdwa s40, v67, v98 src0_sel:BYTE_0 src1_sel:DWORD
	s_mov_b32 s13, -1
	s_and_saveexec_b32 s29, s40
; %bb.957:                              ;   in Loop: Header=BB2_909 Depth=2
	s_xor_b32 s13, exec_lo, -1
; %bb.958:                              ;   in Loop: Header=BB2_909 Depth=2
	s_or_b32 exec_lo, exec_lo, s29
	s_and_b32 s13, s13, exec_lo
	s_or_saveexec_b32 s28, s28
	v_mov_b32_e32 v117, 0x7f800001
	s_xor_b32 exec_lo, exec_lo, s28
	s_cbranch_execnz .LBB2_1078
.LBB2_959:                              ;   in Loop: Header=BB2_909 Depth=2
	s_or_b32 exec_lo, exec_lo, s28
	s_and_saveexec_b32 s28, s13
	s_cbranch_execz .LBB2_961
.LBB2_960:                              ;   in Loop: Header=BB2_909 Depth=2
	v_and_b32_e32 v117, 7, v67
	v_lshrrev_b16 v40, 3, v67
	v_ffbh_u32_e32 v119, v117
	v_and_b32_e32 v40, 15, v40
	v_min_u32_e32 v119, 32, v119
	v_cmp_eq_u32_e32 vcc_lo, 0, v40
	v_subrev_nc_u32_e32 v41, 28, v119
	v_sub_nc_u32_e32 v119, 29, v119
	v_lshlrev_b32_e32 v41, v41, v67
	v_lshlrev_b32_e32 v67, 24, v67
	v_cndmask_b32_e32 v119, v40, v119, vcc_lo
	v_and_b32_e32 v41, 7, v41
	v_and_b32_e32 v67, 0x80000000, v67
	v_lshl_add_u32 v119, v119, 23, 0x3b800000
	v_cndmask_b32_e32 v117, v117, v41, vcc_lo
	v_lshlrev_b32_e32 v117, 20, v117
	v_or3_b32 v117, v67, v119, v117
.LBB2_961:                              ;   in Loop: Header=BB2_909 Depth=2
	s_or_b32 exec_lo, exec_lo, s28
	v_add_f32_e32 v117, v118, v117
	v_and_b32_e32 v67, 0x7f800000, v117
	v_cmp_ne_u32_e32 vcc_lo, 0x7f800000, v67
	v_mov_b32_e32 v67, 0x80
	s_and_saveexec_b32 s28, vcc_lo
	s_cbranch_execz .LBB2_969
; %bb.962:                              ;   in Loop: Header=BB2_909 Depth=2
	v_mov_b32_e32 v67, 0
	s_mov_b32 s29, exec_lo
	v_cmpx_ne_u32_e32 0, v117
	s_cbranch_execz .LBB2_968
; %bb.963:                              ;   in Loop: Header=BB2_909 Depth=2
	v_bfe_u32 v67, v117, 23, 8
	v_and_b32_e32 v118, 0x7fffff, v117
	v_sub_nc_u32_e32 v119, 0x78, v67
	v_cmp_gt_u32_e32 vcc_lo, 0x79, v67
	v_or_b32_e32 v40, 0x800000, v118
	v_cndmask_b32_e32 v119, 0, v119, vcc_lo
	v_cmp_eq_u32_e32 vcc_lo, 0, v67
	v_add_nc_u32_e32 v67, 0xffffff89, v67
	v_cndmask_b32_e64 v119, v119, 0x77, vcc_lo
	v_cndmask_b32_e32 v118, v40, v118, vcc_lo
	v_cndmask_b32_e64 v67, v67, 0xffffff8a, vcc_lo
	v_lshl_add_u32 v40, 0x100000, v119, -1
	v_lshrrev_b32_e32 v41, v119, v118
	v_lshlrev_b32_e64 v43, v119, 0x80000
	v_add_nc_u32_e32 v119, v119, v67
	v_and_b32_e32 v118, v40, v118
	v_bfe_u32 v42, v41, 20, 1
	v_cmp_eq_u32_e64 s13, v118, v43
	v_add_nc_u32_e32 v40, -1, v42
	v_cndmask_b32_e64 v118, 0, v40, s13
	v_lshrrev_b32_e32 v40, 23, v41
	s_mov_b32 s13, exec_lo
	v_add_nc_u32_e32 v118, v118, v41
	v_xor_b32_e32 v40, 1, v40
	v_and_b32_e32 v67, 0xfffff, v118
	v_add_nc_u32_e32 v118, v67, v41
                                        ; implicit-def: $vgpr67
	v_cmpx_ne_u32_e64 v119, v40
	s_xor_b32 s13, exec_lo, s13
; %bb.964:                              ;   in Loop: Header=BB2_909 Depth=2
	v_cmp_lt_u32_e32 vcc_lo, 0xffffff, v118
	v_sub_nc_u32_e32 v67, v119, v40
	v_cndmask_b32_e64 v119, 0, 1, vcc_lo
	v_add_co_ci_u32_e64 v67, null, 0, v67, vcc_lo
	v_lshrrev_b32_e32 v118, v119, v118
; %bb.965:                              ;   in Loop: Header=BB2_909 Depth=2
	s_andn2_saveexec_b32 s13, s13
; %bb.966:                              ;   in Loop: Header=BB2_909 Depth=2
	v_bfe_u32 v67, v118, 23, 1
; %bb.967:                              ;   in Loop: Header=BB2_909 Depth=2
	s_or_b32 exec_lo, exec_lo, s13
	v_lshrrev_b32_e32 v118, 20, v118
	v_cmp_gt_i32_e32 vcc_lo, 16, v67
	v_min_i32_e32 v119, 15, v67
	v_and_b32_sdwa v117, v117, v98 dst_sel:DWORD dst_unused:UNUSED_PAD src0_sel:BYTE_3 src1_sel:DWORD
	v_cndmask_b32_e32 v118, 7, v118, vcc_lo
	v_lshlrev_b32_e32 v119, 3, v119
	v_and_b32_e32 v40, 7, v118
	v_or_b32_e32 v67, v67, v118
	v_or3_b32 v117, v119, v117, v40
	v_cmp_ne_u32_e32 vcc_lo, 0, v67
	v_cndmask_b32_e32 v67, 0, v117, vcc_lo
.LBB2_968:                              ;   in Loop: Header=BB2_909 Depth=2
	s_or_b32 exec_lo, exec_lo, s29
.LBB2_969:                              ;   in Loop: Header=BB2_909 Depth=2
	s_or_b32 exec_lo, exec_lo, s28
	v_cmp_gt_i16_sdwa s28, v116, v97 src0_sel:BYTE_0 src1_sel:DWORD
	s_mov_b32 s13, 0
	s_and_saveexec_b32 s29, s28
	s_xor_b32 s28, exec_lo, s29
	s_cbranch_execz .LBB2_1079
; %bb.970:                              ;   in Loop: Header=BB2_909 Depth=2
	v_cmp_eq_u16_sdwa s40, v116, v98 src0_sel:BYTE_0 src1_sel:DWORD
	s_mov_b32 s13, -1
	s_and_saveexec_b32 s29, s40
; %bb.971:                              ;   in Loop: Header=BB2_909 Depth=2
	s_xor_b32 s13, exec_lo, -1
; %bb.972:                              ;   in Loop: Header=BB2_909 Depth=2
	s_or_b32 exec_lo, exec_lo, s29
	s_and_b32 s13, s13, exec_lo
	s_or_saveexec_b32 s28, s28
	v_mov_b32_e32 v117, 0x7f800001
	s_xor_b32 exec_lo, exec_lo, s28
	s_cbranch_execnz .LBB2_1080
.LBB2_973:                              ;   in Loop: Header=BB2_909 Depth=2
	s_or_b32 exec_lo, exec_lo, s28
	s_and_saveexec_b32 s28, s13
	s_cbranch_execz .LBB2_975
.LBB2_974:                              ;   in Loop: Header=BB2_909 Depth=2
	v_and_b32_e32 v117, 7, v116
	v_lshrrev_b16 v119, 3, v116
	v_ffbh_u32_e32 v118, v117
	v_and_b32_e32 v119, 15, v119
	v_min_u32_e32 v118, 32, v118
	v_cmp_eq_u32_e32 vcc_lo, 0, v119
	v_subrev_nc_u32_e32 v40, 28, v118
	v_sub_nc_u32_e32 v118, 29, v118
	v_lshlrev_b32_e32 v40, v40, v116
	v_lshlrev_b32_e32 v116, 24, v116
	v_cndmask_b32_e32 v118, v119, v118, vcc_lo
	v_and_b32_e32 v40, 7, v40
	v_and_b32_e32 v116, 0x80000000, v116
	v_lshl_add_u32 v118, v118, 23, 0x3b800000
	v_cndmask_b32_e32 v117, v117, v40, vcc_lo
	v_lshlrev_b32_e32 v117, 20, v117
	v_or3_b32 v117, v116, v118, v117
.LBB2_975:                              ;   in Loop: Header=BB2_909 Depth=2
	s_or_b32 exec_lo, exec_lo, s28
	s_waitcnt vmcnt(4) lgkmcnt(4)
	v_cmp_gt_i16_sdwa s28, v115, v97 src0_sel:BYTE_0 src1_sel:DWORD
	s_mov_b32 s13, 0
	s_and_saveexec_b32 s29, s28
	s_xor_b32 s28, exec_lo, s29
	s_cbranch_execz .LBB2_1081
; %bb.976:                              ;   in Loop: Header=BB2_909 Depth=2
	v_cmp_eq_u16_sdwa s40, v115, v98 src0_sel:BYTE_0 src1_sel:DWORD
	s_mov_b32 s13, -1
	s_and_saveexec_b32 s29, s40
; %bb.977:                              ;   in Loop: Header=BB2_909 Depth=2
	s_xor_b32 s13, exec_lo, -1
; %bb.978:                              ;   in Loop: Header=BB2_909 Depth=2
	s_or_b32 exec_lo, exec_lo, s29
	s_and_b32 s13, s13, exec_lo
	s_or_saveexec_b32 s28, s28
	v_mov_b32_e32 v116, 0x7f800001
	s_xor_b32 exec_lo, exec_lo, s28
	s_cbranch_execnz .LBB2_1082
.LBB2_979:                              ;   in Loop: Header=BB2_909 Depth=2
	s_or_b32 exec_lo, exec_lo, s28
	s_and_saveexec_b32 s28, s13
	s_cbranch_execz .LBB2_981
.LBB2_980:                              ;   in Loop: Header=BB2_909 Depth=2
	v_and_b32_e32 v116, 7, v115
	v_lshrrev_b16 v119, 3, v115
	v_ffbh_u32_e32 v118, v116
	v_and_b32_e32 v119, 15, v119
	v_min_u32_e32 v118, 32, v118
	v_cmp_eq_u32_e32 vcc_lo, 0, v119
	v_subrev_nc_u32_e32 v40, 28, v118
	v_sub_nc_u32_e32 v118, 29, v118
	v_lshlrev_b32_e32 v40, v40, v115
	v_lshlrev_b32_e32 v115, 24, v115
	v_cndmask_b32_e32 v118, v119, v118, vcc_lo
	v_and_b32_e32 v40, 7, v40
	v_and_b32_e32 v115, 0x80000000, v115
	v_lshl_add_u32 v118, v118, 23, 0x3b800000
	v_cndmask_b32_e32 v116, v116, v40, vcc_lo
	v_lshlrev_b32_e32 v116, 20, v116
	v_or3_b32 v116, v115, v118, v116
.LBB2_981:                              ;   in Loop: Header=BB2_909 Depth=2
	s_or_b32 exec_lo, exec_lo, s28
	v_add_f32_e32 v116, v117, v116
	v_and_b32_e32 v115, 0x7f800000, v116
	v_cmp_ne_u32_e32 vcc_lo, 0x7f800000, v115
	v_mov_b32_e32 v115, 0x80
	s_and_saveexec_b32 s28, vcc_lo
	s_cbranch_execz .LBB2_989
; %bb.982:                              ;   in Loop: Header=BB2_909 Depth=2
	v_mov_b32_e32 v115, 0
	s_mov_b32 s29, exec_lo
	v_cmpx_ne_u32_e32 0, v116
	s_cbranch_execz .LBB2_988
; %bb.983:                              ;   in Loop: Header=BB2_909 Depth=2
	v_bfe_u32 v115, v116, 23, 8
	v_and_b32_e32 v117, 0x7fffff, v116
	v_sub_nc_u32_e32 v118, 0x78, v115
	v_cmp_gt_u32_e32 vcc_lo, 0x79, v115
	v_or_b32_e32 v119, 0x800000, v117
	v_cndmask_b32_e32 v118, 0, v118, vcc_lo
	v_cmp_eq_u32_e32 vcc_lo, 0, v115
	v_add_nc_u32_e32 v115, 0xffffff89, v115
	v_cndmask_b32_e64 v118, v118, 0x77, vcc_lo
	v_cndmask_b32_e32 v117, v119, v117, vcc_lo
	v_cndmask_b32_e64 v115, v115, 0xffffff8a, vcc_lo
	v_lshl_add_u32 v119, 0x100000, v118, -1
	v_lshrrev_b32_e32 v40, v118, v117
	v_lshlrev_b32_e64 v42, v118, 0x80000
	v_add_nc_u32_e32 v118, v118, v115
	v_and_b32_e32 v117, v119, v117
	v_bfe_u32 v41, v40, 20, 1
	v_cmp_eq_u32_e64 s13, v117, v42
	v_add_nc_u32_e32 v119, -1, v41
	v_cndmask_b32_e64 v117, 0, v119, s13
	v_lshrrev_b32_e32 v119, 23, v40
	s_mov_b32 s13, exec_lo
	v_add_nc_u32_e32 v117, v117, v40
	v_xor_b32_e32 v119, 1, v119
	v_and_b32_e32 v115, 0xfffff, v117
	v_add_nc_u32_e32 v117, v115, v40
                                        ; implicit-def: $vgpr115
	v_cmpx_ne_u32_e64 v118, v119
	s_xor_b32 s13, exec_lo, s13
; %bb.984:                              ;   in Loop: Header=BB2_909 Depth=2
	v_cmp_lt_u32_e32 vcc_lo, 0xffffff, v117
	v_sub_nc_u32_e32 v115, v118, v119
	v_cndmask_b32_e64 v118, 0, 1, vcc_lo
	v_add_co_ci_u32_e64 v115, null, 0, v115, vcc_lo
	v_lshrrev_b32_e32 v117, v118, v117
; %bb.985:                              ;   in Loop: Header=BB2_909 Depth=2
	s_andn2_saveexec_b32 s13, s13
; %bb.986:                              ;   in Loop: Header=BB2_909 Depth=2
	v_bfe_u32 v115, v117, 23, 1
; %bb.987:                              ;   in Loop: Header=BB2_909 Depth=2
	s_or_b32 exec_lo, exec_lo, s13
	v_lshrrev_b32_e32 v117, 20, v117
	v_cmp_gt_i32_e32 vcc_lo, 16, v115
	v_min_i32_e32 v118, 15, v115
	v_and_b32_sdwa v116, v116, v98 dst_sel:DWORD dst_unused:UNUSED_PAD src0_sel:BYTE_3 src1_sel:DWORD
	v_cndmask_b32_e32 v117, 7, v117, vcc_lo
	v_lshlrev_b32_e32 v118, 3, v118
	v_and_b32_e32 v119, 7, v117
	v_or_b32_e32 v115, v115, v117
	v_or3_b32 v116, v118, v116, v119
	v_cmp_ne_u32_e32 vcc_lo, 0, v115
	v_cndmask_b32_e32 v115, 0, v116, vcc_lo
.LBB2_988:                              ;   in Loop: Header=BB2_909 Depth=2
	s_or_b32 exec_lo, exec_lo, s29
.LBB2_989:                              ;   in Loop: Header=BB2_909 Depth=2
	s_or_b32 exec_lo, exec_lo, s28
	v_cmp_gt_i16_sdwa s28, v114, v97 src0_sel:BYTE_0 src1_sel:DWORD
	s_mov_b32 s13, 0
	s_and_saveexec_b32 s29, s28
	s_xor_b32 s28, exec_lo, s29
	s_cbranch_execz .LBB2_1083
; %bb.990:                              ;   in Loop: Header=BB2_909 Depth=2
	v_cmp_eq_u16_sdwa s40, v114, v98 src0_sel:BYTE_0 src1_sel:DWORD
	s_mov_b32 s13, -1
	s_and_saveexec_b32 s29, s40
; %bb.991:                              ;   in Loop: Header=BB2_909 Depth=2
	s_xor_b32 s13, exec_lo, -1
; %bb.992:                              ;   in Loop: Header=BB2_909 Depth=2
	s_or_b32 exec_lo, exec_lo, s29
	s_and_b32 s13, s13, exec_lo
	s_or_saveexec_b32 s28, s28
	v_mov_b32_e32 v116, 0x7f800001
	s_xor_b32 exec_lo, exec_lo, s28
	s_cbranch_execnz .LBB2_1084
.LBB2_993:                              ;   in Loop: Header=BB2_909 Depth=2
	s_or_b32 exec_lo, exec_lo, s28
	s_and_saveexec_b32 s28, s13
	s_cbranch_execz .LBB2_995
.LBB2_994:                              ;   in Loop: Header=BB2_909 Depth=2
	v_and_b32_e32 v116, 7, v114
	v_lshrrev_b16 v118, 3, v114
	v_ffbh_u32_e32 v117, v116
	v_and_b32_e32 v118, 15, v118
	v_min_u32_e32 v117, 32, v117
	v_cmp_eq_u32_e32 vcc_lo, 0, v118
	v_subrev_nc_u32_e32 v119, 28, v117
	v_sub_nc_u32_e32 v117, 29, v117
	v_lshlrev_b32_e32 v119, v119, v114
	v_lshlrev_b32_e32 v114, 24, v114
	v_cndmask_b32_e32 v117, v118, v117, vcc_lo
	v_and_b32_e32 v119, 7, v119
	v_and_b32_e32 v114, 0x80000000, v114
	v_lshl_add_u32 v117, v117, 23, 0x3b800000
	v_cndmask_b32_e32 v116, v116, v119, vcc_lo
	v_lshlrev_b32_e32 v116, 20, v116
	v_or3_b32 v116, v114, v117, v116
.LBB2_995:                              ;   in Loop: Header=BB2_909 Depth=2
	s_or_b32 exec_lo, exec_lo, s28
	s_waitcnt vmcnt(3) lgkmcnt(3)
	v_cmp_gt_i16_sdwa s28, v113, v97 src0_sel:BYTE_0 src1_sel:DWORD
	s_mov_b32 s13, 0
	s_and_saveexec_b32 s29, s28
	s_xor_b32 s28, exec_lo, s29
	s_cbranch_execz .LBB2_1085
; %bb.996:                              ;   in Loop: Header=BB2_909 Depth=2
	v_cmp_eq_u16_sdwa s40, v113, v98 src0_sel:BYTE_0 src1_sel:DWORD
	s_mov_b32 s13, -1
	s_and_saveexec_b32 s29, s40
; %bb.997:                              ;   in Loop: Header=BB2_909 Depth=2
	s_xor_b32 s13, exec_lo, -1
; %bb.998:                              ;   in Loop: Header=BB2_909 Depth=2
	s_or_b32 exec_lo, exec_lo, s29
	s_and_b32 s13, s13, exec_lo
	s_or_saveexec_b32 s28, s28
	v_mov_b32_e32 v114, 0x7f800001
	s_xor_b32 exec_lo, exec_lo, s28
	s_cbranch_execnz .LBB2_1086
.LBB2_999:                              ;   in Loop: Header=BB2_909 Depth=2
	s_or_b32 exec_lo, exec_lo, s28
	s_and_saveexec_b32 s28, s13
	s_cbranch_execz .LBB2_1001
.LBB2_1000:                             ;   in Loop: Header=BB2_909 Depth=2
	v_and_b32_e32 v114, 7, v113
	v_lshrrev_b16 v118, 3, v113
	v_ffbh_u32_e32 v117, v114
	v_and_b32_e32 v118, 15, v118
	v_min_u32_e32 v117, 32, v117
	v_cmp_eq_u32_e32 vcc_lo, 0, v118
	v_subrev_nc_u32_e32 v119, 28, v117
	v_sub_nc_u32_e32 v117, 29, v117
	v_lshlrev_b32_e32 v119, v119, v113
	v_lshlrev_b32_e32 v113, 24, v113
	v_cndmask_b32_e32 v117, v118, v117, vcc_lo
	v_and_b32_e32 v119, 7, v119
	v_and_b32_e32 v113, 0x80000000, v113
	v_lshl_add_u32 v117, v117, 23, 0x3b800000
	v_cndmask_b32_e32 v114, v114, v119, vcc_lo
	v_lshlrev_b32_e32 v114, 20, v114
	v_or3_b32 v114, v113, v117, v114
.LBB2_1001:                             ;   in Loop: Header=BB2_909 Depth=2
	s_or_b32 exec_lo, exec_lo, s28
	v_add_f32_e32 v114, v116, v114
	v_and_b32_e32 v113, 0x7f800000, v114
	v_cmp_ne_u32_e32 vcc_lo, 0x7f800000, v113
	v_mov_b32_e32 v113, 0x80
	s_and_saveexec_b32 s28, vcc_lo
	s_cbranch_execz .LBB2_1009
; %bb.1002:                             ;   in Loop: Header=BB2_909 Depth=2
	v_mov_b32_e32 v113, 0
	s_mov_b32 s29, exec_lo
	v_cmpx_ne_u32_e32 0, v114
	s_cbranch_execz .LBB2_1008
; %bb.1003:                             ;   in Loop: Header=BB2_909 Depth=2
	v_bfe_u32 v113, v114, 23, 8
	v_and_b32_e32 v116, 0x7fffff, v114
	v_sub_nc_u32_e32 v117, 0x78, v113
	v_cmp_gt_u32_e32 vcc_lo, 0x79, v113
	v_or_b32_e32 v118, 0x800000, v116
	v_cndmask_b32_e32 v117, 0, v117, vcc_lo
	v_cmp_eq_u32_e32 vcc_lo, 0, v113
	v_add_nc_u32_e32 v113, 0xffffff89, v113
	v_cndmask_b32_e64 v117, v117, 0x77, vcc_lo
	v_cndmask_b32_e32 v116, v118, v116, vcc_lo
	v_cndmask_b32_e64 v113, v113, 0xffffff8a, vcc_lo
	v_lshl_add_u32 v118, 0x100000, v117, -1
	v_lshrrev_b32_e32 v119, v117, v116
	v_lshlrev_b32_e64 v41, v117, 0x80000
	v_add_nc_u32_e32 v117, v117, v113
	v_and_b32_e32 v116, v118, v116
	v_bfe_u32 v40, v119, 20, 1
	v_cmp_eq_u32_e64 s13, v116, v41
	v_add_nc_u32_e32 v118, -1, v40
	v_cndmask_b32_e64 v116, 0, v118, s13
	v_lshrrev_b32_e32 v118, 23, v119
	s_mov_b32 s13, exec_lo
	v_add_nc_u32_e32 v116, v116, v119
	v_xor_b32_e32 v118, 1, v118
	v_and_b32_e32 v113, 0xfffff, v116
	v_add_nc_u32_e32 v116, v113, v119
                                        ; implicit-def: $vgpr113
	v_cmpx_ne_u32_e64 v117, v118
	s_xor_b32 s13, exec_lo, s13
; %bb.1004:                             ;   in Loop: Header=BB2_909 Depth=2
	v_cmp_lt_u32_e32 vcc_lo, 0xffffff, v116
	v_sub_nc_u32_e32 v113, v117, v118
	v_cndmask_b32_e64 v117, 0, 1, vcc_lo
	v_add_co_ci_u32_e64 v113, null, 0, v113, vcc_lo
	v_lshrrev_b32_e32 v116, v117, v116
; %bb.1005:                             ;   in Loop: Header=BB2_909 Depth=2
	s_andn2_saveexec_b32 s13, s13
; %bb.1006:                             ;   in Loop: Header=BB2_909 Depth=2
	v_bfe_u32 v113, v116, 23, 1
; %bb.1007:                             ;   in Loop: Header=BB2_909 Depth=2
	s_or_b32 exec_lo, exec_lo, s13
	v_lshrrev_b32_e32 v116, 20, v116
	v_cmp_gt_i32_e32 vcc_lo, 16, v113
	v_min_i32_e32 v117, 15, v113
	v_and_b32_sdwa v114, v114, v98 dst_sel:DWORD dst_unused:UNUSED_PAD src0_sel:BYTE_3 src1_sel:DWORD
	v_cndmask_b32_e32 v116, 7, v116, vcc_lo
	v_lshlrev_b32_e32 v117, 3, v117
	v_and_b32_e32 v118, 7, v116
	v_or_b32_e32 v113, v113, v116
	v_or3_b32 v114, v117, v114, v118
	v_cmp_ne_u32_e32 vcc_lo, 0, v113
	v_cndmask_b32_e32 v113, 0, v114, vcc_lo
.LBB2_1008:                             ;   in Loop: Header=BB2_909 Depth=2
	s_or_b32 exec_lo, exec_lo, s29
.LBB2_1009:                             ;   in Loop: Header=BB2_909 Depth=2
	s_or_b32 exec_lo, exec_lo, s28
	v_cmp_gt_i16_sdwa s28, v66, v97 src0_sel:BYTE_0 src1_sel:DWORD
	s_mov_b32 s13, 0
	s_and_saveexec_b32 s29, s28
	s_xor_b32 s28, exec_lo, s29
	s_cbranch_execz .LBB2_1087
; %bb.1010:                             ;   in Loop: Header=BB2_909 Depth=2
	v_cmp_eq_u16_sdwa s40, v66, v98 src0_sel:BYTE_0 src1_sel:DWORD
	s_mov_b32 s13, -1
	s_and_saveexec_b32 s29, s40
; %bb.1011:                             ;   in Loop: Header=BB2_909 Depth=2
	s_xor_b32 s13, exec_lo, -1
; %bb.1012:                             ;   in Loop: Header=BB2_909 Depth=2
	s_or_b32 exec_lo, exec_lo, s29
	s_and_b32 s13, s13, exec_lo
	s_or_saveexec_b32 s28, s28
	v_mov_b32_e32 v114, 0x7f800001
	s_xor_b32 exec_lo, exec_lo, s28
	s_cbranch_execnz .LBB2_1088
.LBB2_1013:                             ;   in Loop: Header=BB2_909 Depth=2
	s_or_b32 exec_lo, exec_lo, s28
	s_and_saveexec_b32 s28, s13
	s_cbranch_execz .LBB2_1015
.LBB2_1014:                             ;   in Loop: Header=BB2_909 Depth=2
	v_and_b32_e32 v114, 7, v66
	v_lshrrev_b16 v117, 3, v66
	v_ffbh_u32_e32 v116, v114
	v_and_b32_e32 v117, 15, v117
	v_min_u32_e32 v116, 32, v116
	v_cmp_eq_u32_e32 vcc_lo, 0, v117
	v_subrev_nc_u32_e32 v118, 28, v116
	v_sub_nc_u32_e32 v116, 29, v116
	v_lshlrev_b32_e32 v118, v118, v66
	v_lshlrev_b32_e32 v66, 24, v66
	v_cndmask_b32_e32 v116, v117, v116, vcc_lo
	v_and_b32_e32 v118, 7, v118
	v_and_b32_e32 v66, 0x80000000, v66
	v_lshl_add_u32 v116, v116, 23, 0x3b800000
	v_cndmask_b32_e32 v114, v114, v118, vcc_lo
	v_lshlrev_b32_e32 v114, 20, v114
	v_or3_b32 v114, v66, v116, v114
.LBB2_1015:                             ;   in Loop: Header=BB2_909 Depth=2
	s_or_b32 exec_lo, exec_lo, s28
	s_waitcnt vmcnt(2) lgkmcnt(2)
	v_cmp_gt_i16_sdwa s28, v65, v97 src0_sel:BYTE_0 src1_sel:DWORD
	s_mov_b32 s13, 0
	s_and_saveexec_b32 s29, s28
	s_xor_b32 s28, exec_lo, s29
	s_cbranch_execz .LBB2_1089
; %bb.1016:                             ;   in Loop: Header=BB2_909 Depth=2
	v_cmp_eq_u16_sdwa s40, v65, v98 src0_sel:BYTE_0 src1_sel:DWORD
	s_mov_b32 s13, -1
	s_and_saveexec_b32 s29, s40
; %bb.1017:                             ;   in Loop: Header=BB2_909 Depth=2
	s_xor_b32 s13, exec_lo, -1
; %bb.1018:                             ;   in Loop: Header=BB2_909 Depth=2
	s_or_b32 exec_lo, exec_lo, s29
	s_and_b32 s13, s13, exec_lo
	s_or_saveexec_b32 s28, s28
	v_mov_b32_e32 v66, 0x7f800001
	s_xor_b32 exec_lo, exec_lo, s28
	s_cbranch_execnz .LBB2_1090
.LBB2_1019:                             ;   in Loop: Header=BB2_909 Depth=2
	s_or_b32 exec_lo, exec_lo, s28
	s_and_saveexec_b32 s28, s13
	s_cbranch_execz .LBB2_1021
.LBB2_1020:                             ;   in Loop: Header=BB2_909 Depth=2
	v_and_b32_e32 v66, 7, v65
	v_lshrrev_b16 v117, 3, v65
	v_ffbh_u32_e32 v116, v66
	v_and_b32_e32 v117, 15, v117
	v_min_u32_e32 v116, 32, v116
	v_cmp_eq_u32_e32 vcc_lo, 0, v117
	v_subrev_nc_u32_e32 v118, 28, v116
	v_sub_nc_u32_e32 v116, 29, v116
	v_lshlrev_b32_e32 v118, v118, v65
	v_lshlrev_b32_e32 v65, 24, v65
	v_cndmask_b32_e32 v116, v117, v116, vcc_lo
	v_and_b32_e32 v118, 7, v118
	v_and_b32_e32 v65, 0x80000000, v65
	v_lshl_add_u32 v116, v116, 23, 0x3b800000
	v_cndmask_b32_e32 v66, v66, v118, vcc_lo
	v_lshlrev_b32_e32 v66, 20, v66
	v_or3_b32 v66, v65, v116, v66
.LBB2_1021:                             ;   in Loop: Header=BB2_909 Depth=2
	s_or_b32 exec_lo, exec_lo, s28
	v_add_f32_e32 v66, v114, v66
	v_and_b32_e32 v65, 0x7f800000, v66
	v_cmp_ne_u32_e32 vcc_lo, 0x7f800000, v65
	v_mov_b32_e32 v65, 0x80
	s_and_saveexec_b32 s28, vcc_lo
	s_cbranch_execz .LBB2_1029
; %bb.1022:                             ;   in Loop: Header=BB2_909 Depth=2
	v_mov_b32_e32 v65, 0
	s_mov_b32 s29, exec_lo
	v_cmpx_ne_u32_e32 0, v66
	s_cbranch_execz .LBB2_1028
; %bb.1023:                             ;   in Loop: Header=BB2_909 Depth=2
	v_bfe_u32 v65, v66, 23, 8
	v_and_b32_e32 v114, 0x7fffff, v66
	v_sub_nc_u32_e32 v116, 0x78, v65
	v_cmp_gt_u32_e32 vcc_lo, 0x79, v65
	v_or_b32_e32 v117, 0x800000, v114
	v_cndmask_b32_e32 v116, 0, v116, vcc_lo
	v_cmp_eq_u32_e32 vcc_lo, 0, v65
	v_add_nc_u32_e32 v65, 0xffffff89, v65
	v_cndmask_b32_e64 v116, v116, 0x77, vcc_lo
	v_cndmask_b32_e32 v114, v117, v114, vcc_lo
	v_cndmask_b32_e64 v65, v65, 0xffffff8a, vcc_lo
	v_lshl_add_u32 v117, 0x100000, v116, -1
	v_lshrrev_b32_e32 v118, v116, v114
	v_lshlrev_b32_e64 v40, v116, 0x80000
	v_add_nc_u32_e32 v116, v116, v65
	v_and_b32_e32 v114, v117, v114
	v_bfe_u32 v119, v118, 20, 1
	v_cmp_eq_u32_e64 s13, v114, v40
	v_add_nc_u32_e32 v117, -1, v119
	v_cndmask_b32_e64 v114, 0, v117, s13
	v_lshrrev_b32_e32 v117, 23, v118
	s_mov_b32 s13, exec_lo
	v_add_nc_u32_e32 v114, v114, v118
	v_xor_b32_e32 v117, 1, v117
	v_and_b32_e32 v65, 0xfffff, v114
	v_add_nc_u32_e32 v114, v65, v118
                                        ; implicit-def: $vgpr65
	v_cmpx_ne_u32_e64 v116, v117
	s_xor_b32 s13, exec_lo, s13
; %bb.1024:                             ;   in Loop: Header=BB2_909 Depth=2
	v_cmp_lt_u32_e32 vcc_lo, 0xffffff, v114
	v_sub_nc_u32_e32 v65, v116, v117
	v_cndmask_b32_e64 v116, 0, 1, vcc_lo
	v_add_co_ci_u32_e64 v65, null, 0, v65, vcc_lo
	v_lshrrev_b32_e32 v114, v116, v114
; %bb.1025:                             ;   in Loop: Header=BB2_909 Depth=2
	s_andn2_saveexec_b32 s13, s13
; %bb.1026:                             ;   in Loop: Header=BB2_909 Depth=2
	v_bfe_u32 v65, v114, 23, 1
; %bb.1027:                             ;   in Loop: Header=BB2_909 Depth=2
	s_or_b32 exec_lo, exec_lo, s13
	v_lshrrev_b32_e32 v114, 20, v114
	v_cmp_gt_i32_e32 vcc_lo, 16, v65
	v_min_i32_e32 v116, 15, v65
	v_and_b32_sdwa v66, v66, v98 dst_sel:DWORD dst_unused:UNUSED_PAD src0_sel:BYTE_3 src1_sel:DWORD
	v_cndmask_b32_e32 v114, 7, v114, vcc_lo
	v_lshlrev_b32_e32 v116, 3, v116
	v_and_b32_e32 v117, 7, v114
	v_or_b32_e32 v65, v65, v114
	v_or3_b32 v66, v116, v66, v117
	v_cmp_ne_u32_e32 vcc_lo, 0, v65
	v_cndmask_b32_e32 v65, 0, v66, vcc_lo
.LBB2_1028:                             ;   in Loop: Header=BB2_909 Depth=2
	s_or_b32 exec_lo, exec_lo, s29
.LBB2_1029:                             ;   in Loop: Header=BB2_909 Depth=2
	s_or_b32 exec_lo, exec_lo, s28
	v_cmp_gt_i16_sdwa s28, v55, v97 src0_sel:BYTE_0 src1_sel:DWORD
	s_mov_b32 s13, 0
	s_and_saveexec_b32 s29, s28
	s_xor_b32 s28, exec_lo, s29
	s_cbranch_execz .LBB2_1091
; %bb.1030:                             ;   in Loop: Header=BB2_909 Depth=2
	v_cmp_eq_u16_sdwa s40, v55, v98 src0_sel:BYTE_0 src1_sel:DWORD
	s_mov_b32 s13, -1
	s_and_saveexec_b32 s29, s40
; %bb.1031:                             ;   in Loop: Header=BB2_909 Depth=2
	s_xor_b32 s13, exec_lo, -1
; %bb.1032:                             ;   in Loop: Header=BB2_909 Depth=2
	s_or_b32 exec_lo, exec_lo, s29
	s_and_b32 s13, s13, exec_lo
	s_or_saveexec_b32 s28, s28
	v_mov_b32_e32 v66, 0x7f800001
	s_xor_b32 exec_lo, exec_lo, s28
	s_cbranch_execnz .LBB2_1092
.LBB2_1033:                             ;   in Loop: Header=BB2_909 Depth=2
	s_or_b32 exec_lo, exec_lo, s28
	s_and_saveexec_b32 s28, s13
	s_cbranch_execz .LBB2_1035
.LBB2_1034:                             ;   in Loop: Header=BB2_909 Depth=2
	v_and_b32_e32 v66, 7, v55
	v_lshrrev_b16 v116, 3, v55
	v_ffbh_u32_e32 v114, v66
	v_and_b32_e32 v116, 15, v116
	v_min_u32_e32 v114, 32, v114
	v_cmp_eq_u32_e32 vcc_lo, 0, v116
	v_subrev_nc_u32_e32 v117, 28, v114
	v_sub_nc_u32_e32 v114, 29, v114
	v_lshlrev_b32_e32 v117, v117, v55
	v_lshlrev_b32_e32 v55, 24, v55
	v_cndmask_b32_e32 v114, v116, v114, vcc_lo
	v_and_b32_e32 v117, 7, v117
	v_and_b32_e32 v55, 0x80000000, v55
	v_lshl_add_u32 v114, v114, 23, 0x3b800000
	v_cndmask_b32_e32 v66, v66, v117, vcc_lo
	v_lshlrev_b32_e32 v66, 20, v66
	v_or3_b32 v66, v55, v114, v66
.LBB2_1035:                             ;   in Loop: Header=BB2_909 Depth=2
	s_or_b32 exec_lo, exec_lo, s28
	s_waitcnt vmcnt(1) lgkmcnt(1)
	v_cmp_gt_i16_sdwa s28, v53, v97 src0_sel:BYTE_0 src1_sel:DWORD
	s_mov_b32 s13, 0
	s_and_saveexec_b32 s29, s28
	s_xor_b32 s28, exec_lo, s29
	s_cbranch_execz .LBB2_1093
; %bb.1036:                             ;   in Loop: Header=BB2_909 Depth=2
	v_cmp_eq_u16_sdwa s40, v53, v98 src0_sel:BYTE_0 src1_sel:DWORD
	s_mov_b32 s13, -1
	s_and_saveexec_b32 s29, s40
; %bb.1037:                             ;   in Loop: Header=BB2_909 Depth=2
	s_xor_b32 s13, exec_lo, -1
; %bb.1038:                             ;   in Loop: Header=BB2_909 Depth=2
	s_or_b32 exec_lo, exec_lo, s29
	s_and_b32 s13, s13, exec_lo
	s_or_saveexec_b32 s28, s28
	v_mov_b32_e32 v55, 0x7f800001
	s_xor_b32 exec_lo, exec_lo, s28
	s_cbranch_execnz .LBB2_1094
.LBB2_1039:                             ;   in Loop: Header=BB2_909 Depth=2
	s_or_b32 exec_lo, exec_lo, s28
	s_and_saveexec_b32 s28, s13
	s_cbranch_execz .LBB2_1041
.LBB2_1040:                             ;   in Loop: Header=BB2_909 Depth=2
	v_and_b32_e32 v55, 7, v53
	v_lshrrev_b16 v116, 3, v53
	v_ffbh_u32_e32 v114, v55
	v_and_b32_e32 v116, 15, v116
	v_min_u32_e32 v114, 32, v114
	v_cmp_eq_u32_e32 vcc_lo, 0, v116
	v_subrev_nc_u32_e32 v117, 28, v114
	v_sub_nc_u32_e32 v114, 29, v114
	v_lshlrev_b32_e32 v117, v117, v53
	v_lshlrev_b32_e32 v53, 24, v53
	v_cndmask_b32_e32 v114, v116, v114, vcc_lo
	v_and_b32_e32 v117, 7, v117
	v_and_b32_e32 v53, 0x80000000, v53
	v_lshl_add_u32 v114, v114, 23, 0x3b800000
	v_cndmask_b32_e32 v55, v55, v117, vcc_lo
	v_lshlrev_b32_e32 v55, 20, v55
	v_or3_b32 v55, v53, v114, v55
.LBB2_1041:                             ;   in Loop: Header=BB2_909 Depth=2
	s_or_b32 exec_lo, exec_lo, s28
	v_add_f32_e32 v55, v66, v55
	v_and_b32_e32 v53, 0x7f800000, v55
	v_cmp_ne_u32_e32 vcc_lo, 0x7f800000, v53
	v_mov_b32_e32 v53, 0x80
	s_and_saveexec_b32 s28, vcc_lo
	s_cbranch_execz .LBB2_1049
; %bb.1042:                             ;   in Loop: Header=BB2_909 Depth=2
	v_mov_b32_e32 v53, 0
	s_mov_b32 s29, exec_lo
	v_cmpx_ne_u32_e32 0, v55
	s_cbranch_execz .LBB2_1048
; %bb.1043:                             ;   in Loop: Header=BB2_909 Depth=2
	v_bfe_u32 v53, v55, 23, 8
	v_and_b32_e32 v66, 0x7fffff, v55
	v_sub_nc_u32_e32 v114, 0x78, v53
	v_cmp_gt_u32_e32 vcc_lo, 0x79, v53
	v_or_b32_e32 v116, 0x800000, v66
	v_cndmask_b32_e32 v114, 0, v114, vcc_lo
	v_cmp_eq_u32_e32 vcc_lo, 0, v53
	v_add_nc_u32_e32 v53, 0xffffff89, v53
	v_cndmask_b32_e64 v114, v114, 0x77, vcc_lo
	v_cndmask_b32_e32 v66, v116, v66, vcc_lo
	v_cndmask_b32_e64 v53, v53, 0xffffff8a, vcc_lo
	v_lshl_add_u32 v116, 0x100000, v114, -1
	v_lshrrev_b32_e32 v117, v114, v66
	v_lshlrev_b32_e64 v119, v114, 0x80000
	v_add_nc_u32_e32 v114, v114, v53
	v_and_b32_e32 v66, v116, v66
	v_bfe_u32 v118, v117, 20, 1
	v_cmp_eq_u32_e64 s13, v66, v119
	v_add_nc_u32_e32 v116, -1, v118
	v_cndmask_b32_e64 v66, 0, v116, s13
	v_lshrrev_b32_e32 v116, 23, v117
	s_mov_b32 s13, exec_lo
	v_add_nc_u32_e32 v66, v66, v117
	v_xor_b32_e32 v116, 1, v116
	v_and_b32_e32 v53, 0xfffff, v66
	v_add_nc_u32_e32 v66, v53, v117
                                        ; implicit-def: $vgpr53
	v_cmpx_ne_u32_e64 v114, v116
	s_xor_b32 s13, exec_lo, s13
; %bb.1044:                             ;   in Loop: Header=BB2_909 Depth=2
	v_cmp_lt_u32_e32 vcc_lo, 0xffffff, v66
	v_sub_nc_u32_e32 v53, v114, v116
	v_cndmask_b32_e64 v114, 0, 1, vcc_lo
	v_add_co_ci_u32_e64 v53, null, 0, v53, vcc_lo
	v_lshrrev_b32_e32 v66, v114, v66
; %bb.1045:                             ;   in Loop: Header=BB2_909 Depth=2
	s_andn2_saveexec_b32 s13, s13
; %bb.1046:                             ;   in Loop: Header=BB2_909 Depth=2
	v_bfe_u32 v53, v66, 23, 1
; %bb.1047:                             ;   in Loop: Header=BB2_909 Depth=2
	s_or_b32 exec_lo, exec_lo, s13
	v_lshrrev_b32_e32 v66, 20, v66
	v_cmp_gt_i32_e32 vcc_lo, 16, v53
	v_min_i32_e32 v114, 15, v53
	v_and_b32_sdwa v55, v55, v98 dst_sel:DWORD dst_unused:UNUSED_PAD src0_sel:BYTE_3 src1_sel:DWORD
	v_cndmask_b32_e32 v66, 7, v66, vcc_lo
	v_lshlrev_b32_e32 v114, 3, v114
	v_and_b32_e32 v116, 7, v66
	v_or_b32_e32 v53, v53, v66
	v_or3_b32 v55, v114, v55, v116
	v_cmp_ne_u32_e32 vcc_lo, 0, v53
	v_cndmask_b32_e32 v53, 0, v55, vcc_lo
.LBB2_1048:                             ;   in Loop: Header=BB2_909 Depth=2
	s_or_b32 exec_lo, exec_lo, s29
.LBB2_1049:                             ;   in Loop: Header=BB2_909 Depth=2
	s_or_b32 exec_lo, exec_lo, s28
	v_cmp_gt_i16_sdwa s28, v51, v97 src0_sel:BYTE_0 src1_sel:DWORD
	s_mov_b32 s13, 0
	s_and_saveexec_b32 s29, s28
	s_xor_b32 s28, exec_lo, s29
	s_cbranch_execz .LBB2_1095
; %bb.1050:                             ;   in Loop: Header=BB2_909 Depth=2
	v_cmp_eq_u16_sdwa s40, v51, v98 src0_sel:BYTE_0 src1_sel:DWORD
	s_mov_b32 s13, -1
	s_and_saveexec_b32 s29, s40
; %bb.1051:                             ;   in Loop: Header=BB2_909 Depth=2
	s_xor_b32 s13, exec_lo, -1
; %bb.1052:                             ;   in Loop: Header=BB2_909 Depth=2
	s_or_b32 exec_lo, exec_lo, s29
	s_and_b32 s13, s13, exec_lo
	s_or_saveexec_b32 s28, s28
	v_mov_b32_e32 v55, 0x7f800001
	s_xor_b32 exec_lo, exec_lo, s28
	s_cbranch_execnz .LBB2_1096
.LBB2_1053:                             ;   in Loop: Header=BB2_909 Depth=2
	s_or_b32 exec_lo, exec_lo, s28
	s_and_saveexec_b32 s28, s13
	s_cbranch_execz .LBB2_1055
.LBB2_1054:                             ;   in Loop: Header=BB2_909 Depth=2
	v_and_b32_e32 v55, 7, v51
	v_lshrrev_b16 v114, 3, v51
	v_ffbh_u32_e32 v66, v55
	v_and_b32_e32 v114, 15, v114
	v_min_u32_e32 v66, 32, v66
	v_cmp_eq_u32_e32 vcc_lo, 0, v114
	v_subrev_nc_u32_e32 v116, 28, v66
	v_sub_nc_u32_e32 v66, 29, v66
	v_lshlrev_b32_e32 v116, v116, v51
	v_lshlrev_b32_e32 v51, 24, v51
	v_cndmask_b32_e32 v66, v114, v66, vcc_lo
	v_and_b32_e32 v116, 7, v116
	v_and_b32_e32 v51, 0x80000000, v51
	v_lshl_add_u32 v66, v66, 23, 0x3b800000
	v_cndmask_b32_e32 v55, v55, v116, vcc_lo
	v_lshlrev_b32_e32 v55, 20, v55
	v_or3_b32 v55, v51, v66, v55
.LBB2_1055:                             ;   in Loop: Header=BB2_909 Depth=2
	s_or_b32 exec_lo, exec_lo, s28
	s_waitcnt vmcnt(0) lgkmcnt(0)
	v_cmp_gt_i16_sdwa s28, v50, v97 src0_sel:BYTE_0 src1_sel:DWORD
	s_mov_b32 s13, 0
	s_and_saveexec_b32 s29, s28
	s_xor_b32 s28, exec_lo, s29
	s_cbranch_execz .LBB2_1097
; %bb.1056:                             ;   in Loop: Header=BB2_909 Depth=2
	v_cmp_eq_u16_sdwa s40, v50, v98 src0_sel:BYTE_0 src1_sel:DWORD
	s_mov_b32 s13, -1
	s_and_saveexec_b32 s29, s40
; %bb.1057:                             ;   in Loop: Header=BB2_909 Depth=2
	s_xor_b32 s13, exec_lo, -1
; %bb.1058:                             ;   in Loop: Header=BB2_909 Depth=2
	s_or_b32 exec_lo, exec_lo, s29
	s_and_b32 s13, s13, exec_lo
	s_or_saveexec_b32 s28, s28
	v_mov_b32_e32 v51, 0x7f800001
	s_xor_b32 exec_lo, exec_lo, s28
	s_cbranch_execnz .LBB2_1098
.LBB2_1059:                             ;   in Loop: Header=BB2_909 Depth=2
	s_or_b32 exec_lo, exec_lo, s28
	s_and_saveexec_b32 s28, s13
	s_cbranch_execz .LBB2_1061
.LBB2_1060:                             ;   in Loop: Header=BB2_909 Depth=2
	v_and_b32_e32 v51, 7, v50
	v_lshrrev_b16 v114, 3, v50
	v_ffbh_u32_e32 v66, v51
	v_and_b32_e32 v114, 15, v114
	v_min_u32_e32 v66, 32, v66
	v_cmp_eq_u32_e32 vcc_lo, 0, v114
	v_subrev_nc_u32_e32 v116, 28, v66
	v_sub_nc_u32_e32 v66, 29, v66
	v_lshlrev_b32_e32 v116, v116, v50
	v_lshlrev_b32_e32 v50, 24, v50
	v_cndmask_b32_e32 v66, v114, v66, vcc_lo
	v_and_b32_e32 v116, 7, v116
	v_and_b32_e32 v50, 0x80000000, v50
	v_lshl_add_u32 v66, v66, 23, 0x3b800000
	v_cndmask_b32_e32 v51, v51, v116, vcc_lo
	v_lshlrev_b32_e32 v51, 20, v51
	v_or3_b32 v51, v50, v66, v51
.LBB2_1061:                             ;   in Loop: Header=BB2_909 Depth=2
	s_or_b32 exec_lo, exec_lo, s28
	v_add_f32_e32 v50, v55, v51
	v_and_b32_e32 v51, 0x7f800000, v50
	v_cmp_ne_u32_e32 vcc_lo, 0x7f800000, v51
	v_mov_b32_e32 v51, 0x80
	s_and_saveexec_b32 s28, vcc_lo
	s_cbranch_execz .LBB2_908
; %bb.1062:                             ;   in Loop: Header=BB2_909 Depth=2
	v_mov_b32_e32 v51, 0
	s_mov_b32 s29, exec_lo
	v_cmpx_ne_u32_e32 0, v50
	s_cbranch_execz .LBB2_907
; %bb.1063:                             ;   in Loop: Header=BB2_909 Depth=2
	v_bfe_u32 v51, v50, 23, 8
	v_and_b32_e32 v55, 0x7fffff, v50
	v_sub_nc_u32_e32 v66, 0x78, v51
	v_cmp_gt_u32_e32 vcc_lo, 0x79, v51
	v_or_b32_e32 v114, 0x800000, v55
	v_cndmask_b32_e32 v66, 0, v66, vcc_lo
	v_cmp_eq_u32_e32 vcc_lo, 0, v51
	v_add_nc_u32_e32 v51, 0xffffff89, v51
	v_cndmask_b32_e64 v66, v66, 0x77, vcc_lo
	v_cndmask_b32_e32 v55, v114, v55, vcc_lo
	v_cndmask_b32_e64 v51, v51, 0xffffff8a, vcc_lo
	v_lshl_add_u32 v114, 0x100000, v66, -1
	v_lshrrev_b32_e32 v116, v66, v55
	v_lshlrev_b32_e64 v118, v66, 0x80000
	v_add_nc_u32_e32 v66, v66, v51
	v_and_b32_e32 v55, v114, v55
	v_bfe_u32 v117, v116, 20, 1
	v_cmp_eq_u32_e64 s13, v55, v118
	v_add_nc_u32_e32 v114, -1, v117
	v_cndmask_b32_e64 v55, 0, v114, s13
	v_lshrrev_b32_e32 v114, 23, v116
	s_mov_b32 s13, exec_lo
	v_add_nc_u32_e32 v55, v55, v116
	v_xor_b32_e32 v114, 1, v114
	v_and_b32_e32 v51, 0xfffff, v55
	v_add_nc_u32_e32 v55, v51, v116
                                        ; implicit-def: $vgpr51
	v_cmpx_ne_u32_e64 v66, v114
	s_xor_b32 s13, exec_lo, s13
; %bb.1064:                             ;   in Loop: Header=BB2_909 Depth=2
	v_cmp_lt_u32_e32 vcc_lo, 0xffffff, v55
	v_sub_nc_u32_e32 v51, v66, v114
	v_cndmask_b32_e64 v66, 0, 1, vcc_lo
	v_add_co_ci_u32_e64 v51, null, 0, v51, vcc_lo
	v_lshrrev_b32_e32 v55, v66, v55
; %bb.1065:                             ;   in Loop: Header=BB2_909 Depth=2
	s_andn2_saveexec_b32 s13, s13
	s_cbranch_execz .LBB2_906
; %bb.1066:                             ;   in Loop: Header=BB2_909 Depth=2
	v_bfe_u32 v51, v55, 23, 1
	s_branch .LBB2_906
.LBB2_1067:                             ;   in Loop: Header=BB2_909 Depth=2
	s_or_saveexec_b32 s28, s28
	v_mov_b32_e32 v119, 0x7f800001
	s_xor_b32 exec_lo, exec_lo, s28
	s_cbranch_execz .LBB2_913
.LBB2_1068:                             ;   in Loop: Header=BB2_909 Depth=2
	v_cmp_ne_u16_e32 vcc_lo, 0, v40
	v_mov_b32_e32 v119, 0
	s_andn2_b32 s13, s13, exec_lo
	s_and_b32 s29, vcc_lo, exec_lo
	s_or_b32 s13, s13, s29
	s_or_b32 exec_lo, exec_lo, s28
	s_and_saveexec_b32 s28, s13
	s_cbranch_execnz .LBB2_914
	s_branch .LBB2_915
.LBB2_1069:                             ;   in Loop: Header=BB2_909 Depth=2
	s_or_saveexec_b32 s28, s28
	v_mov_b32_e32 v40, 0x7f800001
	s_xor_b32 exec_lo, exec_lo, s28
	s_cbranch_execz .LBB2_919
.LBB2_1070:                             ;   in Loop: Header=BB2_909 Depth=2
	v_cmp_ne_u16_sdwa s29, v52, v36 src0_sel:BYTE_0 src1_sel:DWORD
	v_mov_b32_e32 v40, 0
	s_andn2_b32 s13, s13, exec_lo
	s_and_b32 s29, s29, exec_lo
	s_or_b32 s13, s13, s29
	s_or_b32 exec_lo, exec_lo, s28
	s_and_saveexec_b32 s28, s13
	s_cbranch_execnz .LBB2_920
	s_branch .LBB2_921
.LBB2_1071:                             ;   in Loop: Header=BB2_909 Depth=2
	s_or_saveexec_b32 s28, s28
	v_mov_b32_e32 v119, 0x7f800001
	s_xor_b32 exec_lo, exec_lo, s28
	s_cbranch_execz .LBB2_933
.LBB2_1072:                             ;   in Loop: Header=BB2_909 Depth=2
	v_cmp_ne_u16_sdwa s29, v118, v36 src0_sel:BYTE_0 src1_sel:DWORD
	v_mov_b32_e32 v119, 0
	s_andn2_b32 s13, s13, exec_lo
	s_and_b32 s29, s29, exec_lo
	s_or_b32 s13, s13, s29
	s_or_b32 exec_lo, exec_lo, s28
	s_and_saveexec_b32 s28, s13
	s_cbranch_execnz .LBB2_934
	s_branch .LBB2_935
.LBB2_1073:                             ;   in Loop: Header=BB2_909 Depth=2
	s_or_saveexec_b32 s28, s28
	v_mov_b32_e32 v118, 0x7f800001
	s_xor_b32 exec_lo, exec_lo, s28
	s_cbranch_execz .LBB2_939
.LBB2_1074:                             ;   in Loop: Header=BB2_909 Depth=2
	v_cmp_ne_u16_sdwa s29, v64, v36 src0_sel:BYTE_0 src1_sel:DWORD
	v_mov_b32_e32 v118, 0
	s_andn2_b32 s13, s13, exec_lo
	s_and_b32 s29, s29, exec_lo
	s_or_b32 s13, s13, s29
	s_or_b32 exec_lo, exec_lo, s28
	s_and_saveexec_b32 s28, s13
	s_cbranch_execnz .LBB2_940
	s_branch .LBB2_941
.LBB2_1075:                             ;   in Loop: Header=BB2_909 Depth=2
	s_or_saveexec_b32 s28, s28
	v_mov_b32_e32 v118, 0x7f800001
	s_xor_b32 exec_lo, exec_lo, s28
	s_cbranch_execz .LBB2_953
.LBB2_1076:                             ;   in Loop: Header=BB2_909 Depth=2
	v_cmp_ne_u16_sdwa s29, v117, v36 src0_sel:BYTE_0 src1_sel:DWORD
	v_mov_b32_e32 v118, 0
	s_andn2_b32 s13, s13, exec_lo
	s_and_b32 s29, s29, exec_lo
	s_or_b32 s13, s13, s29
	s_or_b32 exec_lo, exec_lo, s28
	s_and_saveexec_b32 s28, s13
	s_cbranch_execnz .LBB2_954
	s_branch .LBB2_955
.LBB2_1077:                             ;   in Loop: Header=BB2_909 Depth=2
	s_or_saveexec_b32 s28, s28
	v_mov_b32_e32 v117, 0x7f800001
	s_xor_b32 exec_lo, exec_lo, s28
	s_cbranch_execz .LBB2_959
.LBB2_1078:                             ;   in Loop: Header=BB2_909 Depth=2
	v_cmp_ne_u16_sdwa s29, v67, v36 src0_sel:BYTE_0 src1_sel:DWORD
	v_mov_b32_e32 v117, 0
	s_andn2_b32 s13, s13, exec_lo
	s_and_b32 s29, s29, exec_lo
	s_or_b32 s13, s13, s29
	s_or_b32 exec_lo, exec_lo, s28
	s_and_saveexec_b32 s28, s13
	s_cbranch_execnz .LBB2_960
	s_branch .LBB2_961
.LBB2_1079:                             ;   in Loop: Header=BB2_909 Depth=2
	s_or_saveexec_b32 s28, s28
	v_mov_b32_e32 v117, 0x7f800001
	s_xor_b32 exec_lo, exec_lo, s28
	s_cbranch_execz .LBB2_973
.LBB2_1080:                             ;   in Loop: Header=BB2_909 Depth=2
	v_cmp_ne_u16_sdwa s29, v116, v36 src0_sel:BYTE_0 src1_sel:DWORD
	v_mov_b32_e32 v117, 0
	s_andn2_b32 s13, s13, exec_lo
	s_and_b32 s29, s29, exec_lo
	s_or_b32 s13, s13, s29
	s_or_b32 exec_lo, exec_lo, s28
	s_and_saveexec_b32 s28, s13
	s_cbranch_execnz .LBB2_974
	s_branch .LBB2_975
.LBB2_1081:                             ;   in Loop: Header=BB2_909 Depth=2
	s_or_saveexec_b32 s28, s28
	v_mov_b32_e32 v116, 0x7f800001
	s_xor_b32 exec_lo, exec_lo, s28
	s_cbranch_execz .LBB2_979
.LBB2_1082:                             ;   in Loop: Header=BB2_909 Depth=2
	v_cmp_ne_u16_sdwa s29, v115, v36 src0_sel:BYTE_0 src1_sel:DWORD
	v_mov_b32_e32 v116, 0
	s_andn2_b32 s13, s13, exec_lo
	s_and_b32 s29, s29, exec_lo
	s_or_b32 s13, s13, s29
	s_or_b32 exec_lo, exec_lo, s28
	s_and_saveexec_b32 s28, s13
	s_cbranch_execnz .LBB2_980
	s_branch .LBB2_981
.LBB2_1083:                             ;   in Loop: Header=BB2_909 Depth=2
	s_or_saveexec_b32 s28, s28
	v_mov_b32_e32 v116, 0x7f800001
	s_xor_b32 exec_lo, exec_lo, s28
	s_cbranch_execz .LBB2_993
.LBB2_1084:                             ;   in Loop: Header=BB2_909 Depth=2
	v_cmp_ne_u16_sdwa s29, v114, v36 src0_sel:BYTE_0 src1_sel:DWORD
	v_mov_b32_e32 v116, 0
	s_andn2_b32 s13, s13, exec_lo
	s_and_b32 s29, s29, exec_lo
	s_or_b32 s13, s13, s29
	s_or_b32 exec_lo, exec_lo, s28
	s_and_saveexec_b32 s28, s13
	s_cbranch_execnz .LBB2_994
	s_branch .LBB2_995
.LBB2_1085:                             ;   in Loop: Header=BB2_909 Depth=2
	s_or_saveexec_b32 s28, s28
	v_mov_b32_e32 v114, 0x7f800001
	s_xor_b32 exec_lo, exec_lo, s28
	s_cbranch_execz .LBB2_999
.LBB2_1086:                             ;   in Loop: Header=BB2_909 Depth=2
	v_cmp_ne_u16_sdwa s29, v113, v36 src0_sel:BYTE_0 src1_sel:DWORD
	v_mov_b32_e32 v114, 0
	s_andn2_b32 s13, s13, exec_lo
	s_and_b32 s29, s29, exec_lo
	s_or_b32 s13, s13, s29
	s_or_b32 exec_lo, exec_lo, s28
	s_and_saveexec_b32 s28, s13
	s_cbranch_execnz .LBB2_1000
	s_branch .LBB2_1001
.LBB2_1087:                             ;   in Loop: Header=BB2_909 Depth=2
	s_or_saveexec_b32 s28, s28
	v_mov_b32_e32 v114, 0x7f800001
	s_xor_b32 exec_lo, exec_lo, s28
	s_cbranch_execz .LBB2_1013
.LBB2_1088:                             ;   in Loop: Header=BB2_909 Depth=2
	v_cmp_ne_u16_sdwa s29, v66, v36 src0_sel:BYTE_0 src1_sel:DWORD
	v_mov_b32_e32 v114, 0
	s_andn2_b32 s13, s13, exec_lo
	s_and_b32 s29, s29, exec_lo
	s_or_b32 s13, s13, s29
	s_or_b32 exec_lo, exec_lo, s28
	s_and_saveexec_b32 s28, s13
	s_cbranch_execnz .LBB2_1014
	s_branch .LBB2_1015
.LBB2_1089:                             ;   in Loop: Header=BB2_909 Depth=2
	s_or_saveexec_b32 s28, s28
	v_mov_b32_e32 v66, 0x7f800001
	s_xor_b32 exec_lo, exec_lo, s28
	s_cbranch_execz .LBB2_1019
.LBB2_1090:                             ;   in Loop: Header=BB2_909 Depth=2
	v_cmp_ne_u16_sdwa s29, v65, v36 src0_sel:BYTE_0 src1_sel:DWORD
	v_mov_b32_e32 v66, 0
	s_andn2_b32 s13, s13, exec_lo
	s_and_b32 s29, s29, exec_lo
	s_or_b32 s13, s13, s29
	s_or_b32 exec_lo, exec_lo, s28
	s_and_saveexec_b32 s28, s13
	s_cbranch_execnz .LBB2_1020
	s_branch .LBB2_1021
.LBB2_1091:                             ;   in Loop: Header=BB2_909 Depth=2
	s_or_saveexec_b32 s28, s28
	v_mov_b32_e32 v66, 0x7f800001
	s_xor_b32 exec_lo, exec_lo, s28
	s_cbranch_execz .LBB2_1033
.LBB2_1092:                             ;   in Loop: Header=BB2_909 Depth=2
	v_cmp_ne_u16_sdwa s29, v55, v36 src0_sel:BYTE_0 src1_sel:DWORD
	v_mov_b32_e32 v66, 0
	s_andn2_b32 s13, s13, exec_lo
	s_and_b32 s29, s29, exec_lo
	s_or_b32 s13, s13, s29
	s_or_b32 exec_lo, exec_lo, s28
	s_and_saveexec_b32 s28, s13
	s_cbranch_execnz .LBB2_1034
	s_branch .LBB2_1035
.LBB2_1093:                             ;   in Loop: Header=BB2_909 Depth=2
	s_or_saveexec_b32 s28, s28
	v_mov_b32_e32 v55, 0x7f800001
	s_xor_b32 exec_lo, exec_lo, s28
	s_cbranch_execz .LBB2_1039
.LBB2_1094:                             ;   in Loop: Header=BB2_909 Depth=2
	v_cmp_ne_u16_sdwa s29, v53, v36 src0_sel:BYTE_0 src1_sel:DWORD
	v_mov_b32_e32 v55, 0
	s_andn2_b32 s13, s13, exec_lo
	s_and_b32 s29, s29, exec_lo
	s_or_b32 s13, s13, s29
	s_or_b32 exec_lo, exec_lo, s28
	s_and_saveexec_b32 s28, s13
	s_cbranch_execnz .LBB2_1040
	s_branch .LBB2_1041
.LBB2_1095:                             ;   in Loop: Header=BB2_909 Depth=2
	s_or_saveexec_b32 s28, s28
	v_mov_b32_e32 v55, 0x7f800001
	s_xor_b32 exec_lo, exec_lo, s28
	s_cbranch_execz .LBB2_1053
.LBB2_1096:                             ;   in Loop: Header=BB2_909 Depth=2
	v_cmp_ne_u16_sdwa s29, v51, v36 src0_sel:BYTE_0 src1_sel:DWORD
	v_mov_b32_e32 v55, 0
	s_andn2_b32 s13, s13, exec_lo
	s_and_b32 s29, s29, exec_lo
	s_or_b32 s13, s13, s29
	s_or_b32 exec_lo, exec_lo, s28
	s_and_saveexec_b32 s28, s13
	s_cbranch_execnz .LBB2_1054
	s_branch .LBB2_1055
.LBB2_1097:                             ;   in Loop: Header=BB2_909 Depth=2
	s_or_saveexec_b32 s28, s28
	v_mov_b32_e32 v51, 0x7f800001
	s_xor_b32 exec_lo, exec_lo, s28
	s_cbranch_execz .LBB2_1059
.LBB2_1098:                             ;   in Loop: Header=BB2_909 Depth=2
	v_cmp_ne_u16_sdwa s29, v50, v36 src0_sel:BYTE_0 src1_sel:DWORD
	v_mov_b32_e32 v51, 0
	s_andn2_b32 s13, s13, exec_lo
	s_and_b32 s29, s29, exec_lo
	s_or_b32 s13, s13, s29
	s_or_b32 exec_lo, exec_lo, s28
	s_and_saveexec_b32 s28, s13
	s_cbranch_execnz .LBB2_1060
	s_branch .LBB2_1061
.LBB2_1099:                             ;   in Loop: Header=BB2_49 Depth=1
	s_or_b32 exec_lo, exec_lo, s27
.LBB2_1100:                             ;   in Loop: Header=BB2_49 Depth=1
	s_or_b32 exec_lo, exec_lo, s26
	v_and_b32_e32 v10, 0x7fffff00, v112
	v_cmp_ne_u32_e32 vcc_lo, v112, v10
	s_and_b32 exec_lo, exec_lo, vcc_lo
	s_cbranch_execz .LBB2_1128
; %bb.1101:                             ;   in Loop: Header=BB2_49 Depth=1
	v_lshlrev_b32_e32 v11, 5, v17
	v_lshlrev_b32_e32 v12, 5, v54
	v_sub_nc_u32_e32 v11, v16, v11
	v_sub_nc_u32_e32 v11, v11, v12
	v_sub_nc_u32_sdwa v16, v112, v11 dst_sel:DWORD dst_unused:UNUSED_PAD src0_sel:BYTE_0 src1_sel:DWORD
	v_cmp_lt_i32_e32 vcc_lo, 0, v16
	s_and_b32 exec_lo, exec_lo, vcc_lo
	s_cbranch_execz .LBB2_1128
; %bb.1102:                             ;   in Loop: Header=BB2_49 Depth=1
	s_trap 2
	ds_read_b128 v[12:15], v0
	ds_read_b64 v[50:51], v0
	v_add3_u32 v17, v10, v103, v11
	s_mov_b32 s26, 0
	v_ashrrev_i32_e32 v52, 31, v17
	s_waitcnt lgkmcnt(1)
	v_add_co_u32 v10, vcc_lo, v12, v17
	v_add_co_ci_u32_e64 v11, null, v13, v52, vcc_lo
	v_add_co_u32 v12, vcc_lo, v14, v17
	v_add_co_ci_u32_e64 v13, null, v15, v52, vcc_lo
	s_waitcnt lgkmcnt(0)
	v_add_co_u32 v14, vcc_lo, v50, v17
	v_add_co_ci_u32_e64 v15, null, v51, v52, vcc_lo
	s_branch .LBB2_1106
.LBB2_1103:                             ;   in Loop: Header=BB2_1106 Depth=2
	s_or_b32 exec_lo, exec_lo, s13
	v_lshrrev_b32_e32 v51, 20, v51
	v_cmp_gt_i32_e32 vcc_lo, 16, v50
	v_min_i32_e32 v52, 15, v50
	v_and_b32_sdwa v17, v17, v98 dst_sel:DWORD dst_unused:UNUSED_PAD src0_sel:BYTE_3 src1_sel:DWORD
	v_cndmask_b32_e32 v51, 7, v51, vcc_lo
	v_lshlrev_b32_e32 v52, 3, v52
	v_and_b32_e32 v53, 7, v51
	v_or_b32_e32 v50, v50, v51
	v_or3_b32 v17, v52, v17, v53
	v_cmp_ne_u32_e32 vcc_lo, 0, v50
	v_cndmask_b32_e32 v50, 0, v17, vcc_lo
.LBB2_1104:                             ;   in Loop: Header=BB2_1106 Depth=2
	s_or_b32 exec_lo, exec_lo, s28
.LBB2_1105:                             ;   in Loop: Header=BB2_1106 Depth=2
	s_or_b32 exec_lo, exec_lo, s27
	v_sub_nc_u32_e32 v16, v16, v81
	v_add_co_u32 v10, vcc_lo, v10, v81
	v_add_co_ci_u32_e64 v11, null, 0, v11, vcc_lo
	v_add_co_u32 v12, vcc_lo, v12, v81
	flat_store_byte v[14:15], v50 glc slc
	v_add_co_ci_u32_e64 v13, null, 0, v13, vcc_lo
	v_cmp_gt_i32_e32 vcc_lo, 1, v16
	v_add_co_u32 v14, s13, v14, v81
	v_add_co_ci_u32_e64 v15, null, 0, v15, s13
	s_or_b32 s26, vcc_lo, s26
	s_andn2_b32 exec_lo, exec_lo, s26
	s_cbranch_execz .LBB2_1128
.LBB2_1106:                             ;   Parent Loop BB2_49 Depth=1
                                        ; =>  This Inner Loop Header: Depth=2
	flat_load_ubyte v51, v[10:11] slc
	flat_load_ubyte v17, v[12:13] slc
	s_mov_b32 s13, 0
	s_mov_b32 s27, exec_lo
	s_waitcnt vmcnt(1) lgkmcnt(1)
	v_cmpx_lt_i16_e32 0x7f, v51
	s_xor_b32 s27, exec_lo, s27
	s_cbranch_execz .LBB2_1124
; %bb.1107:                             ;   in Loop: Header=BB2_1106 Depth=2
	s_mov_b32 s13, -1
	s_mov_b32 s28, exec_lo
	v_cmpx_eq_u16_e32 0x80, v51
; %bb.1108:                             ;   in Loop: Header=BB2_1106 Depth=2
	s_xor_b32 s13, exec_lo, -1
; %bb.1109:                             ;   in Loop: Header=BB2_1106 Depth=2
	s_or_b32 exec_lo, exec_lo, s28
	s_and_b32 s13, s13, exec_lo
	s_or_saveexec_b32 s27, s27
	v_mov_b32_e32 v50, 0x7f800001
	s_xor_b32 exec_lo, exec_lo, s27
	s_cbranch_execnz .LBB2_1125
.LBB2_1110:                             ;   in Loop: Header=BB2_1106 Depth=2
	s_or_b32 exec_lo, exec_lo, s27
	s_and_saveexec_b32 s27, s13
	s_cbranch_execz .LBB2_1112
.LBB2_1111:                             ;   in Loop: Header=BB2_1106 Depth=2
	v_and_b32_e32 v50, 0xffff, v51
	v_lshlrev_b32_e32 v51, 24, v51
	v_and_b32_e32 v52, 7, v50
	v_bfe_u32 v55, v50, 3, 4
	v_and_b32_e32 v51, 0x80000000, v51
	v_ffbh_u32_e32 v53, v52
	v_cmp_eq_u32_e32 vcc_lo, 0, v55
	v_min_u32_e32 v53, 32, v53
	v_subrev_nc_u32_e32 v54, 28, v53
	v_sub_nc_u32_e32 v53, 29, v53
	v_lshlrev_b32_e32 v50, v54, v50
	v_cndmask_b32_e32 v53, v55, v53, vcc_lo
	v_and_b32_e32 v50, 7, v50
	v_cndmask_b32_e32 v50, v52, v50, vcc_lo
	v_lshl_add_u32 v52, v53, 23, 0x3b800000
	v_lshlrev_b32_e32 v50, 20, v50
	v_or3_b32 v50, v51, v52, v50
.LBB2_1112:                             ;   in Loop: Header=BB2_1106 Depth=2
	s_or_b32 exec_lo, exec_lo, s27
	s_waitcnt vmcnt(0) lgkmcnt(0)
	v_cmp_gt_i16_sdwa s27, v17, v97 src0_sel:BYTE_0 src1_sel:DWORD
	s_mov_b32 s13, 0
	s_and_saveexec_b32 s28, s27
	s_xor_b32 s27, exec_lo, s28
	s_cbranch_execz .LBB2_1126
; %bb.1113:                             ;   in Loop: Header=BB2_1106 Depth=2
	v_cmp_eq_u16_sdwa s29, v17, v98 src0_sel:BYTE_0 src1_sel:DWORD
	s_mov_b32 s13, -1
	s_and_saveexec_b32 s28, s29
; %bb.1114:                             ;   in Loop: Header=BB2_1106 Depth=2
	s_xor_b32 s13, exec_lo, -1
; %bb.1115:                             ;   in Loop: Header=BB2_1106 Depth=2
	s_or_b32 exec_lo, exec_lo, s28
	s_and_b32 s13, s13, exec_lo
	s_or_saveexec_b32 s27, s27
	v_mov_b32_e32 v51, 0x7f800001
	s_xor_b32 exec_lo, exec_lo, s27
	s_cbranch_execnz .LBB2_1127
.LBB2_1116:                             ;   in Loop: Header=BB2_1106 Depth=2
	s_or_b32 exec_lo, exec_lo, s27
	s_and_saveexec_b32 s27, s13
	s_cbranch_execz .LBB2_1118
.LBB2_1117:                             ;   in Loop: Header=BB2_1106 Depth=2
	v_and_b32_e32 v51, 7, v17
	v_lshrrev_b16 v53, 3, v17
	v_ffbh_u32_e32 v52, v51
	v_and_b32_e32 v53, 15, v53
	v_min_u32_e32 v52, 32, v52
	v_cmp_eq_u32_e32 vcc_lo, 0, v53
	v_subrev_nc_u32_e32 v54, 28, v52
	v_sub_nc_u32_e32 v52, 29, v52
	v_lshlrev_b32_e32 v54, v54, v17
	v_lshlrev_b32_e32 v17, 24, v17
	v_cndmask_b32_e32 v52, v53, v52, vcc_lo
	v_and_b32_e32 v54, 7, v54
	v_and_b32_e32 v17, 0x80000000, v17
	v_lshl_add_u32 v52, v52, 23, 0x3b800000
	v_cndmask_b32_e32 v51, v51, v54, vcc_lo
	v_lshlrev_b32_e32 v51, 20, v51
	v_or3_b32 v51, v17, v52, v51
.LBB2_1118:                             ;   in Loop: Header=BB2_1106 Depth=2
	s_or_b32 exec_lo, exec_lo, s27
	v_add_f32_e32 v17, v50, v51
	v_and_b32_e32 v50, 0x7f800000, v17
	v_cmp_ne_u32_e32 vcc_lo, 0x7f800000, v50
	v_mov_b32_e32 v50, 0x80
	s_and_saveexec_b32 s27, vcc_lo
	s_cbranch_execz .LBB2_1105
; %bb.1119:                             ;   in Loop: Header=BB2_1106 Depth=2
	v_mov_b32_e32 v50, 0
	s_mov_b32 s28, exec_lo
	v_cmpx_ne_u32_e32 0, v17
	s_cbranch_execz .LBB2_1104
; %bb.1120:                             ;   in Loop: Header=BB2_1106 Depth=2
	v_bfe_u32 v50, v17, 23, 8
	v_and_b32_e32 v51, 0x7fffff, v17
	v_sub_nc_u32_e32 v52, 0x78, v50
	v_cmp_gt_u32_e32 vcc_lo, 0x79, v50
	v_or_b32_e32 v53, 0x800000, v51
	v_cndmask_b32_e32 v52, 0, v52, vcc_lo
	v_cmp_eq_u32_e32 vcc_lo, 0, v50
	v_add_nc_u32_e32 v50, 0xffffff89, v50
	v_cndmask_b32_e64 v52, v52, 0x77, vcc_lo
	v_cndmask_b32_e32 v51, v53, v51, vcc_lo
	v_cndmask_b32_e64 v50, v50, 0xffffff8a, vcc_lo
	v_lshl_add_u32 v53, 0x100000, v52, -1
	v_lshrrev_b32_e32 v54, v52, v51
	v_lshlrev_b32_e64 v64, v52, 0x80000
	v_add_nc_u32_e32 v52, v52, v50
	v_and_b32_e32 v51, v53, v51
	v_bfe_u32 v55, v54, 20, 1
	v_cmp_eq_u32_e64 s13, v51, v64
	v_add_nc_u32_e32 v53, -1, v55
	v_cndmask_b32_e64 v51, 0, v53, s13
	v_lshrrev_b32_e32 v53, 23, v54
	s_mov_b32 s13, exec_lo
	v_add_nc_u32_e32 v51, v51, v54
	v_xor_b32_e32 v53, 1, v53
	v_and_b32_e32 v50, 0xfffff, v51
	v_add_nc_u32_e32 v51, v50, v54
                                        ; implicit-def: $vgpr50
	v_cmpx_ne_u32_e64 v52, v53
	s_xor_b32 s13, exec_lo, s13
; %bb.1121:                             ;   in Loop: Header=BB2_1106 Depth=2
	v_cmp_lt_u32_e32 vcc_lo, 0xffffff, v51
	v_sub_nc_u32_e32 v50, v52, v53
	v_cndmask_b32_e64 v52, 0, 1, vcc_lo
	v_add_co_ci_u32_e64 v50, null, 0, v50, vcc_lo
	v_lshrrev_b32_e32 v51, v52, v51
; %bb.1122:                             ;   in Loop: Header=BB2_1106 Depth=2
	s_andn2_saveexec_b32 s13, s13
	s_cbranch_execz .LBB2_1103
; %bb.1123:                             ;   in Loop: Header=BB2_1106 Depth=2
	v_bfe_u32 v50, v51, 23, 1
	s_branch .LBB2_1103
.LBB2_1124:                             ;   in Loop: Header=BB2_1106 Depth=2
	s_or_saveexec_b32 s27, s27
	v_mov_b32_e32 v50, 0x7f800001
	s_xor_b32 exec_lo, exec_lo, s27
	s_cbranch_execz .LBB2_1110
.LBB2_1125:                             ;   in Loop: Header=BB2_1106 Depth=2
	v_cmp_ne_u16_e32 vcc_lo, 0, v51
	v_mov_b32_e32 v50, 0
	s_andn2_b32 s13, s13, exec_lo
	s_and_b32 s28, vcc_lo, exec_lo
	s_or_b32 s13, s13, s28
	s_or_b32 exec_lo, exec_lo, s27
	s_and_saveexec_b32 s27, s13
	s_cbranch_execnz .LBB2_1111
	s_branch .LBB2_1112
.LBB2_1126:                             ;   in Loop: Header=BB2_1106 Depth=2
	s_or_saveexec_b32 s27, s27
	v_mov_b32_e32 v51, 0x7f800001
	s_xor_b32 exec_lo, exec_lo, s27
	s_cbranch_execz .LBB2_1116
.LBB2_1127:                             ;   in Loop: Header=BB2_1106 Depth=2
	v_cmp_ne_u16_sdwa s28, v17, v36 src0_sel:BYTE_0 src1_sel:DWORD
	v_mov_b32_e32 v51, 0
	s_andn2_b32 s13, s13, exec_lo
	s_and_b32 s28, s28, exec_lo
	s_or_b32 s13, s13, s28
	s_or_b32 exec_lo, exec_lo, s27
	s_and_saveexec_b32 s27, s13
	s_cbranch_execnz .LBB2_1117
	s_branch .LBB2_1118
.LBB2_1128:                             ;   in Loop: Header=BB2_49 Depth=1
	s_or_b32 exec_lo, exec_lo, s14
	v_cmp_ne_u32_e64 s13, 0, v37
	s_and_saveexec_b32 s14, s6
	s_cbranch_execz .LBB2_1147
.LBB2_1129:                             ;   in Loop: Header=BB2_49 Depth=1
	s_and_saveexec_b32 s26, s20
	s_xor_b32 s26, exec_lo, s26
	s_cbranch_execz .LBB2_1144
; %bb.1130:                             ;   in Loop: Header=BB2_49 Depth=1
	s_and_saveexec_b32 s27, s7
	s_cbranch_execz .LBB2_1143
; %bb.1131:                             ;   in Loop: Header=BB2_49 Depth=1
	s_mov_b32 s29, exec_lo
	s_mov_b32 s28, exec_lo
	v_mbcnt_lo_u32_b32 v10, s29, 0
	s_waitcnt vmcnt(0) lgkmcnt(0)
	s_waitcnt_vscnt null, 0x0
	buffer_gl1_inv
	buffer_gl0_inv
	v_cmpx_eq_u32_e32 0, v10
	s_cbranch_execz .LBB2_1133
; %bb.1132:                             ;   in Loop: Header=BB2_49 Depth=1
	s_bcnt1_i32_b32 s29, s29
	v_mov_b32_e32 v11, v36
	v_mov_b32_e32 v10, s29
	ds_add_u64 v0, v[10:11]
	s_trap 2
.LBB2_1133:                             ;   in Loop: Header=BB2_49 Depth=1
	s_or_b32 exec_lo, exec_lo, s28
	s_trap 2
	ds_read_b64 v[10:11], v0
	s_waitcnt lgkmcnt(0)
	buffer_gl0_inv
	v_add_co_u32 v28, vcc_lo, v28, v71
	v_add_co_ci_u32_e64 v29, null, 0, v29, vcc_lo
	s_mov_b32 s28, exec_lo
	v_cmpx_lt_u64_e64 v[10:11], v[28:29]
	s_cbranch_execz .LBB2_1142
; %bb.1134:                             ;   in Loop: Header=BB2_49 Depth=1
	s_mov_b32 s29, 0
	s_mov_b32 s42, 0
                                        ; implicit-def: $sgpr40
                                        ; implicit-def: $sgpr41
	s_inst_prefetch 0x1
	s_branch .LBB2_1136
	.p2align	6
.LBB2_1135:                             ;   in Loop: Header=BB2_1136 Depth=2
	s_or_b32 exec_lo, exec_lo, s44
	s_and_b32 s43, exec_lo, s45
	s_or_b32 s29, s43, s29
	s_andn2_b32 s40, s40, exec_lo
	s_and_b32 s43, s41, exec_lo
	s_or_b32 s40, s40, s43
	s_andn2_b32 exec_lo, exec_lo, s29
	s_cbranch_execz .LBB2_1140
.LBB2_1136:                             ;   Parent Loop BB2_49 Depth=1
                                        ; =>  This Inner Loop Header: Depth=2
	s_add_i32 s42, s42, 1
	s_cmpk_lg_i32 s42, 0x2710
	s_cselect_b32 s43, -1, 0
	s_and_b32 vcc_lo, exec_lo, s43
	s_cbranch_vccz .LBB2_1138
; %bb.1137:                             ;   in Loop: Header=BB2_1136 Depth=2
	s_mov_b32 s45, -1
	s_or_b32 s41, s41, exec_lo
	s_and_saveexec_b32 s44, s43
	s_cbranch_execz .LBB2_1135
	s_branch .LBB2_1139
	.p2align	6
.LBB2_1138:                             ;   in Loop: Header=BB2_1136 Depth=2
	s_trap 2
	ds_read_b64 v[10:11], v0
	s_andn2_b32 s43, s43, exec_lo
	s_mov_b32 s42, 0
	s_waitcnt lgkmcnt(0)
	flat_load_dword v10, v[10:11] glc dlc
	s_waitcnt vmcnt(0) lgkmcnt(0)
	buffer_gl1_inv
	buffer_gl0_inv
	v_cmp_eq_u32_e32 vcc_lo, 0, v10
	s_and_b32 s44, vcc_lo, exec_lo
	s_or_b32 s43, s43, s44
	s_mov_b32 s45, -1
	s_or_b32 s41, s41, exec_lo
	s_and_saveexec_b32 s44, s43
	s_cbranch_execz .LBB2_1135
.LBB2_1139:                             ;   in Loop: Header=BB2_1136 Depth=2
	s_sleep 1
	s_trap 2
	ds_read_b64 v[10:11], v0
	s_waitcnt lgkmcnt(0)
	buffer_gl0_inv
	s_andn2_b32 s41, s41, exec_lo
	v_cmp_ge_u64_e32 vcc_lo, v[10:11], v[28:29]
	s_orn2_b32 s45, vcc_lo, exec_lo
	s_branch .LBB2_1135
.LBB2_1140:                             ;   in Loop: Header=BB2_49 Depth=1
	s_inst_prefetch 0x2
	s_or_b32 exec_lo, exec_lo, s29
	s_and_saveexec_b32 s29, s40
	s_xor_b32 s29, exec_lo, s29
	s_cbranch_execz .LBB2_1142
; %bb.1141:                             ;   in Loop: Header=BB2_49 Depth=1
	ds_write_b32 v0, v87
	s_trap 2
.LBB2_1142:                             ;   in Loop: Header=BB2_49 Depth=1
	s_or_b32 exec_lo, exec_lo, s28
	;;#ASMSTART
	s_wakeup
	;;#ASMEND
.LBB2_1143:                             ;   in Loop: Header=BB2_49 Depth=1
	s_or_b32 exec_lo, exec_lo, s27
.LBB2_1144:                             ;   in Loop: Header=BB2_49 Depth=1
	s_andn2_saveexec_b32 s26, s26
	s_cbranch_execz .LBB2_1146
; %bb.1145:                             ;   in Loop: Header=BB2_49 Depth=1
	s_waitcnt vmcnt(0) lgkmcnt(0)
	s_waitcnt_vscnt null, 0x0
	buffer_gl1_inv
	buffer_gl0_inv
	s_barrier
.LBB2_1146:                             ;   in Loop: Header=BB2_49 Depth=1
	s_or_b32 exec_lo, exec_lo, s26
.LBB2_1147:                             ;   in Loop: Header=BB2_49 Depth=1
	s_or_b32 exec_lo, exec_lo, s14
	v_and_b32_e32 v10, 16, v69
	v_cmp_ne_u32_e32 vcc_lo, 0, v10
	s_and_b32 s14, vcc_lo, s13
	s_and_saveexec_b32 s13, s14
	s_cbranch_execz .LBB2_1149
; %bb.1148:                             ;   in Loop: Header=BB2_49 Depth=1
	s_waitcnt vmcnt(0) lgkmcnt(0)
	s_waitcnt_vscnt null, 0x0
	buffer_gl1_inv
	buffer_gl0_inv
.LBB2_1149:                             ;   in Loop: Header=BB2_49 Depth=1
	s_or_b32 exec_lo, exec_lo, s13
	v_cmp_ne_u32_e32 vcc_lo, 0, v10
	s_xor_b32 s13, s12, -1
	s_and_b32 s14, vcc_lo, s13
	s_and_saveexec_b32 s13, s14
	s_cbranch_execz .LBB2_1151
; %bb.1150:                             ;   in Loop: Header=BB2_49 Depth=1
	s_waitcnt vmcnt(0) lgkmcnt(0)
	s_waitcnt_vscnt null, 0x0
	flat_store_dword v[34:35], v87
.LBB2_1151:                             ;   in Loop: Header=BB2_49 Depth=1
	s_or_b32 exec_lo, exec_lo, s13
	v_and_b32_e32 v10, 48, v69
	s_mov_b32 s13, exec_lo
	v_cmpx_ne_u32_e32 0, v10
	s_cbranch_execz .LBB2_1153
; %bb.1152:                             ;   in Loop: Header=BB2_49 Depth=1
	v_add_co_u32 v8, vcc_lo, v8, 1
	v_add_co_ci_u32_e64 v9, null, 0, v9, vcc_lo
	s_waitcnt vmcnt(0) lgkmcnt(0)
	s_waitcnt_vscnt null, 0x0
	flat_store_dwordx2 v[22:23], v[8:9]
.LBB2_1153:                             ;   in Loop: Header=BB2_49 Depth=1
	s_or_b32 exec_lo, exec_lo, s13
	v_mov_b32_e32 v10, v49
.LBB2_1154:                             ;   in Loop: Header=BB2_49 Depth=1
	s_or_b32 exec_lo, exec_lo, s25
	s_and_saveexec_b32 s14, s24
	s_cbranch_execz .LBB2_48
; %bb.1155:                             ;   in Loop: Header=BB2_49 Depth=1
	v_sub_nc_u32_e32 v10, v48, v10
	v_and_b32_e32 v11, 12, v69
	s_mov_b32 s24, exec_lo
	v_min_i32_e32 v10, v49, v10
	v_cmpx_ne_u32_e32 0, v11
	s_cbranch_execz .LBB2_1181
; %bb.1156:                             ;   in Loop: Header=BB2_49 Depth=1
	v_and_b32_e32 v16, 8, v69
	s_mov_b32 s25, exec_lo
	s_waitcnt vmcnt(0)
	v_add_co_u32 v14, vcc_lo, v26, v16
	v_add_co_ci_u32_e64 v15, null, 0, v27, vcc_lo
	s_waitcnt lgkmcnt(0)
	v_add_co_u32 v12, vcc_lo, v8, 1
	v_add_co_ci_u32_e64 v13, null, 0, v9, vcc_lo
	v_cmpx_lt_u64_e64 v[14:15], v[12:13]
	s_cbranch_execz .LBB2_1168
; %bb.1157:                             ;   in Loop: Header=BB2_49 Depth=1
	v_and_b32_e32 v9, 64, v69
	s_mov_b32 s26, 0
	s_mov_b32 s40, 0
                                        ; implicit-def: $sgpr27
                                        ; implicit-def: $sgpr28
                                        ; implicit-def: $sgpr29
	v_cmp_eq_u32_e32 vcc_lo, 0, v9
	s_branch .LBB2_1161
.LBB2_1158:                             ;   in Loop: Header=BB2_1161 Depth=2
	s_waitcnt vmcnt(0) lgkmcnt(0)
	v_add_co_u32 v14, s13, v26, v16
	v_add_co_ci_u32_e64 v15, null, 0, v27, s13
	s_or_b32 s43, s43, exec_lo
	v_cmp_ge_u64_e64 s13, v[14:15], v[12:13]
	s_orn2_b32 s42, s13, exec_lo
.LBB2_1159:                             ;   in Loop: Header=BB2_1161 Depth=2
	s_or_b32 exec_lo, exec_lo, s45
	s_andn2_b32 s13, s29, exec_lo
	s_and_b32 s29, s43, exec_lo
	s_andn2_b32 s28, s28, exec_lo
	s_and_b32 s42, s42, exec_lo
	s_or_b32 s29, s13, s29
	s_or_b32 s28, s28, s42
.LBB2_1160:                             ;   in Loop: Header=BB2_1161 Depth=2
	s_or_b32 exec_lo, exec_lo, s41
	s_and_b32 s13, exec_lo, s28
	s_or_b32 s26, s13, s26
	s_andn2_b32 s13, s27, exec_lo
	s_and_b32 s27, s29, exec_lo
	s_or_b32 s27, s13, s27
	s_andn2_b32 exec_lo, exec_lo, s26
	s_cbranch_execz .LBB2_1165
.LBB2_1161:                             ;   Parent Loop BB2_49 Depth=1
                                        ; =>  This Inner Loop Header: Depth=2
	s_sleep 1
	s_waitcnt vmcnt(0) lgkmcnt(0)
	flat_load_dwordx2 v[26:27], v[22:23] glc dlc
	s_or_b32 s29, s29, exec_lo
	s_or_b32 s28, s28, exec_lo
                                        ; implicit-def: $vgpr9
	s_and_saveexec_b32 s41, vcc_lo
	s_cbranch_execz .LBB2_1160
; %bb.1162:                             ;   in Loop: Header=BB2_1161 Depth=2
	s_cmpk_lt_i32 s40, 0x270f
	s_mov_b32 s42, -1
	s_cselect_b32 s44, -1, 0
	s_cmpk_gt_i32 s40, 0x270e
	s_cbranch_scc0 .LBB2_1164
; %bb.1163:                             ;   in Loop: Header=BB2_1161 Depth=2
	s_trap 2
	ds_read_b64 v[14:15], v0
	s_andn2_b32 s40, s44, exec_lo
	s_mov_b32 s43, 0
	s_waitcnt vmcnt(0) lgkmcnt(0)
	s_waitcnt_vscnt null, 0x0
	flat_load_dword v9, v[14:15] glc dlc
	s_waitcnt vmcnt(0) lgkmcnt(0)
	buffer_gl1_inv
	buffer_gl0_inv
	v_cmp_eq_u32_e64 s13, 0, v9
	s_and_b32 s13, s13, exec_lo
	s_or_b32 s44, s40, s13
	s_mov_b32 s40, 0
	s_and_saveexec_b32 s45, s44
	s_cbranch_execz .LBB2_1159
	s_branch .LBB2_1158
.LBB2_1164:                             ;   in Loop: Header=BB2_1161 Depth=2
	s_add_i32 s40, s40, 1
	s_mov_b32 s43, -1
                                        ; implicit-def: $vgpr9
	s_and_saveexec_b32 s45, s44
	s_cbranch_execz .LBB2_1159
	s_branch .LBB2_1158
.LBB2_1165:                             ;   in Loop: Header=BB2_49 Depth=1
	s_or_b32 exec_lo, exec_lo, s26
	s_xor_b32 s13, s27, -1
	s_and_saveexec_b32 s26, s13
	s_xor_b32 s13, exec_lo, s26
	s_cbranch_execz .LBB2_1167
; %bb.1166:                             ;   in Loop: Header=BB2_49 Depth=1
	v_or_b32_e32 v69, 64, v69
	s_waitcnt vmcnt(0) lgkmcnt(0)
	s_waitcnt_vscnt null, 0x0
	ds_write_b32 v0, v9
	s_trap 2
.LBB2_1167:                             ;   in Loop: Header=BB2_49 Depth=1
	s_or_b32 exec_lo, exec_lo, s13
.LBB2_1168:                             ;   in Loop: Header=BB2_49 Depth=1
	s_or_b32 exec_lo, exec_lo, s25
	v_and_b32_e32 v9, 0x108, v69
	v_and_b32_e32 v17, 7, v8
	s_mov_b32 s13, exec_lo
	;;#ASMSTART
	s_wakeup
	;;#ASMEND
	v_cmpx_ne_u32_e32 0x108, v9
	s_xor_b32 s13, exec_lo, s13
                                        ; implicit-def: $vgpr37
; %bb.1169:                             ;   in Loop: Header=BB2_49 Depth=1
	v_mov_b32_e32 v37, v36
; %bb.1170:                             ;   in Loop: Header=BB2_49 Depth=1
	s_andn2_saveexec_b32 s13, s13
	s_cbranch_execz .LBB2_1172
; %bb.1171:                             ;   in Loop: Header=BB2_49 Depth=1
	v_mad_u64_u32 v[8:9], null, v17, 24, v[6:7]
	v_ashrrev_i32_e32 v11, 31, v10
	v_mov_b32_e32 v37, v36
	flat_store_dwordx2 v[8:9], v[10:11] offset:8
.LBB2_1172:                             ;   in Loop: Header=BB2_49 Depth=1
	s_or_b32 exec_lo, exec_lo, s13
	v_and_b32_e32 v8, 0x100, v69
	s_mov_b32 s13, -1
	v_cmp_ne_u32_e32 vcc_lo, 0, v8
                                        ; implicit-def: $vgpr8_vgpr9
	s_and_saveexec_b32 s25, vcc_lo
	s_cbranch_execz .LBB2_1176
; %bb.1173:                             ;   in Loop: Header=BB2_49 Depth=1
	v_mad_u64_u32 v[14:15], null, v17, 24, v[6:7]
	v_mov_b32_e32 v8, v15
	v_mad_u64_u32 v[8:9], null, v37, 24, v[8:9]
	v_mov_b32_e32 v15, v8
	flat_load_dword v8, v[14:15]
	s_waitcnt vmcnt(0) lgkmcnt(0)
	v_cmp_eq_u32_e64 s13, 1, v8
	v_cmp_ne_u32_e32 vcc_lo, 1, v8
                                        ; implicit-def: $vgpr8_vgpr9
	s_and_saveexec_b32 s26, s13
	s_cbranch_execz .LBB2_1175
; %bb.1174:                             ;   in Loop: Header=BB2_49 Depth=1
	flat_load_dword v8, v[14:15] offset:4 glc dlc
	s_waitcnt vmcnt(0) lgkmcnt(0)
	v_ashrrev_i32_e32 v9, 31, v8
.LBB2_1175:                             ;   in Loop: Header=BB2_49 Depth=1
	s_or_b32 exec_lo, exec_lo, s26
	s_orn2_b32 s13, vcc_lo, exec_lo
.LBB2_1176:                             ;   in Loop: Header=BB2_49 Depth=1
	s_or_b32 exec_lo, exec_lo, s25
	s_and_saveexec_b32 s25, s13
; %bb.1177:                             ;   in Loop: Header=BB2_49 Depth=1
	v_mul_lo_u32 v11, v37, v70
	v_mul_lo_u32 v14, v17, v30
	v_mad_u64_u32 v[8:9], null, v17, v70, 0
	v_add3_u32 v9, v9, v14, v11
; %bb.1178:                             ;   in Loop: Header=BB2_49 Depth=1
	s_or_b32 exec_lo, exec_lo, s25
	v_cmp_eq_u32_e32 vcc_lo, 0, v16
	v_and_b32_e32 v14, 0x2000, v69
	s_mov_b32 s13, exec_lo
	v_cndmask_b32_e32 v11, 0xc8, v96, vcc_lo
	v_add_co_u32 v8, vcc_lo, v24, v8
	v_add_co_ci_u32_e64 v9, null, v25, v9, vcc_lo
	v_add_nc_u32_e32 v11, v0, v11
	ds_write_b64 v11, v[8:9] offset:584
	v_cmpx_ne_u32_e32 0, v14
	s_cbranch_execz .LBB2_1180
; %bb.1179:                             ;   in Loop: Header=BB2_49 Depth=1
	ds_read_b64 v[8:9], v0 offset:872
	s_waitcnt lgkmcnt(0)
	v_add_co_u32 v8, vcc_lo, v8, 1
	v_add_co_ci_u32_e64 v9, null, 0, v9, vcc_lo
	ds_write_b64 v0, v[8:9] offset:872
.LBB2_1180:                             ;   in Loop: Header=BB2_49 Depth=1
	s_or_b32 exec_lo, exec_lo, s13
	v_mov_b32_e32 v8, v12
	v_mov_b32_e32 v9, v13
.LBB2_1181:                             ;   in Loop: Header=BB2_49 Depth=1
	s_or_b32 exec_lo, exec_lo, s24
	s_and_saveexec_b32 s13, s6
	s_cbranch_execz .LBB2_1200
; %bb.1182:                             ;   in Loop: Header=BB2_49 Depth=1
	s_and_saveexec_b32 s24, s20
	s_xor_b32 s24, exec_lo, s24
	s_cbranch_execz .LBB2_1197
; %bb.1183:                             ;   in Loop: Header=BB2_49 Depth=1
	s_and_saveexec_b32 s25, s7
	s_cbranch_execz .LBB2_1196
; %bb.1184:                             ;   in Loop: Header=BB2_49 Depth=1
	s_mov_b32 s27, exec_lo
	s_mov_b32 s26, exec_lo
	v_mbcnt_lo_u32_b32 v11, s27, 0
	s_waitcnt vmcnt(0) lgkmcnt(0)
	s_waitcnt_vscnt null, 0x0
	buffer_gl1_inv
	buffer_gl0_inv
	v_cmpx_eq_u32_e32 0, v11
	s_cbranch_execz .LBB2_1186
; %bb.1185:                             ;   in Loop: Header=BB2_49 Depth=1
	s_bcnt1_i32_b32 s27, s27
	v_mov_b32_e32 v12, v36
	v_mov_b32_e32 v11, s27
	ds_add_u64 v0, v[11:12]
	s_trap 2
.LBB2_1186:                             ;   in Loop: Header=BB2_49 Depth=1
	s_or_b32 exec_lo, exec_lo, s26
	s_trap 2
	ds_read_b64 v[11:12], v0
	s_waitcnt lgkmcnt(0)
	buffer_gl0_inv
	v_add_co_u32 v28, vcc_lo, v28, v71
	v_add_co_ci_u32_e64 v29, null, 0, v29, vcc_lo
	s_mov_b32 s26, exec_lo
	v_cmpx_lt_u64_e64 v[11:12], v[28:29]
	s_cbranch_execz .LBB2_1195
; %bb.1187:                             ;   in Loop: Header=BB2_49 Depth=1
	s_mov_b32 s27, 0
	s_mov_b32 s40, 0
                                        ; implicit-def: $sgpr28
                                        ; implicit-def: $sgpr29
	s_inst_prefetch 0x1
	s_branch .LBB2_1189
	.p2align	6
.LBB2_1188:                             ;   in Loop: Header=BB2_1189 Depth=2
	s_or_b32 exec_lo, exec_lo, s42
	s_and_b32 s41, exec_lo, s43
	s_or_b32 s27, s41, s27
	s_andn2_b32 s28, s28, exec_lo
	s_and_b32 s41, s29, exec_lo
	s_or_b32 s28, s28, s41
	s_andn2_b32 exec_lo, exec_lo, s27
	s_cbranch_execz .LBB2_1193
.LBB2_1189:                             ;   Parent Loop BB2_49 Depth=1
                                        ; =>  This Inner Loop Header: Depth=2
	s_add_i32 s40, s40, 1
	s_cmpk_lg_i32 s40, 0x2710
	s_cselect_b32 s41, -1, 0
	s_and_b32 vcc_lo, exec_lo, s41
	s_cbranch_vccz .LBB2_1191
; %bb.1190:                             ;   in Loop: Header=BB2_1189 Depth=2
	s_mov_b32 s43, -1
	s_or_b32 s29, s29, exec_lo
	s_and_saveexec_b32 s42, s41
	s_cbranch_execz .LBB2_1188
	s_branch .LBB2_1192
	.p2align	6
.LBB2_1191:                             ;   in Loop: Header=BB2_1189 Depth=2
	s_trap 2
	ds_read_b64 v[11:12], v0
	s_andn2_b32 s41, s41, exec_lo
	s_mov_b32 s40, 0
	s_waitcnt lgkmcnt(0)
	flat_load_dword v11, v[11:12] glc dlc
	s_waitcnt vmcnt(0) lgkmcnt(0)
	buffer_gl1_inv
	buffer_gl0_inv
	v_cmp_eq_u32_e32 vcc_lo, 0, v11
	s_and_b32 s42, vcc_lo, exec_lo
	s_or_b32 s41, s41, s42
	s_mov_b32 s43, -1
	s_or_b32 s29, s29, exec_lo
	s_and_saveexec_b32 s42, s41
	s_cbranch_execz .LBB2_1188
.LBB2_1192:                             ;   in Loop: Header=BB2_1189 Depth=2
	s_sleep 1
	s_trap 2
	ds_read_b64 v[11:12], v0
	s_waitcnt lgkmcnt(0)
	buffer_gl0_inv
	s_andn2_b32 s29, s29, exec_lo
	v_cmp_ge_u64_e32 vcc_lo, v[11:12], v[28:29]
	s_orn2_b32 s43, vcc_lo, exec_lo
	s_branch .LBB2_1188
.LBB2_1193:                             ;   in Loop: Header=BB2_49 Depth=1
	s_inst_prefetch 0x2
	s_or_b32 exec_lo, exec_lo, s27
	s_and_saveexec_b32 s27, s28
	s_xor_b32 s27, exec_lo, s27
	s_cbranch_execz .LBB2_1195
; %bb.1194:                             ;   in Loop: Header=BB2_49 Depth=1
	ds_write_b32 v0, v87
	s_trap 2
.LBB2_1195:                             ;   in Loop: Header=BB2_49 Depth=1
	s_or_b32 exec_lo, exec_lo, s26
	;;#ASMSTART
	s_wakeup
	;;#ASMEND
.LBB2_1196:                             ;   in Loop: Header=BB2_49 Depth=1
	s_or_b32 exec_lo, exec_lo, s25
.LBB2_1197:                             ;   in Loop: Header=BB2_49 Depth=1
	s_andn2_saveexec_b32 s24, s24
	s_cbranch_execz .LBB2_1199
; %bb.1198:                             ;   in Loop: Header=BB2_49 Depth=1
	s_waitcnt vmcnt(0) lgkmcnt(0)
	s_waitcnt_vscnt null, 0x0
	buffer_gl1_inv
	buffer_gl0_inv
	s_barrier
.LBB2_1199:                             ;   in Loop: Header=BB2_49 Depth=1
	s_or_b32 exec_lo, exec_lo, s24
.LBB2_1200:                             ;   in Loop: Header=BB2_49 Depth=1
	s_or_b32 exec_lo, exec_lo, s13
	s_trap 2
	ds_read_b32 v11, v0
	v_cmp_lt_i32_e32 vcc_lo, 0, v10
	s_waitcnt lgkmcnt(0)
	v_readfirstlane_b32 s13, v11
	v_and_b32_e32 v11, 16, v69
	s_cmp_eq_u32 s13, 0
	v_cmp_ne_u32_e64 s13, 0, v11
	s_cselect_b32 s24, -1, 0
	s_and_b32 s24, vcc_lo, s24
	s_and_b32 s24, s13, s24
	s_and_saveexec_b32 s13, s24
	s_cbranch_execz .LBB2_1202
; %bb.1201:                             ;   in Loop: Header=BB2_49 Depth=1
	s_waitcnt vmcnt(0)
	s_waitcnt_vscnt null, 0x0
	buffer_gl1_inv
	buffer_gl0_inv
.LBB2_1202:                             ;   in Loop: Header=BB2_49 Depth=1
	s_or_b32 exec_lo, exec_lo, s13
	v_cmp_ne_u32_e32 vcc_lo, 0, v11
	s_xor_b32 s13, s12, -1
	s_and_b32 s24, vcc_lo, s13
	s_and_saveexec_b32 s13, s24
	s_cbranch_execz .LBB2_1204
; %bb.1203:                             ;   in Loop: Header=BB2_49 Depth=1
	s_waitcnt vmcnt(0)
	s_waitcnt_vscnt null, 0x0
	flat_store_dword v[34:35], v87
.LBB2_1204:                             ;   in Loop: Header=BB2_49 Depth=1
	s_or_b32 exec_lo, exec_lo, s13
	v_and_b32_e32 v10, 48, v69
	s_mov_b32 s13, exec_lo
	v_cmpx_ne_u32_e32 0, v10
	s_cbranch_execz .LBB2_47
; %bb.1205:                             ;   in Loop: Header=BB2_49 Depth=1
	v_add_co_u32 v8, vcc_lo, v8, 1
	v_add_co_ci_u32_e64 v9, null, 0, v9, vcc_lo
	s_waitcnt vmcnt(0) lgkmcnt(0)
	s_waitcnt_vscnt null, 0x0
	flat_store_dwordx2 v[22:23], v[8:9]
	s_branch .LBB2_47
.LBB2_1206:
	s_or_b32 exec_lo, exec_lo, s21
.LBB2_1207:
	s_or_b32 exec_lo, exec_lo, s19
                                        ; implicit-def: $vgpr18_vgpr19
                                        ; implicit-def: $vgpr4_vgpr5
                                        ; implicit-def: $vgpr70
                                        ; implicit-def: $vgpr26_vgpr27
                                        ; implicit-def: $vgpr24_vgpr25
                                        ; implicit-def: $vgpr22_vgpr23
                                        ; implicit-def: $vgpr0
                                        ; implicit-def: $vgpr38
                                        ; implicit-def: $vgpr32
.LBB2_1208:
	s_andn2_saveexec_b32 s14, s18
	s_cbranch_execz .LBB2_2360
; %bb.1209:
	s_waitcnt vmcnt(1)
	v_mov_b32_e32 v28, 0
	v_mov_b32_e32 v29, 0
	s_mov_b32 s18, exec_lo
	v_cmpx_ne_u64_e32 0, v[4:5]
	s_cbranch_execz .LBB2_2359
; %bb.1210:
	v_ashrrev_i32_e32 v10, 31, v0
	v_and_b32_e32 v11, 31, v31
	v_lshrrev_b32_e32 v30, 5, v1
	v_lshlrev_b32_e32 v66, 4, v0
	s_ashr_i32 s7, s16, 31
	v_lshrrev_b32_e32 v10, 27, v10
	v_cmp_eq_u32_e32 vcc_lo, 32, v1
	s_lshr_b32 s7, s7, 24
	v_mov_b32_e32 v36, 0
	v_mov_b32_e32 v28, 0
	v_add_nc_u32_e32 v10, v0, v10
	v_cmp_ge_i32_e64 s5, v0, v1
	v_cmp_ne_u32_e64 s6, 32, v1
	s_waitcnt vmcnt(0)
	v_cmp_ne_u32_sdwa s19, v1, v68 src0_sel:DWORD src1_sel:WORD_0
	s_waitcnt lgkmcnt(1)
	v_mov_b32_e32 v35, 0
	v_and_b32_e32 v12, 0xffffffe0, v10
	v_ashrrev_i32_e32 v10, 5, v10
	v_and_b32_e32 v67, 0x1fe0, v1
	v_mov_b32_e32 v37, 0
	s_add_i32 s12, s16, s7
	v_sub_nc_u32_e32 v71, v0, v12
	v_cmp_eq_u32_e64 s7, 0, v11
	v_ashrrev_i32_e32 v80, 31, v66
	v_lshlrev_b32_e32 v81, 9, v30
	v_lshlrev_b32_e32 v82, 8, v30
	v_sub_nc_u32_e32 v83, 0, v10
	v_cmp_le_i32_e64 s10, v71, v38
	v_cmp_gt_i32_e64 s11, 1, v71
	v_mov_b32_e32 v84, 1
	v_mov_b32_e32 v85, 0x7f
	;; [unrolled: 1-line block ×8, first 2 shown]
	s_ashr_i32 s21, s12, 8
	s_mov_b32 s20, 0
	s_xor_b32 s22, vcc_lo, -1
	s_trap 2
	s_branch .LBB2_1213
.LBB2_1211:                             ;   in Loop: Header=BB2_1213 Depth=1
	s_or_b32 exec_lo, exec_lo, s12
.LBB2_1212:                             ;   in Loop: Header=BB2_1213 Depth=1
	s_or_b32 exec_lo, exec_lo, s13
	v_add_co_u32 v36, vcc_lo, v36, v32
	v_add_co_ci_u32_e64 v37, null, 0, v37, vcc_lo
	v_cmp_ge_u64_e32 vcc_lo, v[36:37], v[4:5]
	s_or_b32 s20, vcc_lo, s20
	s_andn2_b32 exec_lo, exec_lo, s20
	s_cbranch_execz .LBB2_2358
.LBB2_1213:                             ; =>This Loop Header: Depth=1
                                        ;     Child Loop BB2_1222 Depth 2
                                        ;     Child Loop BB2_1246 Depth 2
	;; [unrolled: 1-line block ×10, first 2 shown]
	v_sub_co_u32 v10, vcc_lo, v4, v36
	v_sub_co_ci_u32_e64 v11, null, v5, v37, vcc_lo
	v_mov_b32_e32 v14, 0
	v_cmp_lt_u64_e32 vcc_lo, v[32:33], v[10:11]
	v_cndmask_b32_e32 v38, v10, v32, vcc_lo
	v_cndmask_b32_e64 v39, v11, 0, vcc_lo
	v_add_nc_u32_e32 v10, 15, v38
	v_cmp_eq_u64_e32 vcc_lo, 0, v[38:39]
	v_and_b32_e32 v10, 0x7ffffff0, v10
	s_or_b32 s23, s5, vcc_lo
	s_xor_b32 s12, s23, -1
	v_max_i32_e32 v39, s21, v10
	s_and_saveexec_b32 s24, s12
	s_cbranch_execz .LBB2_2312
; %bb.1214:                             ;   in Loop: Header=BB2_1213 Depth=1
	s_and_saveexec_b32 s13, s4
	s_cbranch_execz .LBB2_1216
; %bb.1215:                             ;   in Loop: Header=BB2_1213 Depth=1
	s_trap 2
	ds_read2_b64 v[10:13], v0 offset1:1
	ds_read_b64 v[14:15], v0
	v_add_co_u32 v16, vcc_lo, v36, v18
	v_add_co_ci_u32_e64 v17, null, v37, v19, vcc_lo
	s_waitcnt lgkmcnt(1)
	v_add_co_u32 v10, vcc_lo, v10, v16
	v_add_co_ci_u32_e64 v11, null, v11, v17, vcc_lo
	s_waitcnt lgkmcnt(0)
	v_add_co_u32 v34, vcc_lo, v14, v16
	v_add_co_ci_u32_e64 v48, null, v15, v17, vcc_lo
	v_cmp_ne_u64_e32 vcc_lo, 0, v[14:15]
	v_add_co_u32 v12, s12, v12, v16
	v_add_co_ci_u32_e64 v13, null, v13, v17, s12
	v_cndmask_b32_e32 v15, 0, v48, vcc_lo
	v_cndmask_b32_e32 v14, 0, v34, vcc_lo
	ds_write_b64 v0, v[10:11]
	ds_write_b64 v0, v[12:13]
	;; [unrolled: 1-line block ×3, first 2 shown]
.LBB2_1216:                             ;   in Loop: Header=BB2_1213 Depth=1
	s_or_b32 exec_lo, exec_lo, s13
	v_and_b32_e32 v10, 4, v69
	s_mov_b32 s13, exec_lo
	v_cmpx_ne_u32_e32 0, v10
	s_cbranch_execz .LBB2_1238
; %bb.1217:                             ;   in Loop: Header=BB2_1213 Depth=1
	s_waitcnt lgkmcnt(0)
	v_add_co_u32 v10, vcc_lo, v8, 1
	v_add_co_ci_u32_e64 v11, null, 0, v9, vcc_lo
	s_mov_b32 s25, exec_lo
	s_waitcnt vmcnt(0)
	v_cmpx_lt_u64_e64 v[26:27], v[10:11]
	s_cbranch_execz .LBB2_1229
; %bb.1218:                             ;   in Loop: Header=BB2_1213 Depth=1
	v_and_b32_e32 v9, 64, v69
	s_mov_b32 s26, 0
	s_mov_b32 s40, 0
                                        ; implicit-def: $sgpr27
                                        ; implicit-def: $sgpr28
                                        ; implicit-def: $sgpr29
	v_cmp_eq_u32_e32 vcc_lo, 0, v9
	s_branch .LBB2_1222
.LBB2_1219:                             ;   in Loop: Header=BB2_1222 Depth=2
	s_waitcnt vmcnt(0) lgkmcnt(0)
	v_cmp_ge_u64_e64 s12, v[26:27], v[10:11]
	s_or_b32 s43, s43, exec_lo
	s_orn2_b32 s42, s12, exec_lo
.LBB2_1220:                             ;   in Loop: Header=BB2_1222 Depth=2
	s_or_b32 exec_lo, exec_lo, s45
	s_andn2_b32 s12, s29, exec_lo
	s_and_b32 s29, s43, exec_lo
	s_andn2_b32 s28, s28, exec_lo
	s_and_b32 s42, s42, exec_lo
	s_or_b32 s29, s12, s29
	s_or_b32 s28, s28, s42
.LBB2_1221:                             ;   in Loop: Header=BB2_1222 Depth=2
	s_or_b32 exec_lo, exec_lo, s41
	s_and_b32 s12, exec_lo, s28
	s_or_b32 s26, s12, s26
	s_andn2_b32 s12, s27, exec_lo
	s_and_b32 s27, s29, exec_lo
	s_or_b32 s27, s12, s27
	s_andn2_b32 exec_lo, exec_lo, s26
	s_cbranch_execz .LBB2_1226
.LBB2_1222:                             ;   Parent Loop BB2_1213 Depth=1
                                        ; =>  This Inner Loop Header: Depth=2
	s_sleep 1
	s_waitcnt vmcnt(0) lgkmcnt(0)
	flat_load_dwordx2 v[26:27], v[22:23] glc dlc
	s_or_b32 s29, s29, exec_lo
	s_or_b32 s28, s28, exec_lo
                                        ; implicit-def: $vgpr9
	s_and_saveexec_b32 s41, vcc_lo
	s_cbranch_execz .LBB2_1221
; %bb.1223:                             ;   in Loop: Header=BB2_1222 Depth=2
	s_cmpk_lt_i32 s40, 0x270f
	s_mov_b32 s42, -1
	s_cselect_b32 s44, -1, 0
	s_cmpk_gt_i32 s40, 0x270e
	s_cbranch_scc0 .LBB2_1225
; %bb.1224:                             ;   in Loop: Header=BB2_1222 Depth=2
	s_trap 2
	ds_read_b64 v[12:13], v0
	s_andn2_b32 s40, s44, exec_lo
	s_mov_b32 s43, 0
	s_waitcnt vmcnt(0) lgkmcnt(0)
	s_waitcnt_vscnt null, 0x0
	flat_load_dword v9, v[12:13] glc dlc
	s_waitcnt vmcnt(0) lgkmcnt(0)
	buffer_gl1_inv
	buffer_gl0_inv
	v_cmp_eq_u32_e64 s12, 0, v9
	s_and_b32 s12, s12, exec_lo
	s_or_b32 s44, s40, s12
	s_mov_b32 s40, 0
	s_and_saveexec_b32 s45, s44
	s_cbranch_execz .LBB2_1220
	s_branch .LBB2_1219
.LBB2_1225:                             ;   in Loop: Header=BB2_1222 Depth=2
	s_add_i32 s40, s40, 1
	s_mov_b32 s43, -1
                                        ; implicit-def: $vgpr9
	s_and_saveexec_b32 s45, s44
	s_cbranch_execz .LBB2_1220
	s_branch .LBB2_1219
.LBB2_1226:                             ;   in Loop: Header=BB2_1213 Depth=1
	s_or_b32 exec_lo, exec_lo, s26
	s_xor_b32 s12, s27, -1
	s_and_saveexec_b32 s26, s12
	s_xor_b32 s12, exec_lo, s26
	s_cbranch_execz .LBB2_1228
; %bb.1227:                             ;   in Loop: Header=BB2_1213 Depth=1
	v_or_b32_e32 v69, 64, v69
	s_waitcnt vmcnt(0) lgkmcnt(0)
	s_waitcnt_vscnt null, 0x0
	ds_write_b32 v0, v9
	s_trap 2
.LBB2_1228:                             ;   in Loop: Header=BB2_1213 Depth=1
	s_or_b32 exec_lo, exec_lo, s12
.LBB2_1229:                             ;   in Loop: Header=BB2_1213 Depth=1
	s_or_b32 exec_lo, exec_lo, s25
	v_and_b32_e32 v9, 0x100, v69
	v_and_b32_e32 v14, 7, v8
	s_mov_b32 s12, -1
	;;#ASMSTART
	s_wakeup
	;;#ASMEND
	v_cmp_ne_u32_e32 vcc_lo, 0, v9
                                        ; implicit-def: $vgpr8_vgpr9
	s_and_saveexec_b32 s25, vcc_lo
	s_cbranch_execz .LBB2_1233
; %bb.1230:                             ;   in Loop: Header=BB2_1213 Depth=1
	v_mad_u64_u32 v[12:13], null, v14, 24, v[6:7]
	flat_load_dword v8, v[12:13]
	s_waitcnt vmcnt(0) lgkmcnt(0)
	v_cmp_eq_u32_e64 s12, 1, v8
	v_cmp_ne_u32_e32 vcc_lo, 1, v8
                                        ; implicit-def: $vgpr8_vgpr9
	s_and_saveexec_b32 s26, s12
	s_cbranch_execz .LBB2_1232
; %bb.1231:                             ;   in Loop: Header=BB2_1213 Depth=1
	flat_load_dword v8, v[12:13] offset:4 glc dlc
	s_waitcnt vmcnt(0) lgkmcnt(0)
	v_ashrrev_i32_e32 v9, 31, v8
.LBB2_1232:                             ;   in Loop: Header=BB2_1213 Depth=1
	s_or_b32 exec_lo, exec_lo, s26
	s_orn2_b32 s12, vcc_lo, exec_lo
.LBB2_1233:                             ;   in Loop: Header=BB2_1213 Depth=1
	s_or_b32 exec_lo, exec_lo, s25
	s_and_saveexec_b32 s25, s12
; %bb.1234:                             ;   in Loop: Header=BB2_1213 Depth=1
	v_mad_i64_i32 v[8:9], null, v14, v70, 0
; %bb.1235:                             ;   in Loop: Header=BB2_1213 Depth=1
	s_or_b32 exec_lo, exec_lo, s25
	v_add_co_u32 v8, vcc_lo, v24, v8
	v_and_b32_e32 v12, 0x2000, v69
	v_add_co_ci_u32_e64 v9, null, v25, v9, vcc_lo
	s_mov_b32 s12, exec_lo
	ds_write_b64 v0, v[8:9] offset:728
	v_cmpx_ne_u32_e32 0, v12
	s_cbranch_execz .LBB2_1237
; %bb.1236:                             ;   in Loop: Header=BB2_1213 Depth=1
	ds_read_b64 v[8:9], v0 offset:872
	s_waitcnt lgkmcnt(0)
	v_add_co_u32 v8, vcc_lo, v8, 1
	v_add_co_ci_u32_e64 v9, null, 0, v9, vcc_lo
	ds_write_b64 v0, v[8:9] offset:872
.LBB2_1237:                             ;   in Loop: Header=BB2_1213 Depth=1
	s_or_b32 exec_lo, exec_lo, s12
	v_mov_b32_e32 v8, v10
	v_mov_b32_e32 v9, v11
.LBB2_1238:                             ;   in Loop: Header=BB2_1213 Depth=1
	s_or_b32 exec_lo, exec_lo, s13
	s_and_saveexec_b32 s12, s6
	s_cbranch_execz .LBB2_1257
; %bb.1239:                             ;   in Loop: Header=BB2_1213 Depth=1
	s_and_saveexec_b32 s13, s19
	s_xor_b32 s13, exec_lo, s13
	s_cbranch_execz .LBB2_1254
; %bb.1240:                             ;   in Loop: Header=BB2_1213 Depth=1
	s_and_saveexec_b32 s25, s7
	s_cbranch_execz .LBB2_1253
; %bb.1241:                             ;   in Loop: Header=BB2_1213 Depth=1
	s_mov_b32 s27, exec_lo
	s_mov_b32 s26, exec_lo
	v_mbcnt_lo_u32_b32 v10, s27, 0
	s_waitcnt vmcnt(0) lgkmcnt(0)
	s_waitcnt_vscnt null, 0x0
	buffer_gl1_inv
	buffer_gl0_inv
	v_cmpx_eq_u32_e32 0, v10
	s_cbranch_execz .LBB2_1243
; %bb.1242:                             ;   in Loop: Header=BB2_1213 Depth=1
	s_bcnt1_i32_b32 s27, s27
	v_mov_b32_e32 v34, s27
	ds_add_u64 v0, v[34:35]
	s_trap 2
.LBB2_1243:                             ;   in Loop: Header=BB2_1213 Depth=1
	s_or_b32 exec_lo, exec_lo, s26
	s_trap 2
	ds_read_b64 v[10:11], v0
	s_waitcnt lgkmcnt(0)
	buffer_gl0_inv
	v_add_co_u32 v28, vcc_lo, v28, v30
	v_add_co_ci_u32_e64 v29, null, 0, v29, vcc_lo
	s_mov_b32 s26, exec_lo
	v_cmpx_lt_u64_e64 v[10:11], v[28:29]
	s_cbranch_execz .LBB2_1252
; %bb.1244:                             ;   in Loop: Header=BB2_1213 Depth=1
	s_mov_b32 s27, 0
	s_mov_b32 s40, 0
                                        ; implicit-def: $sgpr28
                                        ; implicit-def: $sgpr29
	s_inst_prefetch 0x1
	s_branch .LBB2_1246
	.p2align	6
.LBB2_1245:                             ;   in Loop: Header=BB2_1246 Depth=2
	s_or_b32 exec_lo, exec_lo, s42
	s_and_b32 s41, exec_lo, s43
	s_or_b32 s27, s41, s27
	s_andn2_b32 s28, s28, exec_lo
	s_and_b32 s41, s29, exec_lo
	s_or_b32 s28, s28, s41
	s_andn2_b32 exec_lo, exec_lo, s27
	s_cbranch_execz .LBB2_1250
.LBB2_1246:                             ;   Parent Loop BB2_1213 Depth=1
                                        ; =>  This Inner Loop Header: Depth=2
	s_add_i32 s40, s40, 1
	s_cmpk_lg_i32 s40, 0x2710
	s_cselect_b32 s41, -1, 0
	s_and_b32 vcc_lo, exec_lo, s41
	s_cbranch_vccz .LBB2_1248
; %bb.1247:                             ;   in Loop: Header=BB2_1246 Depth=2
	s_mov_b32 s43, -1
	s_or_b32 s29, s29, exec_lo
	s_and_saveexec_b32 s42, s41
	s_cbranch_execz .LBB2_1245
	s_branch .LBB2_1249
	.p2align	6
.LBB2_1248:                             ;   in Loop: Header=BB2_1246 Depth=2
	s_trap 2
	ds_read_b64 v[10:11], v0
	s_andn2_b32 s41, s41, exec_lo
	s_mov_b32 s40, 0
	s_waitcnt lgkmcnt(0)
	flat_load_dword v10, v[10:11] glc dlc
	s_waitcnt vmcnt(0) lgkmcnt(0)
	buffer_gl1_inv
	buffer_gl0_inv
	v_cmp_eq_u32_e32 vcc_lo, 0, v10
	s_and_b32 s42, vcc_lo, exec_lo
	s_or_b32 s41, s41, s42
	s_mov_b32 s43, -1
	s_or_b32 s29, s29, exec_lo
	s_and_saveexec_b32 s42, s41
	s_cbranch_execz .LBB2_1245
.LBB2_1249:                             ;   in Loop: Header=BB2_1246 Depth=2
	s_sleep 1
	s_trap 2
	ds_read_b64 v[10:11], v0
	s_waitcnt lgkmcnt(0)
	buffer_gl0_inv
	s_andn2_b32 s29, s29, exec_lo
	v_cmp_ge_u64_e32 vcc_lo, v[10:11], v[28:29]
	s_orn2_b32 s43, vcc_lo, exec_lo
	s_branch .LBB2_1245
.LBB2_1250:                             ;   in Loop: Header=BB2_1213 Depth=1
	s_inst_prefetch 0x2
	s_or_b32 exec_lo, exec_lo, s27
	s_and_saveexec_b32 s27, s28
	s_xor_b32 s27, exec_lo, s27
	s_cbranch_execz .LBB2_1252
; %bb.1251:                             ;   in Loop: Header=BB2_1213 Depth=1
	ds_write_b32 v0, v84
	s_trap 2
.LBB2_1252:                             ;   in Loop: Header=BB2_1213 Depth=1
	s_or_b32 exec_lo, exec_lo, s26
	;;#ASMSTART
	s_wakeup
	;;#ASMEND
.LBB2_1253:                             ;   in Loop: Header=BB2_1213 Depth=1
	s_or_b32 exec_lo, exec_lo, s25
.LBB2_1254:                             ;   in Loop: Header=BB2_1213 Depth=1
	s_andn2_saveexec_b32 s13, s13
	s_cbranch_execz .LBB2_1256
; %bb.1255:                             ;   in Loop: Header=BB2_1213 Depth=1
	s_waitcnt vmcnt(0) lgkmcnt(0)
	s_waitcnt_vscnt null, 0x0
	buffer_gl1_inv
	buffer_gl0_inv
	s_barrier
.LBB2_1256:                             ;   in Loop: Header=BB2_1213 Depth=1
	s_or_b32 exec_lo, exec_lo, s13
.LBB2_1257:                             ;   in Loop: Header=BB2_1213 Depth=1
	s_or_b32 exec_lo, exec_lo, s12
	s_trap 2
	ds_read_b32 v10, v0
	v_and_b32_e32 v11, 0x4000, v69
	v_cmp_ne_u32_e32 vcc_lo, 0, v11
	s_and_b32 s13, s22, vcc_lo
	s_and_saveexec_b32 s12, s13
	s_cbranch_execz .LBB2_1276
; %bb.1258:                             ;   in Loop: Header=BB2_1213 Depth=1
	s_and_saveexec_b32 s13, s19
	s_xor_b32 s13, exec_lo, s13
	s_cbranch_execz .LBB2_1273
; %bb.1259:                             ;   in Loop: Header=BB2_1213 Depth=1
	s_and_saveexec_b32 s25, s7
	s_cbranch_execz .LBB2_1272
; %bb.1260:                             ;   in Loop: Header=BB2_1213 Depth=1
	s_mov_b32 s27, exec_lo
	s_mov_b32 s26, exec_lo
	v_mbcnt_lo_u32_b32 v11, s27, 0
	s_waitcnt vmcnt(0) lgkmcnt(0)
	s_waitcnt_vscnt null, 0x0
	buffer_gl1_inv
	buffer_gl0_inv
	v_cmpx_eq_u32_e32 0, v11
	s_cbranch_execz .LBB2_1262
; %bb.1261:                             ;   in Loop: Header=BB2_1213 Depth=1
	s_bcnt1_i32_b32 s27, s27
	v_mov_b32_e32 v34, s27
	ds_add_u64 v0, v[34:35]
	s_trap 2
.LBB2_1262:                             ;   in Loop: Header=BB2_1213 Depth=1
	s_or_b32 exec_lo, exec_lo, s26
	s_trap 2
	ds_read_b64 v[11:12], v0
	s_waitcnt lgkmcnt(0)
	buffer_gl0_inv
	v_add_co_u32 v28, vcc_lo, v28, v30
	v_add_co_ci_u32_e64 v29, null, 0, v29, vcc_lo
	s_mov_b32 s26, exec_lo
	v_cmpx_lt_u64_e64 v[11:12], v[28:29]
	s_cbranch_execz .LBB2_1271
; %bb.1263:                             ;   in Loop: Header=BB2_1213 Depth=1
	s_mov_b32 s27, 0
	s_mov_b32 s40, 0
                                        ; implicit-def: $sgpr28
                                        ; implicit-def: $sgpr29
	s_inst_prefetch 0x1
	s_branch .LBB2_1265
	.p2align	6
.LBB2_1264:                             ;   in Loop: Header=BB2_1265 Depth=2
	s_or_b32 exec_lo, exec_lo, s42
	s_and_b32 s41, exec_lo, s43
	s_or_b32 s27, s41, s27
	s_andn2_b32 s28, s28, exec_lo
	s_and_b32 s41, s29, exec_lo
	s_or_b32 s28, s28, s41
	s_andn2_b32 exec_lo, exec_lo, s27
	s_cbranch_execz .LBB2_1269
.LBB2_1265:                             ;   Parent Loop BB2_1213 Depth=1
                                        ; =>  This Inner Loop Header: Depth=2
	s_add_i32 s40, s40, 1
	s_cmpk_lg_i32 s40, 0x2710
	s_cselect_b32 s41, -1, 0
	s_and_b32 vcc_lo, exec_lo, s41
	s_cbranch_vccz .LBB2_1267
; %bb.1266:                             ;   in Loop: Header=BB2_1265 Depth=2
	s_mov_b32 s43, -1
	s_or_b32 s29, s29, exec_lo
	s_and_saveexec_b32 s42, s41
	s_cbranch_execz .LBB2_1264
	s_branch .LBB2_1268
	.p2align	6
.LBB2_1267:                             ;   in Loop: Header=BB2_1265 Depth=2
	s_trap 2
	ds_read_b64 v[11:12], v0
	s_andn2_b32 s41, s41, exec_lo
	s_mov_b32 s40, 0
	s_waitcnt lgkmcnt(0)
	flat_load_dword v11, v[11:12] glc dlc
	s_waitcnt vmcnt(0) lgkmcnt(0)
	buffer_gl1_inv
	buffer_gl0_inv
	v_cmp_eq_u32_e32 vcc_lo, 0, v11
	s_and_b32 s42, vcc_lo, exec_lo
	s_or_b32 s41, s41, s42
	s_mov_b32 s43, -1
	s_or_b32 s29, s29, exec_lo
	s_and_saveexec_b32 s42, s41
	s_cbranch_execz .LBB2_1264
.LBB2_1268:                             ;   in Loop: Header=BB2_1265 Depth=2
	s_sleep 1
	s_trap 2
	ds_read_b64 v[11:12], v0
	s_waitcnt lgkmcnt(0)
	buffer_gl0_inv
	s_andn2_b32 s29, s29, exec_lo
	v_cmp_ge_u64_e32 vcc_lo, v[11:12], v[28:29]
	s_orn2_b32 s43, vcc_lo, exec_lo
	s_branch .LBB2_1264
.LBB2_1269:                             ;   in Loop: Header=BB2_1213 Depth=1
	s_inst_prefetch 0x2
	s_or_b32 exec_lo, exec_lo, s27
	s_and_saveexec_b32 s27, s28
	s_xor_b32 s27, exec_lo, s27
	s_cbranch_execz .LBB2_1271
; %bb.1270:                             ;   in Loop: Header=BB2_1213 Depth=1
	ds_write_b32 v0, v84
	s_trap 2
.LBB2_1271:                             ;   in Loop: Header=BB2_1213 Depth=1
	s_or_b32 exec_lo, exec_lo, s26
	;;#ASMSTART
	s_wakeup
	;;#ASMEND
.LBB2_1272:                             ;   in Loop: Header=BB2_1213 Depth=1
	s_or_b32 exec_lo, exec_lo, s25
.LBB2_1273:                             ;   in Loop: Header=BB2_1213 Depth=1
	s_andn2_saveexec_b32 s13, s13
	s_cbranch_execz .LBB2_1275
; %bb.1274:                             ;   in Loop: Header=BB2_1213 Depth=1
	s_waitcnt vmcnt(0) lgkmcnt(0)
	s_waitcnt_vscnt null, 0x0
	buffer_gl1_inv
	buffer_gl0_inv
	s_barrier
.LBB2_1275:                             ;   in Loop: Header=BB2_1213 Depth=1
	s_or_b32 exec_lo, exec_lo, s13
.LBB2_1276:                             ;   in Loop: Header=BB2_1213 Depth=1
	s_or_b32 exec_lo, exec_lo, s12
	s_trap 2
	ds_read_b64 v[48:49], v0
	v_min_u32_e32 v39, v39, v38
	s_waitcnt lgkmcnt(0)
	v_cmp_eq_u64_e32 vcc_lo, 0, v[48:49]
	s_cbranch_vccnz .LBB2_1284
; %bb.1277:                             ;   in Loop: Header=BB2_1213 Depth=1
	s_trap 2
	ds_read_b64 v[50:51], v0
	s_waitcnt lgkmcnt(0)
	v_cmp_eq_u64_e32 vcc_lo, 0, v[50:51]
	s_cbranch_vccnz .LBB2_1284
; %bb.1278:                             ;   in Loop: Header=BB2_1213 Depth=1
	s_mov_b32 s12, -1
	s_and_saveexec_b32 s13, s10
	s_cbranch_execz .LBB2_1280
; %bb.1279:                             ;   in Loop: Header=BB2_1213 Depth=1
	ds_read_b32 v11, v0 offset:720
	s_waitcnt lgkmcnt(0)
	v_and_b32_e32 v11, 15, v11
	v_cmp_eq_u32_e32 vcc_lo, 0, v11
	s_orn2_b32 s12, vcc_lo, exec_lo
.LBB2_1280:                             ;   in Loop: Header=BB2_1213 Depth=1
	s_or_b32 exec_lo, exec_lo, s13
	s_and_saveexec_b32 s13, s11
	s_cbranch_execz .LBB2_1282
; %bb.1281:                             ;   in Loop: Header=BB2_1213 Depth=1
	ds_read_b32 v11, v0 offset:784
	s_waitcnt lgkmcnt(0)
	v_and_b32_e32 v11, 15, v11
	v_cmp_eq_u32_e32 vcc_lo, 0, v11
	s_and_b32 s25, s12, vcc_lo
	s_andn2_b32 s12, s12, exec_lo
	s_and_b32 s25, s25, exec_lo
	s_or_b32 s12, s12, s25
.LBB2_1282:                             ;   in Loop: Header=BB2_1213 Depth=1
	s_or_b32 exec_lo, exec_lo, s13
	v_cmp_eq_u32_e32 vcc_lo, 0, v10
	s_xor_b32 s12, s12, -1
	v_mov_b32_e32 v99, 0
	v_cndmask_b32_e64 v11, 0, 1, s12
	v_mov_b32_e32 v16, v0
	v_cndmask_b32_e32 v34, 0, v39, vcc_lo
	s_mov_b32 s25, -1
	v_cmp_ne_u32_e32 vcc_lo, 0, v11
	v_mov_b32_e32 v100, v34
	s_cbranch_vccz .LBB2_1285
; %bb.1283:                             ;   in Loop: Header=BB2_1213 Depth=1
	s_and_saveexec_b32 s13, s25
	s_cbranch_execnz .LBB2_2064
	s_branch .LBB2_2288
.LBB2_1284:                             ;   in Loop: Header=BB2_1213 Depth=1
	s_mov_b32 s12, 0
	s_and_saveexec_b32 s13, s6
	s_cbranch_execnz .LBB2_2289
	s_branch .LBB2_2307
.LBB2_1285:                             ;   in Loop: Header=BB2_1213 Depth=1
	v_and_b32_e32 v99, 0x1ff, v34
	v_lshrrev_b32_e32 v10, 9, v34
	v_sub_nc_u32_e32 v100, v34, v66
	s_mov_b32 s25, exec_lo
	v_cmp_lt_u32_e32 vcc_lo, 15, v99
	v_add_co_ci_u32_e64 v101, null, v10, v83, vcc_lo
	v_cmpx_lt_i32_e32 15, v100
	s_cbranch_execz .LBB2_1673
; %bb.1286:                             ;   in Loop: Header=BB2_1213 Depth=1
	s_trap 2
	ds_read_b64 v[10:11], v0
	v_add_co_u32 v52, s12, v48, v66
	v_add_co_ci_u32_e64 v53, null, v49, v80, s12
	s_mov_b32 s26, 0
	s_waitcnt lgkmcnt(0)
	v_add_co_u32 v54, s12, v10, v66
	v_add_co_ci_u32_e64 v55, null, v11, v80, s12
	v_add_co_u32 v64, s12, v50, v66
	v_add_co_ci_u32_e64 v65, null, v51, v80, s12
	s_branch .LBB2_1290
.LBB2_1287:                             ;   in Loop: Header=BB2_1290 Depth=2
	s_or_b32 exec_lo, exec_lo, s12
	v_lshrrev_b32_e32 v119, 20, v119
	v_min_i32_e32 v40, 15, v17
	v_cmp_gt_i32_e64 s12, 16, v17
	v_and_b32_sdwa v13, v13, v86 dst_sel:DWORD dst_unused:UNUSED_PAD src0_sel:BYTE_3 src1_sel:DWORD
	v_lshlrev_b32_e32 v40, 3, v40
	v_cndmask_b32_e64 v119, 7, v119, s12
	v_and_b32_e32 v40, 0xf8, v40
	v_and_b32_e32 v41, 7, v119
	v_or_b32_e32 v17, v17, v119
	v_or3_b32 v13, v13, v40, v41
	v_cmp_ne_u32_e64 s12, 0, v17
	v_lshlrev_b32_e32 v13, 8, v13
	v_cndmask_b32_e64 v17, 0, v13, s12
.LBB2_1288:                             ;   in Loop: Header=BB2_1290 Depth=2
	s_or_b32 exec_lo, exec_lo, s28
.LBB2_1289:                             ;   in Loop: Header=BB2_1290 Depth=2
	s_or_b32 exec_lo, exec_lo, s27
	v_or_b32_sdwa v11, v11, v114 dst_sel:WORD_1 dst_unused:UNUSED_PAD src0_sel:DWORD src1_sel:DWORD
	v_or_b32_sdwa v10, v10, v112 dst_sel:WORD_1 dst_unused:UNUSED_PAD src0_sel:DWORD src1_sel:DWORD
	;; [unrolled: 1-line block ×4, first 2 shown]
	v_sub_nc_u32_e32 v100, v100, v81
	v_or3_b32 v11, v113, v14, v11
	v_or3_b32 v10, v103, v102, v10
	;; [unrolled: 1-line block ×4, first 2 shown]
	v_add_co_u32 v52, s12, v52, v81
	v_add_co_ci_u32_e64 v53, null, 0, v53, s12
	v_add_co_u32 v54, s12, v54, v81
	global_store_dwordx4 v[64:65], v[10:13], off glc slc
	v_add_co_ci_u32_e64 v55, null, 0, v55, s12
	v_cmp_gt_i32_e64 s12, 16, v100
	v_add_co_u32 v64, s13, v64, v81
	v_add_co_ci_u32_e64 v65, null, 0, v65, s13
	v_sub_nc_u32_e32 v101, v101, v30
	s_or_b32 s26, s12, s26
	s_andn2_b32 exec_lo, exec_lo, s26
	s_cbranch_execz .LBB2_1672
.LBB2_1290:                             ;   Parent Loop BB2_1213 Depth=1
                                        ; =>  This Inner Loop Header: Depth=2
	global_load_dwordx4 v[14:17], v[52:53], off slc
	global_load_dwordx4 v[10:13], v[54:55], off slc
	s_mov_b32 s12, 0
	s_waitcnt vmcnt(1)
	v_cmp_gt_i16_sdwa s13, v14, v85 src0_sel:BYTE_0 src1_sel:DWORD
	s_and_saveexec_b32 s27, s13
	s_xor_b32 s13, exec_lo, s27
	s_cbranch_execz .LBB2_1608
; %bb.1291:                             ;   in Loop: Header=BB2_1290 Depth=2
	v_cmp_eq_u16_sdwa s28, v14, v86 src0_sel:BYTE_0 src1_sel:DWORD
	s_mov_b32 s12, -1
	s_and_saveexec_b32 s27, s28
; %bb.1292:                             ;   in Loop: Header=BB2_1290 Depth=2
	s_xor_b32 s12, exec_lo, -1
; %bb.1293:                             ;   in Loop: Header=BB2_1290 Depth=2
	s_or_b32 exec_lo, exec_lo, s27
	s_and_b32 s12, s12, exec_lo
	s_or_saveexec_b32 s13, s13
	v_mov_b32_e32 v102, 0x7f800001
	s_xor_b32 exec_lo, exec_lo, s13
	s_cbranch_execnz .LBB2_1609
.LBB2_1294:                             ;   in Loop: Header=BB2_1290 Depth=2
	s_or_b32 exec_lo, exec_lo, s13
	s_and_saveexec_b32 s13, s12
	s_cbranch_execz .LBB2_1296
.LBB2_1295:                             ;   in Loop: Header=BB2_1290 Depth=2
	v_and_b32_e32 v102, 7, v14
	v_bfe_u32 v113, v14, 3, 4
	v_lshlrev_b32_e32 v114, 24, v14
	v_ffbh_u32_e32 v103, v102
	v_cmp_eq_u32_e64 s12, 0, v113
	v_min_u32_e32 v103, 32, v103
	v_subrev_nc_u32_e32 v112, 28, v103
	v_sub_nc_u32_e32 v103, 29, v103
	v_lshlrev_b32_e32 v112, v112, v14
	v_cndmask_b32_e64 v103, v113, v103, s12
	v_and_b32_e32 v112, 7, v112
	v_lshl_add_u32 v103, v103, 23, 0x3b800000
	v_cndmask_b32_e64 v102, v102, v112, s12
	v_and_b32_e32 v112, 0x80000000, v114
	v_lshlrev_b32_e32 v102, 20, v102
	v_or3_b32 v102, v112, v103, v102
.LBB2_1296:                             ;   in Loop: Header=BB2_1290 Depth=2
	s_or_b32 exec_lo, exec_lo, s13
	s_waitcnt vmcnt(0)
	v_cmp_gt_i16_sdwa s13, v10, v85 src0_sel:BYTE_0 src1_sel:DWORD
	s_mov_b32 s12, 0
	s_and_saveexec_b32 s27, s13
	s_xor_b32 s13, exec_lo, s27
	s_cbranch_execz .LBB2_1610
; %bb.1297:                             ;   in Loop: Header=BB2_1290 Depth=2
	v_cmp_eq_u16_sdwa s28, v10, v86 src0_sel:BYTE_0 src1_sel:DWORD
	s_mov_b32 s12, -1
	s_and_saveexec_b32 s27, s28
; %bb.1298:                             ;   in Loop: Header=BB2_1290 Depth=2
	s_xor_b32 s12, exec_lo, -1
; %bb.1299:                             ;   in Loop: Header=BB2_1290 Depth=2
	s_or_b32 exec_lo, exec_lo, s27
	s_and_b32 s12, s12, exec_lo
	s_or_saveexec_b32 s13, s13
	v_mov_b32_e32 v103, 0x7f800001
	s_xor_b32 exec_lo, exec_lo, s13
	s_cbranch_execnz .LBB2_1611
.LBB2_1300:                             ;   in Loop: Header=BB2_1290 Depth=2
	s_or_b32 exec_lo, exec_lo, s13
	s_and_saveexec_b32 s13, s12
	s_cbranch_execz .LBB2_1302
.LBB2_1301:                             ;   in Loop: Header=BB2_1290 Depth=2
	v_and_b32_e32 v103, 7, v10
	v_bfe_u32 v114, v10, 3, 4
	v_lshlrev_b32_e32 v115, 24, v10
	v_ffbh_u32_e32 v112, v103
	v_cmp_eq_u32_e64 s12, 0, v114
	v_min_u32_e32 v112, 32, v112
	v_subrev_nc_u32_e32 v113, 28, v112
	v_sub_nc_u32_e32 v112, 29, v112
	v_lshlrev_b32_e32 v113, v113, v10
	v_cndmask_b32_e64 v112, v114, v112, s12
	v_and_b32_e32 v113, 7, v113
	v_lshl_add_u32 v112, v112, 23, 0x3b800000
	v_cndmask_b32_e64 v103, v103, v113, s12
	v_and_b32_e32 v113, 0x80000000, v115
	v_lshlrev_b32_e32 v103, 20, v103
	v_or3_b32 v103, v113, v112, v103
.LBB2_1302:                             ;   in Loop: Header=BB2_1290 Depth=2
	s_or_b32 exec_lo, exec_lo, s13
	v_add_f32_e32 v103, v102, v103
	v_and_b32_e32 v102, 0x7f800000, v103
	v_cmp_ne_u32_e64 s12, 0x7f800000, v102
	v_mov_b32_e32 v102, 0x80
	s_and_saveexec_b32 s27, s12
	s_cbranch_execz .LBB2_1310
; %bb.1303:                             ;   in Loop: Header=BB2_1290 Depth=2
	v_mov_b32_e32 v102, 0
	s_mov_b32 s28, exec_lo
	v_cmpx_ne_u32_e32 0, v103
	s_cbranch_execz .LBB2_1309
; %bb.1304:                             ;   in Loop: Header=BB2_1290 Depth=2
	v_bfe_u32 v102, v103, 23, 8
	v_and_b32_e32 v112, 0x7fffff, v103
	v_sub_nc_u32_e32 v113, 0x78, v102
	v_cmp_gt_u32_e64 s12, 0x79, v102
	v_or_b32_e32 v114, 0x800000, v112
	v_cndmask_b32_e64 v113, 0, v113, s12
	v_cmp_eq_u32_e64 s12, 0, v102
	v_add_nc_u32_e32 v102, 0xffffff89, v102
	v_cndmask_b32_e64 v113, v113, 0x77, s12
	v_cndmask_b32_e64 v112, v114, v112, s12
	;; [unrolled: 1-line block ×3, first 2 shown]
	v_lshl_add_u32 v114, 0x100000, v113, -1
	v_lshrrev_b32_e32 v115, v113, v112
	v_lshlrev_b32_e64 v117, v113, 0x80000
	v_add_nc_u32_e32 v113, v113, v102
	v_and_b32_e32 v112, v114, v112
	v_bfe_u32 v116, v115, 20, 1
	v_cmp_eq_u32_e64 s13, v112, v117
	v_add_nc_u32_e32 v114, -1, v116
	v_cndmask_b32_e64 v112, 0, v114, s13
	v_lshrrev_b32_e32 v114, 23, v115
	s_mov_b32 s13, exec_lo
	v_add_nc_u32_e32 v112, v112, v115
	v_xor_b32_e32 v114, 1, v114
	v_and_b32_e32 v102, 0xfffff, v112
	v_add_nc_u32_e32 v112, v102, v115
                                        ; implicit-def: $vgpr102
	v_cmpx_ne_u32_e64 v113, v114
	s_xor_b32 s13, exec_lo, s13
; %bb.1305:                             ;   in Loop: Header=BB2_1290 Depth=2
	v_cmp_lt_u32_e64 s12, 0xffffff, v112
	v_sub_nc_u32_e32 v102, v113, v114
	v_cndmask_b32_e64 v113, 0, 1, s12
	v_add_co_ci_u32_e64 v102, null, 0, v102, s12
	v_lshrrev_b32_e32 v112, v113, v112
; %bb.1306:                             ;   in Loop: Header=BB2_1290 Depth=2
	s_andn2_saveexec_b32 s12, s13
; %bb.1307:                             ;   in Loop: Header=BB2_1290 Depth=2
	v_bfe_u32 v102, v112, 23, 1
; %bb.1308:                             ;   in Loop: Header=BB2_1290 Depth=2
	s_or_b32 exec_lo, exec_lo, s12
	v_lshrrev_b32_e32 v112, 20, v112
	v_min_i32_e32 v113, 15, v102
	v_cmp_gt_i32_e64 s12, 16, v102
	v_and_b32_sdwa v103, v103, v86 dst_sel:DWORD dst_unused:UNUSED_PAD src0_sel:BYTE_3 src1_sel:DWORD
	v_lshlrev_b32_e32 v113, 3, v113
	v_cndmask_b32_e64 v112, 7, v112, s12
	v_and_b32_e32 v113, 0xf8, v113
	v_and_b32_e32 v114, 7, v112
	v_or_b32_e32 v102, v102, v112
	v_or3_b32 v103, v113, v103, v114
	v_cmp_ne_u32_e64 s12, 0, v102
	v_cndmask_b32_e64 v102, 0, v103, s12
.LBB2_1309:                             ;   in Loop: Header=BB2_1290 Depth=2
	s_or_b32 exec_lo, exec_lo, s28
.LBB2_1310:                             ;   in Loop: Header=BB2_1290 Depth=2
	s_or_b32 exec_lo, exec_lo, s27
	v_cmp_gt_i16_sdwa s13, v14, v85 src0_sel:BYTE_1 src1_sel:DWORD
	s_mov_b32 s12, 0
	s_and_saveexec_b32 s27, s13
	s_xor_b32 s13, exec_lo, s27
	s_cbranch_execz .LBB2_1612
; %bb.1311:                             ;   in Loop: Header=BB2_1290 Depth=2
	v_cmp_eq_u16_sdwa s28, v14, v86 src0_sel:BYTE_1 src1_sel:DWORD
	s_mov_b32 s12, -1
	s_and_saveexec_b32 s27, s28
; %bb.1312:                             ;   in Loop: Header=BB2_1290 Depth=2
	s_xor_b32 s12, exec_lo, -1
; %bb.1313:                             ;   in Loop: Header=BB2_1290 Depth=2
	s_or_b32 exec_lo, exec_lo, s27
	s_and_b32 s12, s12, exec_lo
	s_or_saveexec_b32 s13, s13
	v_mov_b32_e32 v103, 0x7f800001
	s_xor_b32 exec_lo, exec_lo, s13
	s_cbranch_execnz .LBB2_1613
.LBB2_1314:                             ;   in Loop: Header=BB2_1290 Depth=2
	s_or_b32 exec_lo, exec_lo, s13
	s_and_saveexec_b32 s13, s12
	s_cbranch_execz .LBB2_1316
.LBB2_1315:                             ;   in Loop: Header=BB2_1290 Depth=2
	v_and_b32_sdwa v103, v87, v14 dst_sel:DWORD dst_unused:UNUSED_PAD src0_sel:DWORD src1_sel:BYTE_1
	v_and_b32_e32 v112, 7, v103
	v_bfe_u32 v115, v103, 3, 4
	v_ffbh_u32_e32 v113, v112
	v_cmp_eq_u32_e64 s12, 0, v115
	v_min_u32_e32 v113, 32, v113
	v_subrev_nc_u32_e32 v114, 28, v113
	v_sub_nc_u32_e32 v113, 29, v113
	v_lshlrev_b32_e32 v103, v114, v103
	v_lshlrev_b32_sdwa v114, v96, v14 dst_sel:DWORD dst_unused:UNUSED_PAD src0_sel:DWORD src1_sel:BYTE_1
	v_cndmask_b32_e64 v113, v115, v113, s12
	v_and_b32_e32 v103, 7, v103
	v_lshl_add_u32 v113, v113, 23, 0x3b800000
	v_cndmask_b32_e64 v103, v112, v103, s12
	v_and_b32_e32 v112, 0x80000000, v114
	v_lshlrev_b32_e32 v103, 20, v103
	v_or3_b32 v103, v112, v113, v103
.LBB2_1316:                             ;   in Loop: Header=BB2_1290 Depth=2
	s_or_b32 exec_lo, exec_lo, s13
	v_cmp_gt_i16_sdwa s13, v10, v85 src0_sel:BYTE_1 src1_sel:DWORD
	s_mov_b32 s12, 0
	s_and_saveexec_b32 s27, s13
	s_xor_b32 s13, exec_lo, s27
	s_cbranch_execz .LBB2_1614
; %bb.1317:                             ;   in Loop: Header=BB2_1290 Depth=2
	v_cmp_eq_u16_sdwa s28, v10, v86 src0_sel:BYTE_1 src1_sel:DWORD
	s_mov_b32 s12, -1
	s_and_saveexec_b32 s27, s28
; %bb.1318:                             ;   in Loop: Header=BB2_1290 Depth=2
	s_xor_b32 s12, exec_lo, -1
; %bb.1319:                             ;   in Loop: Header=BB2_1290 Depth=2
	s_or_b32 exec_lo, exec_lo, s27
	s_and_b32 s12, s12, exec_lo
	s_or_saveexec_b32 s13, s13
	v_mov_b32_e32 v112, 0x7f800001
	s_xor_b32 exec_lo, exec_lo, s13
	s_cbranch_execnz .LBB2_1615
.LBB2_1320:                             ;   in Loop: Header=BB2_1290 Depth=2
	s_or_b32 exec_lo, exec_lo, s13
	s_and_saveexec_b32 s13, s12
	s_cbranch_execz .LBB2_1322
.LBB2_1321:                             ;   in Loop: Header=BB2_1290 Depth=2
	v_and_b32_sdwa v112, v87, v10 dst_sel:DWORD dst_unused:UNUSED_PAD src0_sel:DWORD src1_sel:BYTE_1
	v_and_b32_e32 v113, 7, v112
	v_bfe_u32 v116, v112, 3, 4
	v_ffbh_u32_e32 v114, v113
	v_cmp_eq_u32_e64 s12, 0, v116
	v_min_u32_e32 v114, 32, v114
	v_subrev_nc_u32_e32 v115, 28, v114
	v_sub_nc_u32_e32 v114, 29, v114
	v_lshlrev_b32_e32 v112, v115, v112
	v_lshlrev_b32_sdwa v115, v96, v10 dst_sel:DWORD dst_unused:UNUSED_PAD src0_sel:DWORD src1_sel:BYTE_1
	v_cndmask_b32_e64 v114, v116, v114, s12
	v_and_b32_e32 v112, 7, v112
	v_lshl_add_u32 v114, v114, 23, 0x3b800000
	v_cndmask_b32_e64 v112, v113, v112, s12
	v_and_b32_e32 v113, 0x80000000, v115
	v_lshlrev_b32_e32 v112, 20, v112
	v_or3_b32 v112, v113, v114, v112
.LBB2_1322:                             ;   in Loop: Header=BB2_1290 Depth=2
	s_or_b32 exec_lo, exec_lo, s13
	v_add_f32_e32 v112, v103, v112
	v_and_b32_e32 v103, 0x7f800000, v112
	v_cmp_ne_u32_e64 s12, 0x7f800000, v103
	v_mov_b32_e32 v103, 0x8000
	s_and_saveexec_b32 s27, s12
	s_cbranch_execz .LBB2_1330
; %bb.1323:                             ;   in Loop: Header=BB2_1290 Depth=2
	v_mov_b32_e32 v103, 0
	s_mov_b32 s28, exec_lo
	v_cmpx_ne_u32_e32 0, v112
	s_cbranch_execz .LBB2_1329
; %bb.1324:                             ;   in Loop: Header=BB2_1290 Depth=2
	v_bfe_u32 v103, v112, 23, 8
	v_and_b32_e32 v113, 0x7fffff, v112
	v_sub_nc_u32_e32 v114, 0x78, v103
	v_cmp_gt_u32_e64 s12, 0x79, v103
	v_or_b32_e32 v115, 0x800000, v113
	v_cndmask_b32_e64 v114, 0, v114, s12
	v_cmp_eq_u32_e64 s12, 0, v103
	v_add_nc_u32_e32 v103, 0xffffff89, v103
	v_cndmask_b32_e64 v114, v114, 0x77, s12
	v_cndmask_b32_e64 v113, v115, v113, s12
	;; [unrolled: 1-line block ×3, first 2 shown]
	v_lshl_add_u32 v115, 0x100000, v114, -1
	v_lshrrev_b32_e32 v116, v114, v113
	v_lshlrev_b32_e64 v118, v114, 0x80000
	v_add_nc_u32_e32 v114, v114, v103
	v_and_b32_e32 v113, v115, v113
	v_bfe_u32 v117, v116, 20, 1
	v_cmp_eq_u32_e64 s13, v113, v118
	v_add_nc_u32_e32 v115, -1, v117
	v_cndmask_b32_e64 v113, 0, v115, s13
	v_lshrrev_b32_e32 v115, 23, v116
	s_mov_b32 s13, exec_lo
	v_add_nc_u32_e32 v113, v113, v116
	v_xor_b32_e32 v115, 1, v115
	v_and_b32_e32 v103, 0xfffff, v113
	v_add_nc_u32_e32 v113, v103, v116
                                        ; implicit-def: $vgpr103
	v_cmpx_ne_u32_e64 v114, v115
	s_xor_b32 s13, exec_lo, s13
; %bb.1325:                             ;   in Loop: Header=BB2_1290 Depth=2
	v_cmp_lt_u32_e64 s12, 0xffffff, v113
	v_sub_nc_u32_e32 v103, v114, v115
	v_cndmask_b32_e64 v114, 0, 1, s12
	v_add_co_ci_u32_e64 v103, null, 0, v103, s12
	v_lshrrev_b32_e32 v113, v114, v113
; %bb.1326:                             ;   in Loop: Header=BB2_1290 Depth=2
	s_andn2_saveexec_b32 s12, s13
; %bb.1327:                             ;   in Loop: Header=BB2_1290 Depth=2
	v_bfe_u32 v103, v113, 23, 1
; %bb.1328:                             ;   in Loop: Header=BB2_1290 Depth=2
	s_or_b32 exec_lo, exec_lo, s12
	v_lshrrev_b32_e32 v113, 20, v113
	v_min_i32_e32 v114, 15, v103
	v_cmp_gt_i32_e64 s12, 16, v103
	v_and_b32_sdwa v112, v112, v86 dst_sel:DWORD dst_unused:UNUSED_PAD src0_sel:BYTE_3 src1_sel:DWORD
	v_lshlrev_b32_e32 v114, 3, v114
	v_cndmask_b32_e64 v113, 7, v113, s12
	v_and_b32_e32 v114, 0xf8, v114
	v_and_b32_e32 v115, 7, v113
	v_or_b32_e32 v103, v103, v113
	v_or3_b32 v112, v112, v114, v115
	v_cmp_ne_u32_e64 s12, 0, v103
	v_lshlrev_b32_e32 v112, 8, v112
	v_cndmask_b32_e64 v103, 0, v112, s12
.LBB2_1329:                             ;   in Loop: Header=BB2_1290 Depth=2
	s_or_b32 exec_lo, exec_lo, s28
.LBB2_1330:                             ;   in Loop: Header=BB2_1290 Depth=2
	s_or_b32 exec_lo, exec_lo, s27
	v_and_b32_sdwa v113, v14, v97 dst_sel:DWORD dst_unused:UNUSED_PAD src0_sel:WORD_1 src1_sel:DWORD
	s_mov_b32 s13, 0
	s_mov_b32 s27, exec_lo
	v_cmpx_lt_i16_e32 0x7f, v113
	s_xor_b32 s27, exec_lo, s27
	s_cbranch_execz .LBB2_1616
; %bb.1331:                             ;   in Loop: Header=BB2_1290 Depth=2
	s_mov_b32 s13, -1
	s_mov_b32 s28, exec_lo
	v_cmpx_eq_u16_e32 0x80, v113
; %bb.1332:                             ;   in Loop: Header=BB2_1290 Depth=2
	s_xor_b32 s13, exec_lo, -1
; %bb.1333:                             ;   in Loop: Header=BB2_1290 Depth=2
	s_or_b32 exec_lo, exec_lo, s28
	s_and_b32 s13, s13, exec_lo
                                        ; implicit-def: $vgpr113
	s_or_saveexec_b32 s27, s27
	v_mov_b32_e32 v112, 0x7f800001
	s_xor_b32 exec_lo, exec_lo, s27
	s_cbranch_execnz .LBB2_1617
.LBB2_1334:                             ;   in Loop: Header=BB2_1290 Depth=2
	s_or_b32 exec_lo, exec_lo, s27
	s_and_saveexec_b32 s27, s13
	s_cbranch_execz .LBB2_1336
.LBB2_1335:                             ;   in Loop: Header=BB2_1290 Depth=2
	v_bfe_u32 v112, v14, 16, 3
	v_bfe_u32 v115, v14, 19, 4
	v_lshlrev_b32_e32 v116, 8, v14
	v_ffbh_u32_e32 v113, v112
	v_cmp_eq_u32_e64 s12, 0, v115
	v_min_u32_e32 v113, 32, v113
	v_subrev_nc_u32_e32 v114, 28, v113
	v_sub_nc_u32_e32 v113, 29, v113
	v_lshlrev_b32_sdwa v114, v114, v14 dst_sel:DWORD dst_unused:UNUSED_PAD src0_sel:DWORD src1_sel:WORD_1
	v_cndmask_b32_e64 v113, v115, v113, s12
	v_and_b32_e32 v114, 7, v114
	v_lshl_add_u32 v113, v113, 23, 0x3b800000
	v_cndmask_b32_e64 v112, v112, v114, s12
	v_and_b32_e32 v114, 0x80000000, v116
	v_lshlrev_b32_e32 v112, 20, v112
	v_or3_b32 v112, v114, v113, v112
.LBB2_1336:                             ;   in Loop: Header=BB2_1290 Depth=2
	s_or_b32 exec_lo, exec_lo, s27
	v_and_b32_sdwa v114, v10, v97 dst_sel:DWORD dst_unused:UNUSED_PAD src0_sel:WORD_1 src1_sel:DWORD
	s_mov_b32 s13, 0
	s_mov_b32 s27, exec_lo
	v_cmpx_lt_i16_e32 0x7f, v114
	s_xor_b32 s27, exec_lo, s27
	s_cbranch_execz .LBB2_1618
; %bb.1337:                             ;   in Loop: Header=BB2_1290 Depth=2
	s_mov_b32 s13, -1
	s_mov_b32 s28, exec_lo
	v_cmpx_eq_u16_e32 0x80, v114
; %bb.1338:                             ;   in Loop: Header=BB2_1290 Depth=2
	s_xor_b32 s13, exec_lo, -1
; %bb.1339:                             ;   in Loop: Header=BB2_1290 Depth=2
	s_or_b32 exec_lo, exec_lo, s28
	s_and_b32 s13, s13, exec_lo
                                        ; implicit-def: $vgpr114
	s_or_saveexec_b32 s27, s27
	v_mov_b32_e32 v113, 0x7f800001
	s_xor_b32 exec_lo, exec_lo, s27
	s_cbranch_execnz .LBB2_1619
.LBB2_1340:                             ;   in Loop: Header=BB2_1290 Depth=2
	s_or_b32 exec_lo, exec_lo, s27
	s_and_saveexec_b32 s27, s13
	s_cbranch_execz .LBB2_1342
.LBB2_1341:                             ;   in Loop: Header=BB2_1290 Depth=2
	v_and_b32_sdwa v113, v10, v98 dst_sel:DWORD dst_unused:UNUSED_PAD src0_sel:WORD_1 src1_sel:DWORD
	v_bfe_u32 v116, v10, 19, 4
	v_lshlrev_b32_sdwa v117, v96, v10 dst_sel:DWORD dst_unused:UNUSED_PAD src0_sel:DWORD src1_sel:WORD_1
	v_ffbh_u32_e32 v114, v113
	v_cmp_eq_u32_e64 s12, 0, v116
	v_min_u32_e32 v114, 32, v114
	v_subrev_nc_u32_e32 v115, 28, v114
	v_sub_nc_u32_e32 v114, 29, v114
	v_lshlrev_b32_sdwa v115, v115, v10 dst_sel:DWORD dst_unused:UNUSED_PAD src0_sel:DWORD src1_sel:WORD_1
	v_cndmask_b32_e64 v114, v116, v114, s12
	v_and_b32_e32 v115, 7, v115
	v_lshl_add_u32 v114, v114, 23, 0x3b800000
	v_cndmask_b32_e64 v113, v113, v115, s12
	v_and_b32_e32 v115, 0x80000000, v117
	v_lshlrev_b32_e32 v113, 20, v113
	v_or3_b32 v113, v115, v114, v113
.LBB2_1342:                             ;   in Loop: Header=BB2_1290 Depth=2
	s_or_b32 exec_lo, exec_lo, s27
	v_add_f32_e32 v113, v112, v113
	v_and_b32_e32 v112, 0x7f800000, v113
	v_cmp_ne_u32_e64 s12, 0x7f800000, v112
	v_mov_b32_e32 v112, 0x80
	s_and_saveexec_b32 s27, s12
	s_cbranch_execz .LBB2_1350
; %bb.1343:                             ;   in Loop: Header=BB2_1290 Depth=2
	v_mov_b32_e32 v112, 0
	s_mov_b32 s28, exec_lo
	v_cmpx_ne_u32_e32 0, v113
	s_cbranch_execz .LBB2_1349
; %bb.1344:                             ;   in Loop: Header=BB2_1290 Depth=2
	v_bfe_u32 v112, v113, 23, 8
	v_and_b32_e32 v114, 0x7fffff, v113
	v_sub_nc_u32_e32 v115, 0x78, v112
	v_cmp_gt_u32_e64 s12, 0x79, v112
	v_or_b32_e32 v116, 0x800000, v114
	v_cndmask_b32_e64 v115, 0, v115, s12
	v_cmp_eq_u32_e64 s12, 0, v112
	v_add_nc_u32_e32 v112, 0xffffff89, v112
	v_cndmask_b32_e64 v115, v115, 0x77, s12
	v_cndmask_b32_e64 v114, v116, v114, s12
	;; [unrolled: 1-line block ×3, first 2 shown]
	v_lshl_add_u32 v116, 0x100000, v115, -1
	v_lshrrev_b32_e32 v117, v115, v114
	v_lshlrev_b32_e64 v119, v115, 0x80000
	v_add_nc_u32_e32 v115, v115, v112
	v_and_b32_e32 v114, v116, v114
	v_bfe_u32 v118, v117, 20, 1
	v_cmp_eq_u32_e64 s13, v114, v119
	v_add_nc_u32_e32 v116, -1, v118
	v_cndmask_b32_e64 v114, 0, v116, s13
	v_lshrrev_b32_e32 v116, 23, v117
	s_mov_b32 s13, exec_lo
	v_add_nc_u32_e32 v114, v114, v117
	v_xor_b32_e32 v116, 1, v116
	v_and_b32_e32 v112, 0xfffff, v114
	v_add_nc_u32_e32 v114, v112, v117
                                        ; implicit-def: $vgpr112
	v_cmpx_ne_u32_e64 v115, v116
	s_xor_b32 s13, exec_lo, s13
; %bb.1345:                             ;   in Loop: Header=BB2_1290 Depth=2
	v_cmp_lt_u32_e64 s12, 0xffffff, v114
	v_sub_nc_u32_e32 v112, v115, v116
	v_cndmask_b32_e64 v115, 0, 1, s12
	v_add_co_ci_u32_e64 v112, null, 0, v112, s12
	v_lshrrev_b32_e32 v114, v115, v114
; %bb.1346:                             ;   in Loop: Header=BB2_1290 Depth=2
	s_andn2_saveexec_b32 s12, s13
; %bb.1347:                             ;   in Loop: Header=BB2_1290 Depth=2
	v_bfe_u32 v112, v114, 23, 1
; %bb.1348:                             ;   in Loop: Header=BB2_1290 Depth=2
	s_or_b32 exec_lo, exec_lo, s12
	v_lshrrev_b32_e32 v114, 20, v114
	v_min_i32_e32 v115, 15, v112
	v_cmp_gt_i32_e64 s12, 16, v112
	v_and_b32_sdwa v113, v113, v86 dst_sel:DWORD dst_unused:UNUSED_PAD src0_sel:BYTE_3 src1_sel:DWORD
	v_lshlrev_b32_e32 v115, 3, v115
	v_cndmask_b32_e64 v114, 7, v114, s12
	v_and_b32_e32 v115, 0xf8, v115
	v_and_b32_e32 v116, 7, v114
	v_or_b32_e32 v112, v112, v114
	v_or3_b32 v113, v115, v113, v116
	v_cmp_ne_u32_e64 s12, 0, v112
	v_cndmask_b32_e64 v112, 0, v113, s12
.LBB2_1349:                             ;   in Loop: Header=BB2_1290 Depth=2
	s_or_b32 exec_lo, exec_lo, s28
.LBB2_1350:                             ;   in Loop: Header=BB2_1290 Depth=2
	s_or_b32 exec_lo, exec_lo, s27
	v_cmp_gt_i16_sdwa s13, v14, v85 src0_sel:BYTE_3 src1_sel:DWORD
	s_mov_b32 s12, 0
	s_and_saveexec_b32 s27, s13
	s_xor_b32 s13, exec_lo, s27
	s_cbranch_execz .LBB2_1620
; %bb.1351:                             ;   in Loop: Header=BB2_1290 Depth=2
	v_cmp_eq_u16_sdwa s28, v14, v86 src0_sel:BYTE_3 src1_sel:DWORD
	s_mov_b32 s12, -1
	s_and_saveexec_b32 s27, s28
; %bb.1352:                             ;   in Loop: Header=BB2_1290 Depth=2
	s_xor_b32 s12, exec_lo, -1
; %bb.1353:                             ;   in Loop: Header=BB2_1290 Depth=2
	s_or_b32 exec_lo, exec_lo, s27
	s_and_b32 s12, s12, exec_lo
	s_or_saveexec_b32 s13, s13
	v_mov_b32_e32 v113, 0x7f800001
	s_xor_b32 exec_lo, exec_lo, s13
	s_cbranch_execnz .LBB2_1621
.LBB2_1354:                             ;   in Loop: Header=BB2_1290 Depth=2
	s_or_b32 exec_lo, exec_lo, s13
	s_and_saveexec_b32 s13, s12
	s_cbranch_execz .LBB2_1356
.LBB2_1355:                             ;   in Loop: Header=BB2_1290 Depth=2
	v_bfe_u32 v113, v14, 24, 3
	v_bfe_u32 v116, v14, 27, 4
	v_ffbh_u32_e32 v114, v113
	v_cmp_eq_u32_e64 s12, 0, v116
	v_min_u32_e32 v114, 32, v114
	v_subrev_nc_u32_e32 v115, 28, v114
	v_sub_nc_u32_e32 v114, 29, v114
	v_lshlrev_b32_sdwa v115, v115, v14 dst_sel:DWORD dst_unused:UNUSED_PAD src0_sel:DWORD src1_sel:BYTE_3
	v_cndmask_b32_e64 v114, v116, v114, s12
	v_and_b32_e32 v14, 0x80000000, v14
	v_and_b32_e32 v115, 7, v115
	v_lshl_add_u32 v114, v114, 23, 0x3b800000
	v_cndmask_b32_e64 v113, v113, v115, s12
	v_lshlrev_b32_e32 v113, 20, v113
	v_or3_b32 v113, v14, v114, v113
.LBB2_1356:                             ;   in Loop: Header=BB2_1290 Depth=2
	s_or_b32 exec_lo, exec_lo, s13
	v_cmp_gt_i16_sdwa s13, v10, v85 src0_sel:BYTE_3 src1_sel:DWORD
	s_mov_b32 s12, 0
	s_and_saveexec_b32 s27, s13
	s_xor_b32 s13, exec_lo, s27
	s_cbranch_execz .LBB2_1622
; %bb.1357:                             ;   in Loop: Header=BB2_1290 Depth=2
	v_cmp_eq_u16_sdwa s28, v10, v86 src0_sel:BYTE_3 src1_sel:DWORD
	s_mov_b32 s12, -1
	s_and_saveexec_b32 s27, s28
; %bb.1358:                             ;   in Loop: Header=BB2_1290 Depth=2
	s_xor_b32 s12, exec_lo, -1
; %bb.1359:                             ;   in Loop: Header=BB2_1290 Depth=2
	s_or_b32 exec_lo, exec_lo, s27
	s_and_b32 s12, s12, exec_lo
	s_or_saveexec_b32 s13, s13
	v_mov_b32_e32 v14, 0x7f800001
	s_xor_b32 exec_lo, exec_lo, s13
	s_cbranch_execnz .LBB2_1623
.LBB2_1360:                             ;   in Loop: Header=BB2_1290 Depth=2
	s_or_b32 exec_lo, exec_lo, s13
	s_and_saveexec_b32 s13, s12
	s_cbranch_execz .LBB2_1362
.LBB2_1361:                             ;   in Loop: Header=BB2_1290 Depth=2
	v_and_b32_sdwa v14, v10, v98 dst_sel:DWORD dst_unused:UNUSED_PAD src0_sel:BYTE_3 src1_sel:DWORD
	v_bfe_u32 v116, v10, 27, 4
	v_ffbh_u32_e32 v114, v14
	v_cmp_eq_u32_e64 s12, 0, v116
	v_min_u32_e32 v114, 32, v114
	v_subrev_nc_u32_e32 v115, 28, v114
	v_sub_nc_u32_e32 v114, 29, v114
	v_lshlrev_b32_sdwa v115, v115, v10 dst_sel:DWORD dst_unused:UNUSED_PAD src0_sel:DWORD src1_sel:BYTE_3
	v_cndmask_b32_e64 v114, v116, v114, s12
	v_and_b32_e32 v10, 0x80000000, v10
	v_and_b32_e32 v115, 7, v115
	v_lshl_add_u32 v114, v114, 23, 0x3b800000
	v_cndmask_b32_e64 v14, v14, v115, s12
	v_lshlrev_b32_e32 v14, 20, v14
	v_or3_b32 v14, v10, v114, v14
.LBB2_1362:                             ;   in Loop: Header=BB2_1290 Depth=2
	s_or_b32 exec_lo, exec_lo, s13
	v_add_f32_e32 v14, v113, v14
	v_and_b32_e32 v10, 0x7f800000, v14
	v_cmp_ne_u32_e64 s12, 0x7f800000, v10
	v_mov_b32_e32 v10, 0x8000
	s_and_saveexec_b32 s27, s12
	s_cbranch_execz .LBB2_1370
; %bb.1363:                             ;   in Loop: Header=BB2_1290 Depth=2
	v_mov_b32_e32 v10, 0
	s_mov_b32 s28, exec_lo
	v_cmpx_ne_u32_e32 0, v14
	s_cbranch_execz .LBB2_1369
; %bb.1364:                             ;   in Loop: Header=BB2_1290 Depth=2
	v_bfe_u32 v10, v14, 23, 8
	v_and_b32_e32 v113, 0x7fffff, v14
	v_sub_nc_u32_e32 v114, 0x78, v10
	v_cmp_gt_u32_e64 s12, 0x79, v10
	v_or_b32_e32 v115, 0x800000, v113
	v_cndmask_b32_e64 v114, 0, v114, s12
	v_cmp_eq_u32_e64 s12, 0, v10
	v_add_nc_u32_e32 v10, 0xffffff89, v10
	v_cndmask_b32_e64 v114, v114, 0x77, s12
	v_cndmask_b32_e64 v113, v115, v113, s12
	;; [unrolled: 1-line block ×3, first 2 shown]
	v_lshl_add_u32 v115, 0x100000, v114, -1
	v_lshrrev_b32_e32 v116, v114, v113
	v_lshlrev_b32_e64 v118, v114, 0x80000
	v_add_nc_u32_e32 v114, v114, v10
	v_and_b32_e32 v113, v115, v113
	v_bfe_u32 v117, v116, 20, 1
	v_cmp_eq_u32_e64 s13, v113, v118
	v_add_nc_u32_e32 v115, -1, v117
	v_cndmask_b32_e64 v113, 0, v115, s13
	v_lshrrev_b32_e32 v115, 23, v116
	s_mov_b32 s13, exec_lo
	v_add_nc_u32_e32 v113, v113, v116
	v_xor_b32_e32 v115, 1, v115
	v_and_b32_e32 v10, 0xfffff, v113
	v_add_nc_u32_e32 v113, v10, v116
                                        ; implicit-def: $vgpr10
	v_cmpx_ne_u32_e64 v114, v115
	s_xor_b32 s13, exec_lo, s13
; %bb.1365:                             ;   in Loop: Header=BB2_1290 Depth=2
	v_cmp_lt_u32_e64 s12, 0xffffff, v113
	v_sub_nc_u32_e32 v10, v114, v115
	v_cndmask_b32_e64 v114, 0, 1, s12
	v_add_co_ci_u32_e64 v10, null, 0, v10, s12
	v_lshrrev_b32_e32 v113, v114, v113
; %bb.1366:                             ;   in Loop: Header=BB2_1290 Depth=2
	s_andn2_saveexec_b32 s12, s13
; %bb.1367:                             ;   in Loop: Header=BB2_1290 Depth=2
	v_bfe_u32 v10, v113, 23, 1
; %bb.1368:                             ;   in Loop: Header=BB2_1290 Depth=2
	s_or_b32 exec_lo, exec_lo, s12
	v_lshrrev_b32_e32 v113, 20, v113
	v_min_i32_e32 v114, 15, v10
	v_cmp_gt_i32_e64 s12, 16, v10
	v_and_b32_sdwa v14, v14, v86 dst_sel:DWORD dst_unused:UNUSED_PAD src0_sel:BYTE_3 src1_sel:DWORD
	v_lshlrev_b32_e32 v114, 3, v114
	v_cndmask_b32_e64 v113, 7, v113, s12
	v_and_b32_e32 v114, 0xf8, v114
	v_and_b32_e32 v115, 7, v113
	v_or_b32_e32 v10, v10, v113
	v_or3_b32 v14, v14, v114, v115
	v_cmp_ne_u32_e64 s12, 0, v10
	v_lshlrev_b32_e32 v14, 8, v14
	v_cndmask_b32_e64 v10, 0, v14, s12
.LBB2_1369:                             ;   in Loop: Header=BB2_1290 Depth=2
	s_or_b32 exec_lo, exec_lo, s28
.LBB2_1370:                             ;   in Loop: Header=BB2_1290 Depth=2
	s_or_b32 exec_lo, exec_lo, s27
	v_cmp_gt_i16_sdwa s13, v15, v85 src0_sel:BYTE_0 src1_sel:DWORD
	s_mov_b32 s12, 0
	s_and_saveexec_b32 s27, s13
	s_xor_b32 s13, exec_lo, s27
	s_cbranch_execz .LBB2_1624
; %bb.1371:                             ;   in Loop: Header=BB2_1290 Depth=2
	v_cmp_eq_u16_sdwa s28, v15, v86 src0_sel:BYTE_0 src1_sel:DWORD
	s_mov_b32 s12, -1
	s_and_saveexec_b32 s27, s28
; %bb.1372:                             ;   in Loop: Header=BB2_1290 Depth=2
	s_xor_b32 s12, exec_lo, -1
; %bb.1373:                             ;   in Loop: Header=BB2_1290 Depth=2
	s_or_b32 exec_lo, exec_lo, s27
	s_and_b32 s12, s12, exec_lo
	s_or_saveexec_b32 s13, s13
	v_mov_b32_e32 v14, 0x7f800001
	s_xor_b32 exec_lo, exec_lo, s13
	s_cbranch_execnz .LBB2_1625
.LBB2_1374:                             ;   in Loop: Header=BB2_1290 Depth=2
	s_or_b32 exec_lo, exec_lo, s13
	s_and_saveexec_b32 s13, s12
	s_cbranch_execz .LBB2_1376
.LBB2_1375:                             ;   in Loop: Header=BB2_1290 Depth=2
	v_and_b32_e32 v14, 7, v15
	v_bfe_u32 v115, v15, 3, 4
	v_lshlrev_b32_e32 v116, 24, v15
	v_ffbh_u32_e32 v113, v14
	v_cmp_eq_u32_e64 s12, 0, v115
	v_min_u32_e32 v113, 32, v113
	v_subrev_nc_u32_e32 v114, 28, v113
	v_sub_nc_u32_e32 v113, 29, v113
	v_lshlrev_b32_e32 v114, v114, v15
	v_cndmask_b32_e64 v113, v115, v113, s12
	v_and_b32_e32 v114, 7, v114
	v_lshl_add_u32 v113, v113, 23, 0x3b800000
	v_cndmask_b32_e64 v14, v14, v114, s12
	v_and_b32_e32 v114, 0x80000000, v116
	v_lshlrev_b32_e32 v14, 20, v14
	v_or3_b32 v14, v114, v113, v14
.LBB2_1376:                             ;   in Loop: Header=BB2_1290 Depth=2
	s_or_b32 exec_lo, exec_lo, s13
	v_cmp_gt_i16_sdwa s13, v11, v85 src0_sel:BYTE_0 src1_sel:DWORD
	s_mov_b32 s12, 0
	s_and_saveexec_b32 s27, s13
	s_xor_b32 s13, exec_lo, s27
	s_cbranch_execz .LBB2_1626
; %bb.1377:                             ;   in Loop: Header=BB2_1290 Depth=2
	v_cmp_eq_u16_sdwa s28, v11, v86 src0_sel:BYTE_0 src1_sel:DWORD
	s_mov_b32 s12, -1
	s_and_saveexec_b32 s27, s28
; %bb.1378:                             ;   in Loop: Header=BB2_1290 Depth=2
	s_xor_b32 s12, exec_lo, -1
; %bb.1379:                             ;   in Loop: Header=BB2_1290 Depth=2
	s_or_b32 exec_lo, exec_lo, s27
	s_and_b32 s12, s12, exec_lo
	s_or_saveexec_b32 s13, s13
	v_mov_b32_e32 v113, 0x7f800001
	s_xor_b32 exec_lo, exec_lo, s13
	s_cbranch_execnz .LBB2_1627
.LBB2_1380:                             ;   in Loop: Header=BB2_1290 Depth=2
	s_or_b32 exec_lo, exec_lo, s13
	s_and_saveexec_b32 s13, s12
	s_cbranch_execz .LBB2_1382
.LBB2_1381:                             ;   in Loop: Header=BB2_1290 Depth=2
	v_and_b32_e32 v113, 7, v11
	v_bfe_u32 v116, v11, 3, 4
	v_lshlrev_b32_e32 v117, 24, v11
	v_ffbh_u32_e32 v114, v113
	v_cmp_eq_u32_e64 s12, 0, v116
	v_min_u32_e32 v114, 32, v114
	v_subrev_nc_u32_e32 v115, 28, v114
	v_sub_nc_u32_e32 v114, 29, v114
	v_lshlrev_b32_e32 v115, v115, v11
	v_cndmask_b32_e64 v114, v116, v114, s12
	v_and_b32_e32 v115, 7, v115
	v_lshl_add_u32 v114, v114, 23, 0x3b800000
	v_cndmask_b32_e64 v113, v113, v115, s12
	v_and_b32_e32 v115, 0x80000000, v117
	v_lshlrev_b32_e32 v113, 20, v113
	v_or3_b32 v113, v115, v114, v113
.LBB2_1382:                             ;   in Loop: Header=BB2_1290 Depth=2
	s_or_b32 exec_lo, exec_lo, s13
	v_add_f32_e32 v113, v14, v113
	v_and_b32_e32 v14, 0x7f800000, v113
	v_cmp_ne_u32_e64 s12, 0x7f800000, v14
	v_mov_b32_e32 v14, 0x80
	s_and_saveexec_b32 s27, s12
	s_cbranch_execz .LBB2_1390
; %bb.1383:                             ;   in Loop: Header=BB2_1290 Depth=2
	v_mov_b32_e32 v14, 0
	s_mov_b32 s28, exec_lo
	v_cmpx_ne_u32_e32 0, v113
	s_cbranch_execz .LBB2_1389
; %bb.1384:                             ;   in Loop: Header=BB2_1290 Depth=2
	v_bfe_u32 v14, v113, 23, 8
	v_and_b32_e32 v114, 0x7fffff, v113
	v_sub_nc_u32_e32 v115, 0x78, v14
	v_cmp_gt_u32_e64 s12, 0x79, v14
	v_or_b32_e32 v116, 0x800000, v114
	v_cndmask_b32_e64 v115, 0, v115, s12
	v_cmp_eq_u32_e64 s12, 0, v14
	v_add_nc_u32_e32 v14, 0xffffff89, v14
	v_cndmask_b32_e64 v115, v115, 0x77, s12
	v_cndmask_b32_e64 v114, v116, v114, s12
	;; [unrolled: 1-line block ×3, first 2 shown]
	v_lshl_add_u32 v116, 0x100000, v115, -1
	v_lshrrev_b32_e32 v117, v115, v114
	v_lshlrev_b32_e64 v119, v115, 0x80000
	v_add_nc_u32_e32 v115, v115, v14
	v_and_b32_e32 v114, v116, v114
	v_bfe_u32 v118, v117, 20, 1
	v_cmp_eq_u32_e64 s13, v114, v119
	v_add_nc_u32_e32 v116, -1, v118
	v_cndmask_b32_e64 v114, 0, v116, s13
	v_lshrrev_b32_e32 v116, 23, v117
	s_mov_b32 s13, exec_lo
	v_add_nc_u32_e32 v114, v114, v117
	v_xor_b32_e32 v116, 1, v116
	v_and_b32_e32 v14, 0xfffff, v114
	v_add_nc_u32_e32 v114, v14, v117
                                        ; implicit-def: $vgpr14
	v_cmpx_ne_u32_e64 v115, v116
	s_xor_b32 s13, exec_lo, s13
; %bb.1385:                             ;   in Loop: Header=BB2_1290 Depth=2
	v_cmp_lt_u32_e64 s12, 0xffffff, v114
	v_sub_nc_u32_e32 v14, v115, v116
	v_cndmask_b32_e64 v115, 0, 1, s12
	v_add_co_ci_u32_e64 v14, null, 0, v14, s12
	v_lshrrev_b32_e32 v114, v115, v114
; %bb.1386:                             ;   in Loop: Header=BB2_1290 Depth=2
	s_andn2_saveexec_b32 s12, s13
; %bb.1387:                             ;   in Loop: Header=BB2_1290 Depth=2
	v_bfe_u32 v14, v114, 23, 1
; %bb.1388:                             ;   in Loop: Header=BB2_1290 Depth=2
	s_or_b32 exec_lo, exec_lo, s12
	v_lshrrev_b32_e32 v114, 20, v114
	v_min_i32_e32 v115, 15, v14
	v_cmp_gt_i32_e64 s12, 16, v14
	v_and_b32_sdwa v113, v113, v86 dst_sel:DWORD dst_unused:UNUSED_PAD src0_sel:BYTE_3 src1_sel:DWORD
	v_lshlrev_b32_e32 v115, 3, v115
	v_cndmask_b32_e64 v114, 7, v114, s12
	v_and_b32_e32 v115, 0xf8, v115
	v_and_b32_e32 v116, 7, v114
	v_or_b32_e32 v14, v14, v114
	v_or3_b32 v113, v115, v113, v116
	v_cmp_ne_u32_e64 s12, 0, v14
	v_cndmask_b32_e64 v14, 0, v113, s12
.LBB2_1389:                             ;   in Loop: Header=BB2_1290 Depth=2
	s_or_b32 exec_lo, exec_lo, s28
.LBB2_1390:                             ;   in Loop: Header=BB2_1290 Depth=2
	s_or_b32 exec_lo, exec_lo, s27
	v_cmp_gt_i16_sdwa s13, v15, v85 src0_sel:BYTE_1 src1_sel:DWORD
	s_mov_b32 s12, 0
	s_and_saveexec_b32 s27, s13
	s_xor_b32 s13, exec_lo, s27
	s_cbranch_execz .LBB2_1628
; %bb.1391:                             ;   in Loop: Header=BB2_1290 Depth=2
	v_cmp_eq_u16_sdwa s28, v15, v86 src0_sel:BYTE_1 src1_sel:DWORD
	s_mov_b32 s12, -1
	s_and_saveexec_b32 s27, s28
; %bb.1392:                             ;   in Loop: Header=BB2_1290 Depth=2
	s_xor_b32 s12, exec_lo, -1
; %bb.1393:                             ;   in Loop: Header=BB2_1290 Depth=2
	s_or_b32 exec_lo, exec_lo, s27
	s_and_b32 s12, s12, exec_lo
	s_or_saveexec_b32 s13, s13
	v_mov_b32_e32 v113, 0x7f800001
	s_xor_b32 exec_lo, exec_lo, s13
	s_cbranch_execnz .LBB2_1629
.LBB2_1394:                             ;   in Loop: Header=BB2_1290 Depth=2
	s_or_b32 exec_lo, exec_lo, s13
	s_and_saveexec_b32 s13, s12
	s_cbranch_execz .LBB2_1396
.LBB2_1395:                             ;   in Loop: Header=BB2_1290 Depth=2
	v_and_b32_sdwa v113, v87, v15 dst_sel:DWORD dst_unused:UNUSED_PAD src0_sel:DWORD src1_sel:BYTE_1
	v_and_b32_e32 v114, 7, v113
	v_bfe_u32 v117, v113, 3, 4
	v_ffbh_u32_e32 v115, v114
	v_cmp_eq_u32_e64 s12, 0, v117
	v_min_u32_e32 v115, 32, v115
	v_subrev_nc_u32_e32 v116, 28, v115
	v_sub_nc_u32_e32 v115, 29, v115
	v_lshlrev_b32_e32 v113, v116, v113
	v_lshlrev_b32_sdwa v116, v96, v15 dst_sel:DWORD dst_unused:UNUSED_PAD src0_sel:DWORD src1_sel:BYTE_1
	v_cndmask_b32_e64 v115, v117, v115, s12
	v_and_b32_e32 v113, 7, v113
	v_lshl_add_u32 v115, v115, 23, 0x3b800000
	v_cndmask_b32_e64 v113, v114, v113, s12
	v_and_b32_e32 v114, 0x80000000, v116
	v_lshlrev_b32_e32 v113, 20, v113
	v_or3_b32 v113, v114, v115, v113
.LBB2_1396:                             ;   in Loop: Header=BB2_1290 Depth=2
	s_or_b32 exec_lo, exec_lo, s13
	v_cmp_gt_i16_sdwa s13, v11, v85 src0_sel:BYTE_1 src1_sel:DWORD
	s_mov_b32 s12, 0
	s_and_saveexec_b32 s27, s13
	s_xor_b32 s13, exec_lo, s27
	s_cbranch_execz .LBB2_1630
; %bb.1397:                             ;   in Loop: Header=BB2_1290 Depth=2
	v_cmp_eq_u16_sdwa s28, v11, v86 src0_sel:BYTE_1 src1_sel:DWORD
	s_mov_b32 s12, -1
	s_and_saveexec_b32 s27, s28
; %bb.1398:                             ;   in Loop: Header=BB2_1290 Depth=2
	s_xor_b32 s12, exec_lo, -1
; %bb.1399:                             ;   in Loop: Header=BB2_1290 Depth=2
	s_or_b32 exec_lo, exec_lo, s27
	s_and_b32 s12, s12, exec_lo
	s_or_saveexec_b32 s13, s13
	v_mov_b32_e32 v114, 0x7f800001
	s_xor_b32 exec_lo, exec_lo, s13
	s_cbranch_execnz .LBB2_1631
.LBB2_1400:                             ;   in Loop: Header=BB2_1290 Depth=2
	s_or_b32 exec_lo, exec_lo, s13
	s_and_saveexec_b32 s13, s12
	s_cbranch_execz .LBB2_1402
.LBB2_1401:                             ;   in Loop: Header=BB2_1290 Depth=2
	v_and_b32_sdwa v114, v87, v11 dst_sel:DWORD dst_unused:UNUSED_PAD src0_sel:DWORD src1_sel:BYTE_1
	v_and_b32_e32 v115, 7, v114
	v_bfe_u32 v118, v114, 3, 4
	v_ffbh_u32_e32 v116, v115
	v_cmp_eq_u32_e64 s12, 0, v118
	v_min_u32_e32 v116, 32, v116
	v_subrev_nc_u32_e32 v117, 28, v116
	v_sub_nc_u32_e32 v116, 29, v116
	v_lshlrev_b32_e32 v114, v117, v114
	v_lshlrev_b32_sdwa v117, v96, v11 dst_sel:DWORD dst_unused:UNUSED_PAD src0_sel:DWORD src1_sel:BYTE_1
	v_cndmask_b32_e64 v116, v118, v116, s12
	v_and_b32_e32 v114, 7, v114
	v_lshl_add_u32 v116, v116, 23, 0x3b800000
	v_cndmask_b32_e64 v114, v115, v114, s12
	v_and_b32_e32 v115, 0x80000000, v117
	v_lshlrev_b32_e32 v114, 20, v114
	v_or3_b32 v114, v115, v116, v114
.LBB2_1402:                             ;   in Loop: Header=BB2_1290 Depth=2
	s_or_b32 exec_lo, exec_lo, s13
	v_add_f32_e32 v114, v113, v114
	v_and_b32_e32 v113, 0x7f800000, v114
	v_cmp_ne_u32_e64 s12, 0x7f800000, v113
	v_mov_b32_e32 v113, 0x8000
	s_and_saveexec_b32 s27, s12
	s_cbranch_execz .LBB2_1410
; %bb.1403:                             ;   in Loop: Header=BB2_1290 Depth=2
	v_mov_b32_e32 v113, 0
	s_mov_b32 s28, exec_lo
	v_cmpx_ne_u32_e32 0, v114
	s_cbranch_execz .LBB2_1409
; %bb.1404:                             ;   in Loop: Header=BB2_1290 Depth=2
	v_bfe_u32 v113, v114, 23, 8
	v_and_b32_e32 v115, 0x7fffff, v114
	v_sub_nc_u32_e32 v116, 0x78, v113
	v_cmp_gt_u32_e64 s12, 0x79, v113
	v_or_b32_e32 v117, 0x800000, v115
	v_cndmask_b32_e64 v116, 0, v116, s12
	v_cmp_eq_u32_e64 s12, 0, v113
	v_add_nc_u32_e32 v113, 0xffffff89, v113
	v_cndmask_b32_e64 v116, v116, 0x77, s12
	v_cndmask_b32_e64 v115, v117, v115, s12
	;; [unrolled: 1-line block ×3, first 2 shown]
	v_lshl_add_u32 v117, 0x100000, v116, -1
	v_lshrrev_b32_e32 v118, v116, v115
	v_lshlrev_b32_e64 v40, v116, 0x80000
	v_add_nc_u32_e32 v116, v116, v113
	v_and_b32_e32 v115, v117, v115
	v_bfe_u32 v119, v118, 20, 1
	v_cmp_eq_u32_e64 s13, v115, v40
	v_add_nc_u32_e32 v117, -1, v119
	v_cndmask_b32_e64 v115, 0, v117, s13
	v_lshrrev_b32_e32 v117, 23, v118
	s_mov_b32 s13, exec_lo
	v_add_nc_u32_e32 v115, v115, v118
	v_xor_b32_e32 v117, 1, v117
	v_and_b32_e32 v113, 0xfffff, v115
	v_add_nc_u32_e32 v115, v113, v118
                                        ; implicit-def: $vgpr113
	v_cmpx_ne_u32_e64 v116, v117
	s_xor_b32 s13, exec_lo, s13
; %bb.1405:                             ;   in Loop: Header=BB2_1290 Depth=2
	v_cmp_lt_u32_e64 s12, 0xffffff, v115
	v_sub_nc_u32_e32 v113, v116, v117
	v_cndmask_b32_e64 v116, 0, 1, s12
	v_add_co_ci_u32_e64 v113, null, 0, v113, s12
	v_lshrrev_b32_e32 v115, v116, v115
; %bb.1406:                             ;   in Loop: Header=BB2_1290 Depth=2
	s_andn2_saveexec_b32 s12, s13
; %bb.1407:                             ;   in Loop: Header=BB2_1290 Depth=2
	v_bfe_u32 v113, v115, 23, 1
; %bb.1408:                             ;   in Loop: Header=BB2_1290 Depth=2
	s_or_b32 exec_lo, exec_lo, s12
	v_lshrrev_b32_e32 v115, 20, v115
	v_min_i32_e32 v116, 15, v113
	v_cmp_gt_i32_e64 s12, 16, v113
	v_and_b32_sdwa v114, v114, v86 dst_sel:DWORD dst_unused:UNUSED_PAD src0_sel:BYTE_3 src1_sel:DWORD
	v_lshlrev_b32_e32 v116, 3, v116
	v_cndmask_b32_e64 v115, 7, v115, s12
	v_and_b32_e32 v116, 0xf8, v116
	v_and_b32_e32 v117, 7, v115
	v_or_b32_e32 v113, v113, v115
	v_or3_b32 v114, v114, v116, v117
	v_cmp_ne_u32_e64 s12, 0, v113
	v_lshlrev_b32_e32 v114, 8, v114
	v_cndmask_b32_e64 v113, 0, v114, s12
.LBB2_1409:                             ;   in Loop: Header=BB2_1290 Depth=2
	s_or_b32 exec_lo, exec_lo, s28
.LBB2_1410:                             ;   in Loop: Header=BB2_1290 Depth=2
	s_or_b32 exec_lo, exec_lo, s27
	v_and_b32_sdwa v115, v15, v97 dst_sel:DWORD dst_unused:UNUSED_PAD src0_sel:WORD_1 src1_sel:DWORD
	s_mov_b32 s13, 0
	s_mov_b32 s27, exec_lo
	v_cmpx_lt_i16_e32 0x7f, v115
	s_xor_b32 s27, exec_lo, s27
	s_cbranch_execz .LBB2_1632
; %bb.1411:                             ;   in Loop: Header=BB2_1290 Depth=2
	s_mov_b32 s13, -1
	s_mov_b32 s28, exec_lo
	v_cmpx_eq_u16_e32 0x80, v115
; %bb.1412:                             ;   in Loop: Header=BB2_1290 Depth=2
	s_xor_b32 s13, exec_lo, -1
; %bb.1413:                             ;   in Loop: Header=BB2_1290 Depth=2
	s_or_b32 exec_lo, exec_lo, s28
	s_and_b32 s13, s13, exec_lo
                                        ; implicit-def: $vgpr115
	s_or_saveexec_b32 s27, s27
	v_mov_b32_e32 v114, 0x7f800001
	s_xor_b32 exec_lo, exec_lo, s27
	s_cbranch_execnz .LBB2_1633
.LBB2_1414:                             ;   in Loop: Header=BB2_1290 Depth=2
	s_or_b32 exec_lo, exec_lo, s27
	s_and_saveexec_b32 s27, s13
	s_cbranch_execz .LBB2_1416
.LBB2_1415:                             ;   in Loop: Header=BB2_1290 Depth=2
	v_bfe_u32 v114, v15, 16, 3
	v_bfe_u32 v117, v15, 19, 4
	v_lshlrev_b32_e32 v118, 8, v15
	v_ffbh_u32_e32 v115, v114
	v_cmp_eq_u32_e64 s12, 0, v117
	v_min_u32_e32 v115, 32, v115
	v_subrev_nc_u32_e32 v116, 28, v115
	v_sub_nc_u32_e32 v115, 29, v115
	v_lshlrev_b32_sdwa v116, v116, v15 dst_sel:DWORD dst_unused:UNUSED_PAD src0_sel:DWORD src1_sel:WORD_1
	v_cndmask_b32_e64 v115, v117, v115, s12
	v_and_b32_e32 v116, 7, v116
	v_lshl_add_u32 v115, v115, 23, 0x3b800000
	v_cndmask_b32_e64 v114, v114, v116, s12
	v_and_b32_e32 v116, 0x80000000, v118
	v_lshlrev_b32_e32 v114, 20, v114
	v_or3_b32 v114, v116, v115, v114
.LBB2_1416:                             ;   in Loop: Header=BB2_1290 Depth=2
	s_or_b32 exec_lo, exec_lo, s27
	v_and_b32_sdwa v116, v11, v97 dst_sel:DWORD dst_unused:UNUSED_PAD src0_sel:WORD_1 src1_sel:DWORD
	s_mov_b32 s13, 0
	s_mov_b32 s27, exec_lo
	v_cmpx_lt_i16_e32 0x7f, v116
	s_xor_b32 s27, exec_lo, s27
	s_cbranch_execz .LBB2_1634
; %bb.1417:                             ;   in Loop: Header=BB2_1290 Depth=2
	s_mov_b32 s13, -1
	s_mov_b32 s28, exec_lo
	v_cmpx_eq_u16_e32 0x80, v116
; %bb.1418:                             ;   in Loop: Header=BB2_1290 Depth=2
	s_xor_b32 s13, exec_lo, -1
; %bb.1419:                             ;   in Loop: Header=BB2_1290 Depth=2
	s_or_b32 exec_lo, exec_lo, s28
	s_and_b32 s13, s13, exec_lo
                                        ; implicit-def: $vgpr116
	s_or_saveexec_b32 s27, s27
	v_mov_b32_e32 v115, 0x7f800001
	s_xor_b32 exec_lo, exec_lo, s27
	s_cbranch_execnz .LBB2_1635
.LBB2_1420:                             ;   in Loop: Header=BB2_1290 Depth=2
	s_or_b32 exec_lo, exec_lo, s27
	s_and_saveexec_b32 s27, s13
	s_cbranch_execz .LBB2_1422
.LBB2_1421:                             ;   in Loop: Header=BB2_1290 Depth=2
	v_and_b32_sdwa v115, v11, v98 dst_sel:DWORD dst_unused:UNUSED_PAD src0_sel:WORD_1 src1_sel:DWORD
	v_bfe_u32 v118, v11, 19, 4
	v_lshlrev_b32_sdwa v119, v96, v11 dst_sel:DWORD dst_unused:UNUSED_PAD src0_sel:DWORD src1_sel:WORD_1
	v_ffbh_u32_e32 v116, v115
	v_cmp_eq_u32_e64 s12, 0, v118
	v_min_u32_e32 v116, 32, v116
	v_subrev_nc_u32_e32 v117, 28, v116
	v_sub_nc_u32_e32 v116, 29, v116
	v_lshlrev_b32_sdwa v117, v117, v11 dst_sel:DWORD dst_unused:UNUSED_PAD src0_sel:DWORD src1_sel:WORD_1
	v_cndmask_b32_e64 v116, v118, v116, s12
	v_and_b32_e32 v117, 7, v117
	v_lshl_add_u32 v116, v116, 23, 0x3b800000
	v_cndmask_b32_e64 v115, v115, v117, s12
	v_and_b32_e32 v117, 0x80000000, v119
	v_lshlrev_b32_e32 v115, 20, v115
	v_or3_b32 v115, v117, v116, v115
.LBB2_1422:                             ;   in Loop: Header=BB2_1290 Depth=2
	s_or_b32 exec_lo, exec_lo, s27
	v_add_f32_e32 v115, v114, v115
	v_and_b32_e32 v114, 0x7f800000, v115
	v_cmp_ne_u32_e64 s12, 0x7f800000, v114
	v_mov_b32_e32 v114, 0x80
	s_and_saveexec_b32 s27, s12
	s_cbranch_execz .LBB2_1430
; %bb.1423:                             ;   in Loop: Header=BB2_1290 Depth=2
	v_mov_b32_e32 v114, 0
	s_mov_b32 s28, exec_lo
	v_cmpx_ne_u32_e32 0, v115
	s_cbranch_execz .LBB2_1429
; %bb.1424:                             ;   in Loop: Header=BB2_1290 Depth=2
	v_bfe_u32 v114, v115, 23, 8
	v_and_b32_e32 v116, 0x7fffff, v115
	v_sub_nc_u32_e32 v117, 0x78, v114
	v_cmp_gt_u32_e64 s12, 0x79, v114
	v_or_b32_e32 v118, 0x800000, v116
	v_cndmask_b32_e64 v117, 0, v117, s12
	v_cmp_eq_u32_e64 s12, 0, v114
	v_add_nc_u32_e32 v114, 0xffffff89, v114
	v_cndmask_b32_e64 v117, v117, 0x77, s12
	v_cndmask_b32_e64 v116, v118, v116, s12
	;; [unrolled: 1-line block ×3, first 2 shown]
	v_lshl_add_u32 v118, 0x100000, v117, -1
	v_lshrrev_b32_e32 v119, v117, v116
	v_lshlrev_b32_e64 v41, v117, 0x80000
	v_add_nc_u32_e32 v117, v117, v114
	v_and_b32_e32 v116, v118, v116
	v_bfe_u32 v40, v119, 20, 1
	v_cmp_eq_u32_e64 s13, v116, v41
	v_add_nc_u32_e32 v118, -1, v40
	v_cndmask_b32_e64 v116, 0, v118, s13
	v_lshrrev_b32_e32 v118, 23, v119
	s_mov_b32 s13, exec_lo
	v_add_nc_u32_e32 v116, v116, v119
	v_xor_b32_e32 v118, 1, v118
	v_and_b32_e32 v114, 0xfffff, v116
	v_add_nc_u32_e32 v116, v114, v119
                                        ; implicit-def: $vgpr114
	v_cmpx_ne_u32_e64 v117, v118
	s_xor_b32 s13, exec_lo, s13
; %bb.1425:                             ;   in Loop: Header=BB2_1290 Depth=2
	v_cmp_lt_u32_e64 s12, 0xffffff, v116
	v_sub_nc_u32_e32 v114, v117, v118
	v_cndmask_b32_e64 v117, 0, 1, s12
	v_add_co_ci_u32_e64 v114, null, 0, v114, s12
	v_lshrrev_b32_e32 v116, v117, v116
; %bb.1426:                             ;   in Loop: Header=BB2_1290 Depth=2
	s_andn2_saveexec_b32 s12, s13
; %bb.1427:                             ;   in Loop: Header=BB2_1290 Depth=2
	v_bfe_u32 v114, v116, 23, 1
; %bb.1428:                             ;   in Loop: Header=BB2_1290 Depth=2
	s_or_b32 exec_lo, exec_lo, s12
	v_lshrrev_b32_e32 v116, 20, v116
	v_min_i32_e32 v117, 15, v114
	v_cmp_gt_i32_e64 s12, 16, v114
	v_and_b32_sdwa v115, v115, v86 dst_sel:DWORD dst_unused:UNUSED_PAD src0_sel:BYTE_3 src1_sel:DWORD
	v_lshlrev_b32_e32 v117, 3, v117
	v_cndmask_b32_e64 v116, 7, v116, s12
	v_and_b32_e32 v117, 0xf8, v117
	v_and_b32_e32 v118, 7, v116
	v_or_b32_e32 v114, v114, v116
	v_or3_b32 v115, v117, v115, v118
	v_cmp_ne_u32_e64 s12, 0, v114
	v_cndmask_b32_e64 v114, 0, v115, s12
.LBB2_1429:                             ;   in Loop: Header=BB2_1290 Depth=2
	s_or_b32 exec_lo, exec_lo, s28
.LBB2_1430:                             ;   in Loop: Header=BB2_1290 Depth=2
	s_or_b32 exec_lo, exec_lo, s27
	v_cmp_gt_i16_sdwa s13, v15, v85 src0_sel:BYTE_3 src1_sel:DWORD
	s_mov_b32 s12, 0
	s_and_saveexec_b32 s27, s13
	s_xor_b32 s13, exec_lo, s27
	s_cbranch_execz .LBB2_1636
; %bb.1431:                             ;   in Loop: Header=BB2_1290 Depth=2
	v_cmp_eq_u16_sdwa s28, v15, v86 src0_sel:BYTE_3 src1_sel:DWORD
	s_mov_b32 s12, -1
	s_and_saveexec_b32 s27, s28
; %bb.1432:                             ;   in Loop: Header=BB2_1290 Depth=2
	s_xor_b32 s12, exec_lo, -1
; %bb.1433:                             ;   in Loop: Header=BB2_1290 Depth=2
	s_or_b32 exec_lo, exec_lo, s27
	s_and_b32 s12, s12, exec_lo
	s_or_saveexec_b32 s13, s13
	v_mov_b32_e32 v115, 0x7f800001
	s_xor_b32 exec_lo, exec_lo, s13
	s_cbranch_execnz .LBB2_1637
.LBB2_1434:                             ;   in Loop: Header=BB2_1290 Depth=2
	s_or_b32 exec_lo, exec_lo, s13
	s_and_saveexec_b32 s13, s12
	s_cbranch_execz .LBB2_1436
.LBB2_1435:                             ;   in Loop: Header=BB2_1290 Depth=2
	v_bfe_u32 v115, v15, 24, 3
	v_bfe_u32 v118, v15, 27, 4
	v_ffbh_u32_e32 v116, v115
	v_cmp_eq_u32_e64 s12, 0, v118
	v_min_u32_e32 v116, 32, v116
	v_subrev_nc_u32_e32 v117, 28, v116
	v_sub_nc_u32_e32 v116, 29, v116
	v_lshlrev_b32_sdwa v117, v117, v15 dst_sel:DWORD dst_unused:UNUSED_PAD src0_sel:DWORD src1_sel:BYTE_3
	v_cndmask_b32_e64 v116, v118, v116, s12
	v_and_b32_e32 v15, 0x80000000, v15
	v_and_b32_e32 v117, 7, v117
	v_lshl_add_u32 v116, v116, 23, 0x3b800000
	v_cndmask_b32_e64 v115, v115, v117, s12
	v_lshlrev_b32_e32 v115, 20, v115
	v_or3_b32 v115, v15, v116, v115
.LBB2_1436:                             ;   in Loop: Header=BB2_1290 Depth=2
	s_or_b32 exec_lo, exec_lo, s13
	v_cmp_gt_i16_sdwa s13, v11, v85 src0_sel:BYTE_3 src1_sel:DWORD
	s_mov_b32 s12, 0
	s_and_saveexec_b32 s27, s13
	s_xor_b32 s13, exec_lo, s27
	s_cbranch_execz .LBB2_1638
; %bb.1437:                             ;   in Loop: Header=BB2_1290 Depth=2
	v_cmp_eq_u16_sdwa s28, v11, v86 src0_sel:BYTE_3 src1_sel:DWORD
	s_mov_b32 s12, -1
	s_and_saveexec_b32 s27, s28
; %bb.1438:                             ;   in Loop: Header=BB2_1290 Depth=2
	s_xor_b32 s12, exec_lo, -1
; %bb.1439:                             ;   in Loop: Header=BB2_1290 Depth=2
	s_or_b32 exec_lo, exec_lo, s27
	s_and_b32 s12, s12, exec_lo
	s_or_saveexec_b32 s13, s13
	v_mov_b32_e32 v15, 0x7f800001
	s_xor_b32 exec_lo, exec_lo, s13
	s_cbranch_execnz .LBB2_1639
.LBB2_1440:                             ;   in Loop: Header=BB2_1290 Depth=2
	s_or_b32 exec_lo, exec_lo, s13
	s_and_saveexec_b32 s13, s12
	s_cbranch_execz .LBB2_1442
.LBB2_1441:                             ;   in Loop: Header=BB2_1290 Depth=2
	v_and_b32_sdwa v15, v11, v98 dst_sel:DWORD dst_unused:UNUSED_PAD src0_sel:BYTE_3 src1_sel:DWORD
	v_bfe_u32 v118, v11, 27, 4
	v_ffbh_u32_e32 v116, v15
	v_cmp_eq_u32_e64 s12, 0, v118
	v_min_u32_e32 v116, 32, v116
	v_subrev_nc_u32_e32 v117, 28, v116
	v_sub_nc_u32_e32 v116, 29, v116
	v_lshlrev_b32_sdwa v117, v117, v11 dst_sel:DWORD dst_unused:UNUSED_PAD src0_sel:DWORD src1_sel:BYTE_3
	v_cndmask_b32_e64 v116, v118, v116, s12
	v_and_b32_e32 v11, 0x80000000, v11
	v_and_b32_e32 v117, 7, v117
	v_lshl_add_u32 v116, v116, 23, 0x3b800000
	v_cndmask_b32_e64 v15, v15, v117, s12
	v_lshlrev_b32_e32 v15, 20, v15
	v_or3_b32 v15, v11, v116, v15
.LBB2_1442:                             ;   in Loop: Header=BB2_1290 Depth=2
	s_or_b32 exec_lo, exec_lo, s13
	v_add_f32_e32 v15, v115, v15
	v_and_b32_e32 v11, 0x7f800000, v15
	v_cmp_ne_u32_e64 s12, 0x7f800000, v11
	v_mov_b32_e32 v11, 0x8000
	s_and_saveexec_b32 s27, s12
	s_cbranch_execz .LBB2_1450
; %bb.1443:                             ;   in Loop: Header=BB2_1290 Depth=2
	v_mov_b32_e32 v11, 0
	s_mov_b32 s28, exec_lo
	v_cmpx_ne_u32_e32 0, v15
	s_cbranch_execz .LBB2_1449
; %bb.1444:                             ;   in Loop: Header=BB2_1290 Depth=2
	v_bfe_u32 v11, v15, 23, 8
	v_and_b32_e32 v115, 0x7fffff, v15
	v_sub_nc_u32_e32 v116, 0x78, v11
	v_cmp_gt_u32_e64 s12, 0x79, v11
	v_or_b32_e32 v117, 0x800000, v115
	v_cndmask_b32_e64 v116, 0, v116, s12
	v_cmp_eq_u32_e64 s12, 0, v11
	v_add_nc_u32_e32 v11, 0xffffff89, v11
	v_cndmask_b32_e64 v116, v116, 0x77, s12
	v_cndmask_b32_e64 v115, v117, v115, s12
	;; [unrolled: 1-line block ×3, first 2 shown]
	v_lshl_add_u32 v117, 0x100000, v116, -1
	v_lshrrev_b32_e32 v118, v116, v115
	v_lshlrev_b32_e64 v40, v116, 0x80000
	v_add_nc_u32_e32 v116, v116, v11
	v_and_b32_e32 v115, v117, v115
	v_bfe_u32 v119, v118, 20, 1
	v_cmp_eq_u32_e64 s13, v115, v40
	v_add_nc_u32_e32 v117, -1, v119
	v_cndmask_b32_e64 v115, 0, v117, s13
	v_lshrrev_b32_e32 v117, 23, v118
	s_mov_b32 s13, exec_lo
	v_add_nc_u32_e32 v115, v115, v118
	v_xor_b32_e32 v117, 1, v117
	v_and_b32_e32 v11, 0xfffff, v115
	v_add_nc_u32_e32 v115, v11, v118
                                        ; implicit-def: $vgpr11
	v_cmpx_ne_u32_e64 v116, v117
	s_xor_b32 s13, exec_lo, s13
; %bb.1445:                             ;   in Loop: Header=BB2_1290 Depth=2
	v_cmp_lt_u32_e64 s12, 0xffffff, v115
	v_sub_nc_u32_e32 v11, v116, v117
	v_cndmask_b32_e64 v116, 0, 1, s12
	v_add_co_ci_u32_e64 v11, null, 0, v11, s12
	v_lshrrev_b32_e32 v115, v116, v115
; %bb.1446:                             ;   in Loop: Header=BB2_1290 Depth=2
	s_andn2_saveexec_b32 s12, s13
; %bb.1447:                             ;   in Loop: Header=BB2_1290 Depth=2
	v_bfe_u32 v11, v115, 23, 1
; %bb.1448:                             ;   in Loop: Header=BB2_1290 Depth=2
	s_or_b32 exec_lo, exec_lo, s12
	v_lshrrev_b32_e32 v115, 20, v115
	v_min_i32_e32 v116, 15, v11
	v_cmp_gt_i32_e64 s12, 16, v11
	v_and_b32_sdwa v15, v15, v86 dst_sel:DWORD dst_unused:UNUSED_PAD src0_sel:BYTE_3 src1_sel:DWORD
	v_lshlrev_b32_e32 v116, 3, v116
	v_cndmask_b32_e64 v115, 7, v115, s12
	v_and_b32_e32 v116, 0xf8, v116
	v_and_b32_e32 v117, 7, v115
	v_or_b32_e32 v11, v11, v115
	v_or3_b32 v15, v15, v116, v117
	v_cmp_ne_u32_e64 s12, 0, v11
	v_lshlrev_b32_e32 v15, 8, v15
	v_cndmask_b32_e64 v11, 0, v15, s12
.LBB2_1449:                             ;   in Loop: Header=BB2_1290 Depth=2
	s_or_b32 exec_lo, exec_lo, s28
.LBB2_1450:                             ;   in Loop: Header=BB2_1290 Depth=2
	s_or_b32 exec_lo, exec_lo, s27
	v_cmp_gt_i16_sdwa s13, v16, v85 src0_sel:BYTE_0 src1_sel:DWORD
	s_mov_b32 s12, 0
	s_and_saveexec_b32 s27, s13
	s_xor_b32 s13, exec_lo, s27
	s_cbranch_execz .LBB2_1640
; %bb.1451:                             ;   in Loop: Header=BB2_1290 Depth=2
	v_cmp_eq_u16_sdwa s28, v16, v86 src0_sel:BYTE_0 src1_sel:DWORD
	s_mov_b32 s12, -1
	s_and_saveexec_b32 s27, s28
; %bb.1452:                             ;   in Loop: Header=BB2_1290 Depth=2
	s_xor_b32 s12, exec_lo, -1
; %bb.1453:                             ;   in Loop: Header=BB2_1290 Depth=2
	s_or_b32 exec_lo, exec_lo, s27
	s_and_b32 s12, s12, exec_lo
	s_or_saveexec_b32 s13, s13
	v_mov_b32_e32 v15, 0x7f800001
	s_xor_b32 exec_lo, exec_lo, s13
	s_cbranch_execnz .LBB2_1641
.LBB2_1454:                             ;   in Loop: Header=BB2_1290 Depth=2
	s_or_b32 exec_lo, exec_lo, s13
	s_and_saveexec_b32 s13, s12
	s_cbranch_execz .LBB2_1456
.LBB2_1455:                             ;   in Loop: Header=BB2_1290 Depth=2
	v_and_b32_e32 v15, 7, v16
	v_bfe_u32 v117, v16, 3, 4
	v_lshlrev_b32_e32 v118, 24, v16
	v_ffbh_u32_e32 v115, v15
	v_cmp_eq_u32_e64 s12, 0, v117
	v_min_u32_e32 v115, 32, v115
	v_subrev_nc_u32_e32 v116, 28, v115
	v_sub_nc_u32_e32 v115, 29, v115
	v_lshlrev_b32_e32 v116, v116, v16
	v_cndmask_b32_e64 v115, v117, v115, s12
	v_and_b32_e32 v116, 7, v116
	v_lshl_add_u32 v115, v115, 23, 0x3b800000
	v_cndmask_b32_e64 v15, v15, v116, s12
	v_and_b32_e32 v116, 0x80000000, v118
	v_lshlrev_b32_e32 v15, 20, v15
	v_or3_b32 v15, v116, v115, v15
.LBB2_1456:                             ;   in Loop: Header=BB2_1290 Depth=2
	s_or_b32 exec_lo, exec_lo, s13
	v_cmp_gt_i16_sdwa s13, v12, v85 src0_sel:BYTE_0 src1_sel:DWORD
	s_mov_b32 s12, 0
	s_and_saveexec_b32 s27, s13
	s_xor_b32 s13, exec_lo, s27
	s_cbranch_execz .LBB2_1642
; %bb.1457:                             ;   in Loop: Header=BB2_1290 Depth=2
	v_cmp_eq_u16_sdwa s28, v12, v86 src0_sel:BYTE_0 src1_sel:DWORD
	s_mov_b32 s12, -1
	s_and_saveexec_b32 s27, s28
; %bb.1458:                             ;   in Loop: Header=BB2_1290 Depth=2
	s_xor_b32 s12, exec_lo, -1
; %bb.1459:                             ;   in Loop: Header=BB2_1290 Depth=2
	s_or_b32 exec_lo, exec_lo, s27
	s_and_b32 s12, s12, exec_lo
	s_or_saveexec_b32 s13, s13
	v_mov_b32_e32 v115, 0x7f800001
	s_xor_b32 exec_lo, exec_lo, s13
	s_cbranch_execnz .LBB2_1643
.LBB2_1460:                             ;   in Loop: Header=BB2_1290 Depth=2
	s_or_b32 exec_lo, exec_lo, s13
	s_and_saveexec_b32 s13, s12
	s_cbranch_execz .LBB2_1462
.LBB2_1461:                             ;   in Loop: Header=BB2_1290 Depth=2
	v_and_b32_e32 v115, 7, v12
	v_bfe_u32 v118, v12, 3, 4
	v_lshlrev_b32_e32 v119, 24, v12
	v_ffbh_u32_e32 v116, v115
	v_cmp_eq_u32_e64 s12, 0, v118
	v_min_u32_e32 v116, 32, v116
	v_subrev_nc_u32_e32 v117, 28, v116
	v_sub_nc_u32_e32 v116, 29, v116
	v_lshlrev_b32_e32 v117, v117, v12
	v_cndmask_b32_e64 v116, v118, v116, s12
	v_and_b32_e32 v117, 7, v117
	v_lshl_add_u32 v116, v116, 23, 0x3b800000
	v_cndmask_b32_e64 v115, v115, v117, s12
	v_and_b32_e32 v117, 0x80000000, v119
	v_lshlrev_b32_e32 v115, 20, v115
	v_or3_b32 v115, v117, v116, v115
.LBB2_1462:                             ;   in Loop: Header=BB2_1290 Depth=2
	s_or_b32 exec_lo, exec_lo, s13
	v_add_f32_e32 v115, v15, v115
	v_and_b32_e32 v15, 0x7f800000, v115
	v_cmp_ne_u32_e64 s12, 0x7f800000, v15
	v_mov_b32_e32 v15, 0x80
	s_and_saveexec_b32 s27, s12
	s_cbranch_execz .LBB2_1470
; %bb.1463:                             ;   in Loop: Header=BB2_1290 Depth=2
	v_mov_b32_e32 v15, 0
	s_mov_b32 s28, exec_lo
	v_cmpx_ne_u32_e32 0, v115
	s_cbranch_execz .LBB2_1469
; %bb.1464:                             ;   in Loop: Header=BB2_1290 Depth=2
	v_bfe_u32 v15, v115, 23, 8
	v_and_b32_e32 v116, 0x7fffff, v115
	v_sub_nc_u32_e32 v117, 0x78, v15
	v_cmp_gt_u32_e64 s12, 0x79, v15
	v_or_b32_e32 v118, 0x800000, v116
	v_cndmask_b32_e64 v117, 0, v117, s12
	v_cmp_eq_u32_e64 s12, 0, v15
	v_add_nc_u32_e32 v15, 0xffffff89, v15
	v_cndmask_b32_e64 v117, v117, 0x77, s12
	v_cndmask_b32_e64 v116, v118, v116, s12
	;; [unrolled: 1-line block ×3, first 2 shown]
	v_lshl_add_u32 v118, 0x100000, v117, -1
	v_lshrrev_b32_e32 v119, v117, v116
	v_lshlrev_b32_e64 v41, v117, 0x80000
	v_add_nc_u32_e32 v117, v117, v15
	v_and_b32_e32 v116, v118, v116
	v_bfe_u32 v40, v119, 20, 1
	v_cmp_eq_u32_e64 s13, v116, v41
	v_add_nc_u32_e32 v118, -1, v40
	v_cndmask_b32_e64 v116, 0, v118, s13
	v_lshrrev_b32_e32 v118, 23, v119
	s_mov_b32 s13, exec_lo
	v_add_nc_u32_e32 v116, v116, v119
	v_xor_b32_e32 v118, 1, v118
	v_and_b32_e32 v15, 0xfffff, v116
	v_add_nc_u32_e32 v116, v15, v119
                                        ; implicit-def: $vgpr15
	v_cmpx_ne_u32_e64 v117, v118
	s_xor_b32 s13, exec_lo, s13
; %bb.1465:                             ;   in Loop: Header=BB2_1290 Depth=2
	v_cmp_lt_u32_e64 s12, 0xffffff, v116
	v_sub_nc_u32_e32 v15, v117, v118
	v_cndmask_b32_e64 v117, 0, 1, s12
	v_add_co_ci_u32_e64 v15, null, 0, v15, s12
	v_lshrrev_b32_e32 v116, v117, v116
; %bb.1466:                             ;   in Loop: Header=BB2_1290 Depth=2
	s_andn2_saveexec_b32 s12, s13
; %bb.1467:                             ;   in Loop: Header=BB2_1290 Depth=2
	v_bfe_u32 v15, v116, 23, 1
; %bb.1468:                             ;   in Loop: Header=BB2_1290 Depth=2
	s_or_b32 exec_lo, exec_lo, s12
	v_lshrrev_b32_e32 v116, 20, v116
	v_min_i32_e32 v117, 15, v15
	v_cmp_gt_i32_e64 s12, 16, v15
	v_and_b32_sdwa v115, v115, v86 dst_sel:DWORD dst_unused:UNUSED_PAD src0_sel:BYTE_3 src1_sel:DWORD
	v_lshlrev_b32_e32 v117, 3, v117
	v_cndmask_b32_e64 v116, 7, v116, s12
	v_and_b32_e32 v117, 0xf8, v117
	v_and_b32_e32 v118, 7, v116
	v_or_b32_e32 v15, v15, v116
	v_or3_b32 v115, v117, v115, v118
	v_cmp_ne_u32_e64 s12, 0, v15
	v_cndmask_b32_e64 v15, 0, v115, s12
.LBB2_1469:                             ;   in Loop: Header=BB2_1290 Depth=2
	s_or_b32 exec_lo, exec_lo, s28
.LBB2_1470:                             ;   in Loop: Header=BB2_1290 Depth=2
	s_or_b32 exec_lo, exec_lo, s27
	v_cmp_gt_i16_sdwa s13, v16, v85 src0_sel:BYTE_1 src1_sel:DWORD
	s_mov_b32 s12, 0
	s_and_saveexec_b32 s27, s13
	s_xor_b32 s13, exec_lo, s27
	s_cbranch_execz .LBB2_1644
; %bb.1471:                             ;   in Loop: Header=BB2_1290 Depth=2
	v_cmp_eq_u16_sdwa s28, v16, v86 src0_sel:BYTE_1 src1_sel:DWORD
	s_mov_b32 s12, -1
	s_and_saveexec_b32 s27, s28
; %bb.1472:                             ;   in Loop: Header=BB2_1290 Depth=2
	s_xor_b32 s12, exec_lo, -1
; %bb.1473:                             ;   in Loop: Header=BB2_1290 Depth=2
	s_or_b32 exec_lo, exec_lo, s27
	s_and_b32 s12, s12, exec_lo
	s_or_saveexec_b32 s13, s13
	v_mov_b32_e32 v115, 0x7f800001
	s_xor_b32 exec_lo, exec_lo, s13
	s_cbranch_execnz .LBB2_1645
.LBB2_1474:                             ;   in Loop: Header=BB2_1290 Depth=2
	s_or_b32 exec_lo, exec_lo, s13
	s_and_saveexec_b32 s13, s12
	s_cbranch_execz .LBB2_1476
.LBB2_1475:                             ;   in Loop: Header=BB2_1290 Depth=2
	v_and_b32_sdwa v115, v87, v16 dst_sel:DWORD dst_unused:UNUSED_PAD src0_sel:DWORD src1_sel:BYTE_1
	v_and_b32_e32 v116, 7, v115
	v_bfe_u32 v119, v115, 3, 4
	v_ffbh_u32_e32 v117, v116
	v_cmp_eq_u32_e64 s12, 0, v119
	v_min_u32_e32 v117, 32, v117
	v_subrev_nc_u32_e32 v118, 28, v117
	v_sub_nc_u32_e32 v117, 29, v117
	v_lshlrev_b32_e32 v115, v118, v115
	v_lshlrev_b32_sdwa v118, v96, v16 dst_sel:DWORD dst_unused:UNUSED_PAD src0_sel:DWORD src1_sel:BYTE_1
	v_cndmask_b32_e64 v117, v119, v117, s12
	v_and_b32_e32 v115, 7, v115
	v_lshl_add_u32 v117, v117, 23, 0x3b800000
	v_cndmask_b32_e64 v115, v116, v115, s12
	v_and_b32_e32 v116, 0x80000000, v118
	v_lshlrev_b32_e32 v115, 20, v115
	v_or3_b32 v115, v116, v117, v115
.LBB2_1476:                             ;   in Loop: Header=BB2_1290 Depth=2
	s_or_b32 exec_lo, exec_lo, s13
	v_cmp_gt_i16_sdwa s13, v12, v85 src0_sel:BYTE_1 src1_sel:DWORD
	s_mov_b32 s12, 0
	s_and_saveexec_b32 s27, s13
	s_xor_b32 s13, exec_lo, s27
	s_cbranch_execz .LBB2_1646
; %bb.1477:                             ;   in Loop: Header=BB2_1290 Depth=2
	v_cmp_eq_u16_sdwa s28, v12, v86 src0_sel:BYTE_1 src1_sel:DWORD
	s_mov_b32 s12, -1
	s_and_saveexec_b32 s27, s28
; %bb.1478:                             ;   in Loop: Header=BB2_1290 Depth=2
	s_xor_b32 s12, exec_lo, -1
; %bb.1479:                             ;   in Loop: Header=BB2_1290 Depth=2
	s_or_b32 exec_lo, exec_lo, s27
	s_and_b32 s12, s12, exec_lo
	s_or_saveexec_b32 s13, s13
	v_mov_b32_e32 v116, 0x7f800001
	s_xor_b32 exec_lo, exec_lo, s13
	s_cbranch_execnz .LBB2_1647
.LBB2_1480:                             ;   in Loop: Header=BB2_1290 Depth=2
	s_or_b32 exec_lo, exec_lo, s13
	s_and_saveexec_b32 s13, s12
	s_cbranch_execz .LBB2_1482
.LBB2_1481:                             ;   in Loop: Header=BB2_1290 Depth=2
	v_and_b32_sdwa v116, v87, v12 dst_sel:DWORD dst_unused:UNUSED_PAD src0_sel:DWORD src1_sel:BYTE_1
	v_and_b32_e32 v117, 7, v116
	v_bfe_u32 v40, v116, 3, 4
	v_ffbh_u32_e32 v118, v117
	v_cmp_eq_u32_e64 s12, 0, v40
	v_min_u32_e32 v118, 32, v118
	v_subrev_nc_u32_e32 v119, 28, v118
	v_sub_nc_u32_e32 v118, 29, v118
	v_lshlrev_b32_e32 v116, v119, v116
	v_lshlrev_b32_sdwa v119, v96, v12 dst_sel:DWORD dst_unused:UNUSED_PAD src0_sel:DWORD src1_sel:BYTE_1
	v_cndmask_b32_e64 v118, v40, v118, s12
	v_and_b32_e32 v116, 7, v116
	v_lshl_add_u32 v118, v118, 23, 0x3b800000
	v_cndmask_b32_e64 v116, v117, v116, s12
	v_and_b32_e32 v117, 0x80000000, v119
	v_lshlrev_b32_e32 v116, 20, v116
	v_or3_b32 v116, v117, v118, v116
.LBB2_1482:                             ;   in Loop: Header=BB2_1290 Depth=2
	s_or_b32 exec_lo, exec_lo, s13
	v_add_f32_e32 v116, v115, v116
	v_and_b32_e32 v115, 0x7f800000, v116
	v_cmp_ne_u32_e64 s12, 0x7f800000, v115
	v_mov_b32_e32 v115, 0x8000
	s_and_saveexec_b32 s27, s12
	s_cbranch_execz .LBB2_1490
; %bb.1483:                             ;   in Loop: Header=BB2_1290 Depth=2
	v_mov_b32_e32 v115, 0
	s_mov_b32 s28, exec_lo
	v_cmpx_ne_u32_e32 0, v116
	s_cbranch_execz .LBB2_1489
; %bb.1484:                             ;   in Loop: Header=BB2_1290 Depth=2
	v_bfe_u32 v115, v116, 23, 8
	v_and_b32_e32 v117, 0x7fffff, v116
	v_sub_nc_u32_e32 v118, 0x78, v115
	v_cmp_gt_u32_e64 s12, 0x79, v115
	v_or_b32_e32 v119, 0x800000, v117
	v_cndmask_b32_e64 v118, 0, v118, s12
	v_cmp_eq_u32_e64 s12, 0, v115
	v_add_nc_u32_e32 v115, 0xffffff89, v115
	v_cndmask_b32_e64 v118, v118, 0x77, s12
	v_cndmask_b32_e64 v117, v119, v117, s12
	;; [unrolled: 1-line block ×3, first 2 shown]
	v_lshl_add_u32 v119, 0x100000, v118, -1
	v_lshrrev_b32_e32 v40, v118, v117
	v_lshlrev_b32_e64 v42, v118, 0x80000
	v_add_nc_u32_e32 v118, v118, v115
	v_and_b32_e32 v117, v119, v117
	v_bfe_u32 v41, v40, 20, 1
	v_cmp_eq_u32_e64 s13, v117, v42
	v_add_nc_u32_e32 v119, -1, v41
	v_cndmask_b32_e64 v117, 0, v119, s13
	v_lshrrev_b32_e32 v119, 23, v40
	s_mov_b32 s13, exec_lo
	v_add_nc_u32_e32 v117, v117, v40
	v_xor_b32_e32 v119, 1, v119
	v_and_b32_e32 v115, 0xfffff, v117
	v_add_nc_u32_e32 v117, v115, v40
                                        ; implicit-def: $vgpr115
	v_cmpx_ne_u32_e64 v118, v119
	s_xor_b32 s13, exec_lo, s13
; %bb.1485:                             ;   in Loop: Header=BB2_1290 Depth=2
	v_cmp_lt_u32_e64 s12, 0xffffff, v117
	v_sub_nc_u32_e32 v115, v118, v119
	v_cndmask_b32_e64 v118, 0, 1, s12
	v_add_co_ci_u32_e64 v115, null, 0, v115, s12
	v_lshrrev_b32_e32 v117, v118, v117
; %bb.1486:                             ;   in Loop: Header=BB2_1290 Depth=2
	s_andn2_saveexec_b32 s12, s13
; %bb.1487:                             ;   in Loop: Header=BB2_1290 Depth=2
	v_bfe_u32 v115, v117, 23, 1
; %bb.1488:                             ;   in Loop: Header=BB2_1290 Depth=2
	s_or_b32 exec_lo, exec_lo, s12
	v_lshrrev_b32_e32 v117, 20, v117
	v_min_i32_e32 v118, 15, v115
	v_cmp_gt_i32_e64 s12, 16, v115
	v_and_b32_sdwa v116, v116, v86 dst_sel:DWORD dst_unused:UNUSED_PAD src0_sel:BYTE_3 src1_sel:DWORD
	v_lshlrev_b32_e32 v118, 3, v118
	v_cndmask_b32_e64 v117, 7, v117, s12
	v_and_b32_e32 v118, 0xf8, v118
	v_and_b32_e32 v119, 7, v117
	v_or_b32_e32 v115, v115, v117
	v_or3_b32 v116, v116, v118, v119
	v_cmp_ne_u32_e64 s12, 0, v115
	v_lshlrev_b32_e32 v116, 8, v116
	v_cndmask_b32_e64 v115, 0, v116, s12
.LBB2_1489:                             ;   in Loop: Header=BB2_1290 Depth=2
	s_or_b32 exec_lo, exec_lo, s28
.LBB2_1490:                             ;   in Loop: Header=BB2_1290 Depth=2
	s_or_b32 exec_lo, exec_lo, s27
	v_and_b32_sdwa v117, v16, v97 dst_sel:DWORD dst_unused:UNUSED_PAD src0_sel:WORD_1 src1_sel:DWORD
	s_mov_b32 s13, 0
	s_mov_b32 s27, exec_lo
	v_cmpx_lt_i16_e32 0x7f, v117
	s_xor_b32 s27, exec_lo, s27
	s_cbranch_execz .LBB2_1648
; %bb.1491:                             ;   in Loop: Header=BB2_1290 Depth=2
	s_mov_b32 s13, -1
	s_mov_b32 s28, exec_lo
	v_cmpx_eq_u16_e32 0x80, v117
; %bb.1492:                             ;   in Loop: Header=BB2_1290 Depth=2
	s_xor_b32 s13, exec_lo, -1
; %bb.1493:                             ;   in Loop: Header=BB2_1290 Depth=2
	s_or_b32 exec_lo, exec_lo, s28
	s_and_b32 s13, s13, exec_lo
                                        ; implicit-def: $vgpr117
	s_or_saveexec_b32 s27, s27
	v_mov_b32_e32 v116, 0x7f800001
	s_xor_b32 exec_lo, exec_lo, s27
	s_cbranch_execnz .LBB2_1649
.LBB2_1494:                             ;   in Loop: Header=BB2_1290 Depth=2
	s_or_b32 exec_lo, exec_lo, s27
	s_and_saveexec_b32 s27, s13
	s_cbranch_execz .LBB2_1496
.LBB2_1495:                             ;   in Loop: Header=BB2_1290 Depth=2
	v_bfe_u32 v116, v16, 16, 3
	v_bfe_u32 v119, v16, 19, 4
	v_lshlrev_b32_e32 v40, 8, v16
	v_ffbh_u32_e32 v117, v116
	v_cmp_eq_u32_e64 s12, 0, v119
	v_min_u32_e32 v117, 32, v117
	v_subrev_nc_u32_e32 v118, 28, v117
	v_sub_nc_u32_e32 v117, 29, v117
	v_lshlrev_b32_sdwa v118, v118, v16 dst_sel:DWORD dst_unused:UNUSED_PAD src0_sel:DWORD src1_sel:WORD_1
	v_cndmask_b32_e64 v117, v119, v117, s12
	v_and_b32_e32 v118, 7, v118
	v_lshl_add_u32 v117, v117, 23, 0x3b800000
	v_cndmask_b32_e64 v116, v116, v118, s12
	v_and_b32_e32 v118, 0x80000000, v40
	v_lshlrev_b32_e32 v116, 20, v116
	v_or3_b32 v116, v118, v117, v116
.LBB2_1496:                             ;   in Loop: Header=BB2_1290 Depth=2
	s_or_b32 exec_lo, exec_lo, s27
	v_and_b32_sdwa v118, v12, v97 dst_sel:DWORD dst_unused:UNUSED_PAD src0_sel:WORD_1 src1_sel:DWORD
	s_mov_b32 s13, 0
	s_mov_b32 s27, exec_lo
	v_cmpx_lt_i16_e32 0x7f, v118
	s_xor_b32 s27, exec_lo, s27
	s_cbranch_execz .LBB2_1650
; %bb.1497:                             ;   in Loop: Header=BB2_1290 Depth=2
	s_mov_b32 s13, -1
	s_mov_b32 s28, exec_lo
	v_cmpx_eq_u16_e32 0x80, v118
; %bb.1498:                             ;   in Loop: Header=BB2_1290 Depth=2
	s_xor_b32 s13, exec_lo, -1
; %bb.1499:                             ;   in Loop: Header=BB2_1290 Depth=2
	s_or_b32 exec_lo, exec_lo, s28
	s_and_b32 s13, s13, exec_lo
                                        ; implicit-def: $vgpr118
	s_or_saveexec_b32 s27, s27
	v_mov_b32_e32 v117, 0x7f800001
	s_xor_b32 exec_lo, exec_lo, s27
	s_cbranch_execnz .LBB2_1651
.LBB2_1500:                             ;   in Loop: Header=BB2_1290 Depth=2
	s_or_b32 exec_lo, exec_lo, s27
	s_and_saveexec_b32 s27, s13
	s_cbranch_execz .LBB2_1502
.LBB2_1501:                             ;   in Loop: Header=BB2_1290 Depth=2
	v_and_b32_sdwa v117, v12, v98 dst_sel:DWORD dst_unused:UNUSED_PAD src0_sel:WORD_1 src1_sel:DWORD
	v_bfe_u32 v40, v12, 19, 4
	v_lshlrev_b32_sdwa v41, v96, v12 dst_sel:DWORD dst_unused:UNUSED_PAD src0_sel:DWORD src1_sel:WORD_1
	v_ffbh_u32_e32 v118, v117
	v_cmp_eq_u32_e64 s12, 0, v40
	v_min_u32_e32 v118, 32, v118
	v_subrev_nc_u32_e32 v119, 28, v118
	v_sub_nc_u32_e32 v118, 29, v118
	v_lshlrev_b32_sdwa v119, v119, v12 dst_sel:DWORD dst_unused:UNUSED_PAD src0_sel:DWORD src1_sel:WORD_1
	v_cndmask_b32_e64 v118, v40, v118, s12
	v_and_b32_e32 v119, 7, v119
	v_lshl_add_u32 v118, v118, 23, 0x3b800000
	v_cndmask_b32_e64 v117, v117, v119, s12
	v_and_b32_e32 v119, 0x80000000, v41
	v_lshlrev_b32_e32 v117, 20, v117
	v_or3_b32 v117, v119, v118, v117
.LBB2_1502:                             ;   in Loop: Header=BB2_1290 Depth=2
	s_or_b32 exec_lo, exec_lo, s27
	v_add_f32_e32 v117, v116, v117
	v_and_b32_e32 v116, 0x7f800000, v117
	v_cmp_ne_u32_e64 s12, 0x7f800000, v116
	v_mov_b32_e32 v116, 0x80
	s_and_saveexec_b32 s27, s12
	s_cbranch_execz .LBB2_1510
; %bb.1503:                             ;   in Loop: Header=BB2_1290 Depth=2
	v_mov_b32_e32 v116, 0
	s_mov_b32 s28, exec_lo
	v_cmpx_ne_u32_e32 0, v117
	s_cbranch_execz .LBB2_1509
; %bb.1504:                             ;   in Loop: Header=BB2_1290 Depth=2
	v_bfe_u32 v116, v117, 23, 8
	v_and_b32_e32 v118, 0x7fffff, v117
	v_sub_nc_u32_e32 v119, 0x78, v116
	v_cmp_gt_u32_e64 s12, 0x79, v116
	v_or_b32_e32 v40, 0x800000, v118
	v_cndmask_b32_e64 v119, 0, v119, s12
	v_cmp_eq_u32_e64 s12, 0, v116
	v_add_nc_u32_e32 v116, 0xffffff89, v116
	v_cndmask_b32_e64 v119, v119, 0x77, s12
	v_cndmask_b32_e64 v118, v40, v118, s12
	;; [unrolled: 1-line block ×3, first 2 shown]
	v_lshl_add_u32 v40, 0x100000, v119, -1
	v_lshrrev_b32_e32 v41, v119, v118
	v_lshlrev_b32_e64 v43, v119, 0x80000
	v_add_nc_u32_e32 v119, v119, v116
	v_and_b32_e32 v118, v40, v118
	v_bfe_u32 v42, v41, 20, 1
	v_cmp_eq_u32_e64 s13, v118, v43
	v_add_nc_u32_e32 v40, -1, v42
	v_cndmask_b32_e64 v118, 0, v40, s13
	v_lshrrev_b32_e32 v40, 23, v41
	s_mov_b32 s13, exec_lo
	v_add_nc_u32_e32 v118, v118, v41
	v_xor_b32_e32 v40, 1, v40
	v_and_b32_e32 v116, 0xfffff, v118
	v_add_nc_u32_e32 v118, v116, v41
                                        ; implicit-def: $vgpr116
	v_cmpx_ne_u32_e64 v119, v40
	s_xor_b32 s13, exec_lo, s13
; %bb.1505:                             ;   in Loop: Header=BB2_1290 Depth=2
	v_cmp_lt_u32_e64 s12, 0xffffff, v118
	v_sub_nc_u32_e32 v116, v119, v40
	v_cndmask_b32_e64 v119, 0, 1, s12
	v_add_co_ci_u32_e64 v116, null, 0, v116, s12
	v_lshrrev_b32_e32 v118, v119, v118
; %bb.1506:                             ;   in Loop: Header=BB2_1290 Depth=2
	s_andn2_saveexec_b32 s12, s13
; %bb.1507:                             ;   in Loop: Header=BB2_1290 Depth=2
	v_bfe_u32 v116, v118, 23, 1
; %bb.1508:                             ;   in Loop: Header=BB2_1290 Depth=2
	s_or_b32 exec_lo, exec_lo, s12
	v_lshrrev_b32_e32 v118, 20, v118
	v_min_i32_e32 v119, 15, v116
	v_cmp_gt_i32_e64 s12, 16, v116
	v_and_b32_sdwa v117, v117, v86 dst_sel:DWORD dst_unused:UNUSED_PAD src0_sel:BYTE_3 src1_sel:DWORD
	v_lshlrev_b32_e32 v119, 3, v119
	v_cndmask_b32_e64 v118, 7, v118, s12
	v_and_b32_e32 v119, 0xf8, v119
	v_and_b32_e32 v40, 7, v118
	v_or_b32_e32 v116, v116, v118
	v_or3_b32 v117, v119, v117, v40
	v_cmp_ne_u32_e64 s12, 0, v116
	v_cndmask_b32_e64 v116, 0, v117, s12
.LBB2_1509:                             ;   in Loop: Header=BB2_1290 Depth=2
	s_or_b32 exec_lo, exec_lo, s28
.LBB2_1510:                             ;   in Loop: Header=BB2_1290 Depth=2
	s_or_b32 exec_lo, exec_lo, s27
	v_cmp_gt_i16_sdwa s13, v16, v85 src0_sel:BYTE_3 src1_sel:DWORD
	s_mov_b32 s12, 0
	s_and_saveexec_b32 s27, s13
	s_xor_b32 s13, exec_lo, s27
	s_cbranch_execz .LBB2_1652
; %bb.1511:                             ;   in Loop: Header=BB2_1290 Depth=2
	v_cmp_eq_u16_sdwa s28, v16, v86 src0_sel:BYTE_3 src1_sel:DWORD
	s_mov_b32 s12, -1
	s_and_saveexec_b32 s27, s28
; %bb.1512:                             ;   in Loop: Header=BB2_1290 Depth=2
	s_xor_b32 s12, exec_lo, -1
; %bb.1513:                             ;   in Loop: Header=BB2_1290 Depth=2
	s_or_b32 exec_lo, exec_lo, s27
	s_and_b32 s12, s12, exec_lo
	s_or_saveexec_b32 s13, s13
	v_mov_b32_e32 v117, 0x7f800001
	s_xor_b32 exec_lo, exec_lo, s13
	s_cbranch_execnz .LBB2_1653
.LBB2_1514:                             ;   in Loop: Header=BB2_1290 Depth=2
	s_or_b32 exec_lo, exec_lo, s13
	s_and_saveexec_b32 s13, s12
	s_cbranch_execz .LBB2_1516
.LBB2_1515:                             ;   in Loop: Header=BB2_1290 Depth=2
	v_bfe_u32 v117, v16, 24, 3
	v_bfe_u32 v40, v16, 27, 4
	v_ffbh_u32_e32 v118, v117
	v_cmp_eq_u32_e64 s12, 0, v40
	v_min_u32_e32 v118, 32, v118
	v_subrev_nc_u32_e32 v119, 28, v118
	v_sub_nc_u32_e32 v118, 29, v118
	v_lshlrev_b32_sdwa v119, v119, v16 dst_sel:DWORD dst_unused:UNUSED_PAD src0_sel:DWORD src1_sel:BYTE_3
	v_cndmask_b32_e64 v118, v40, v118, s12
	v_and_b32_e32 v16, 0x80000000, v16
	v_and_b32_e32 v119, 7, v119
	v_lshl_add_u32 v118, v118, 23, 0x3b800000
	v_cndmask_b32_e64 v117, v117, v119, s12
	v_lshlrev_b32_e32 v117, 20, v117
	v_or3_b32 v117, v16, v118, v117
.LBB2_1516:                             ;   in Loop: Header=BB2_1290 Depth=2
	s_or_b32 exec_lo, exec_lo, s13
	v_cmp_gt_i16_sdwa s13, v12, v85 src0_sel:BYTE_3 src1_sel:DWORD
	s_mov_b32 s12, 0
	s_and_saveexec_b32 s27, s13
	s_xor_b32 s13, exec_lo, s27
	s_cbranch_execz .LBB2_1654
; %bb.1517:                             ;   in Loop: Header=BB2_1290 Depth=2
	v_cmp_eq_u16_sdwa s28, v12, v86 src0_sel:BYTE_3 src1_sel:DWORD
	s_mov_b32 s12, -1
	s_and_saveexec_b32 s27, s28
; %bb.1518:                             ;   in Loop: Header=BB2_1290 Depth=2
	s_xor_b32 s12, exec_lo, -1
; %bb.1519:                             ;   in Loop: Header=BB2_1290 Depth=2
	s_or_b32 exec_lo, exec_lo, s27
	s_and_b32 s12, s12, exec_lo
	s_or_saveexec_b32 s13, s13
	v_mov_b32_e32 v16, 0x7f800001
	s_xor_b32 exec_lo, exec_lo, s13
	s_cbranch_execnz .LBB2_1655
.LBB2_1520:                             ;   in Loop: Header=BB2_1290 Depth=2
	s_or_b32 exec_lo, exec_lo, s13
	s_and_saveexec_b32 s13, s12
	s_cbranch_execz .LBB2_1522
.LBB2_1521:                             ;   in Loop: Header=BB2_1290 Depth=2
	v_and_b32_sdwa v16, v12, v98 dst_sel:DWORD dst_unused:UNUSED_PAD src0_sel:BYTE_3 src1_sel:DWORD
	v_bfe_u32 v40, v12, 27, 4
	v_ffbh_u32_e32 v118, v16
	v_cmp_eq_u32_e64 s12, 0, v40
	v_min_u32_e32 v118, 32, v118
	v_subrev_nc_u32_e32 v119, 28, v118
	v_sub_nc_u32_e32 v118, 29, v118
	v_lshlrev_b32_sdwa v119, v119, v12 dst_sel:DWORD dst_unused:UNUSED_PAD src0_sel:DWORD src1_sel:BYTE_3
	v_cndmask_b32_e64 v118, v40, v118, s12
	v_and_b32_e32 v12, 0x80000000, v12
	v_and_b32_e32 v119, 7, v119
	v_lshl_add_u32 v118, v118, 23, 0x3b800000
	v_cndmask_b32_e64 v16, v16, v119, s12
	v_lshlrev_b32_e32 v16, 20, v16
	v_or3_b32 v16, v12, v118, v16
.LBB2_1522:                             ;   in Loop: Header=BB2_1290 Depth=2
	s_or_b32 exec_lo, exec_lo, s13
	v_add_f32_e32 v16, v117, v16
	v_and_b32_e32 v12, 0x7f800000, v16
	v_cmp_ne_u32_e64 s12, 0x7f800000, v12
	v_mov_b32_e32 v12, 0x8000
	s_and_saveexec_b32 s27, s12
	s_cbranch_execz .LBB2_1530
; %bb.1523:                             ;   in Loop: Header=BB2_1290 Depth=2
	v_mov_b32_e32 v12, 0
	s_mov_b32 s28, exec_lo
	v_cmpx_ne_u32_e32 0, v16
	s_cbranch_execz .LBB2_1529
; %bb.1524:                             ;   in Loop: Header=BB2_1290 Depth=2
	v_bfe_u32 v12, v16, 23, 8
	v_and_b32_e32 v117, 0x7fffff, v16
	v_sub_nc_u32_e32 v118, 0x78, v12
	v_cmp_gt_u32_e64 s12, 0x79, v12
	v_or_b32_e32 v119, 0x800000, v117
	v_cndmask_b32_e64 v118, 0, v118, s12
	v_cmp_eq_u32_e64 s12, 0, v12
	v_add_nc_u32_e32 v12, 0xffffff89, v12
	v_cndmask_b32_e64 v118, v118, 0x77, s12
	v_cndmask_b32_e64 v117, v119, v117, s12
	;; [unrolled: 1-line block ×3, first 2 shown]
	v_lshl_add_u32 v119, 0x100000, v118, -1
	v_lshrrev_b32_e32 v40, v118, v117
	v_lshlrev_b32_e64 v42, v118, 0x80000
	v_add_nc_u32_e32 v118, v118, v12
	v_and_b32_e32 v117, v119, v117
	v_bfe_u32 v41, v40, 20, 1
	v_cmp_eq_u32_e64 s13, v117, v42
	v_add_nc_u32_e32 v119, -1, v41
	v_cndmask_b32_e64 v117, 0, v119, s13
	v_lshrrev_b32_e32 v119, 23, v40
	s_mov_b32 s13, exec_lo
	v_add_nc_u32_e32 v117, v117, v40
	v_xor_b32_e32 v119, 1, v119
	v_and_b32_e32 v12, 0xfffff, v117
	v_add_nc_u32_e32 v117, v12, v40
                                        ; implicit-def: $vgpr12
	v_cmpx_ne_u32_e64 v118, v119
	s_xor_b32 s13, exec_lo, s13
; %bb.1525:                             ;   in Loop: Header=BB2_1290 Depth=2
	v_cmp_lt_u32_e64 s12, 0xffffff, v117
	v_sub_nc_u32_e32 v12, v118, v119
	v_cndmask_b32_e64 v118, 0, 1, s12
	v_add_co_ci_u32_e64 v12, null, 0, v12, s12
	v_lshrrev_b32_e32 v117, v118, v117
; %bb.1526:                             ;   in Loop: Header=BB2_1290 Depth=2
	s_andn2_saveexec_b32 s12, s13
; %bb.1527:                             ;   in Loop: Header=BB2_1290 Depth=2
	v_bfe_u32 v12, v117, 23, 1
; %bb.1528:                             ;   in Loop: Header=BB2_1290 Depth=2
	s_or_b32 exec_lo, exec_lo, s12
	v_lshrrev_b32_e32 v117, 20, v117
	v_min_i32_e32 v118, 15, v12
	v_cmp_gt_i32_e64 s12, 16, v12
	v_and_b32_sdwa v16, v16, v86 dst_sel:DWORD dst_unused:UNUSED_PAD src0_sel:BYTE_3 src1_sel:DWORD
	v_lshlrev_b32_e32 v118, 3, v118
	v_cndmask_b32_e64 v117, 7, v117, s12
	v_and_b32_e32 v118, 0xf8, v118
	v_and_b32_e32 v119, 7, v117
	v_or_b32_e32 v12, v12, v117
	v_or3_b32 v16, v16, v118, v119
	v_cmp_ne_u32_e64 s12, 0, v12
	v_lshlrev_b32_e32 v16, 8, v16
	v_cndmask_b32_e64 v12, 0, v16, s12
.LBB2_1529:                             ;   in Loop: Header=BB2_1290 Depth=2
	s_or_b32 exec_lo, exec_lo, s28
.LBB2_1530:                             ;   in Loop: Header=BB2_1290 Depth=2
	s_or_b32 exec_lo, exec_lo, s27
	v_cmp_gt_i16_sdwa s13, v17, v85 src0_sel:BYTE_0 src1_sel:DWORD
	s_mov_b32 s12, 0
	s_and_saveexec_b32 s27, s13
	s_xor_b32 s13, exec_lo, s27
	s_cbranch_execz .LBB2_1656
; %bb.1531:                             ;   in Loop: Header=BB2_1290 Depth=2
	v_cmp_eq_u16_sdwa s28, v17, v86 src0_sel:BYTE_0 src1_sel:DWORD
	s_mov_b32 s12, -1
	s_and_saveexec_b32 s27, s28
; %bb.1532:                             ;   in Loop: Header=BB2_1290 Depth=2
	s_xor_b32 s12, exec_lo, -1
; %bb.1533:                             ;   in Loop: Header=BB2_1290 Depth=2
	s_or_b32 exec_lo, exec_lo, s27
	s_and_b32 s12, s12, exec_lo
	s_or_saveexec_b32 s13, s13
	v_mov_b32_e32 v16, 0x7f800001
	s_xor_b32 exec_lo, exec_lo, s13
	s_cbranch_execnz .LBB2_1657
.LBB2_1534:                             ;   in Loop: Header=BB2_1290 Depth=2
	s_or_b32 exec_lo, exec_lo, s13
	s_and_saveexec_b32 s13, s12
	s_cbranch_execz .LBB2_1536
.LBB2_1535:                             ;   in Loop: Header=BB2_1290 Depth=2
	v_and_b32_e32 v16, 7, v17
	v_bfe_u32 v119, v17, 3, 4
	v_lshlrev_b32_e32 v40, 24, v17
	v_ffbh_u32_e32 v117, v16
	v_cmp_eq_u32_e64 s12, 0, v119
	v_min_u32_e32 v117, 32, v117
	v_subrev_nc_u32_e32 v118, 28, v117
	v_sub_nc_u32_e32 v117, 29, v117
	v_lshlrev_b32_e32 v118, v118, v17
	v_cndmask_b32_e64 v117, v119, v117, s12
	v_and_b32_e32 v118, 7, v118
	v_lshl_add_u32 v117, v117, 23, 0x3b800000
	v_cndmask_b32_e64 v16, v16, v118, s12
	v_and_b32_e32 v118, 0x80000000, v40
	v_lshlrev_b32_e32 v16, 20, v16
	v_or3_b32 v16, v118, v117, v16
.LBB2_1536:                             ;   in Loop: Header=BB2_1290 Depth=2
	s_or_b32 exec_lo, exec_lo, s13
	v_cmp_gt_i16_sdwa s13, v13, v85 src0_sel:BYTE_0 src1_sel:DWORD
	s_mov_b32 s12, 0
	s_and_saveexec_b32 s27, s13
	s_xor_b32 s13, exec_lo, s27
	s_cbranch_execz .LBB2_1658
; %bb.1537:                             ;   in Loop: Header=BB2_1290 Depth=2
	v_cmp_eq_u16_sdwa s28, v13, v86 src0_sel:BYTE_0 src1_sel:DWORD
	s_mov_b32 s12, -1
	s_and_saveexec_b32 s27, s28
; %bb.1538:                             ;   in Loop: Header=BB2_1290 Depth=2
	s_xor_b32 s12, exec_lo, -1
; %bb.1539:                             ;   in Loop: Header=BB2_1290 Depth=2
	s_or_b32 exec_lo, exec_lo, s27
	s_and_b32 s12, s12, exec_lo
	s_or_saveexec_b32 s13, s13
	v_mov_b32_e32 v117, 0x7f800001
	s_xor_b32 exec_lo, exec_lo, s13
	s_cbranch_execnz .LBB2_1659
.LBB2_1540:                             ;   in Loop: Header=BB2_1290 Depth=2
	s_or_b32 exec_lo, exec_lo, s13
	s_and_saveexec_b32 s13, s12
	s_cbranch_execz .LBB2_1542
.LBB2_1541:                             ;   in Loop: Header=BB2_1290 Depth=2
	v_and_b32_e32 v117, 7, v13
	v_bfe_u32 v40, v13, 3, 4
	v_lshlrev_b32_e32 v41, 24, v13
	v_ffbh_u32_e32 v118, v117
	v_cmp_eq_u32_e64 s12, 0, v40
	v_min_u32_e32 v118, 32, v118
	v_subrev_nc_u32_e32 v119, 28, v118
	v_sub_nc_u32_e32 v118, 29, v118
	v_lshlrev_b32_e32 v119, v119, v13
	v_cndmask_b32_e64 v118, v40, v118, s12
	v_and_b32_e32 v119, 7, v119
	v_lshl_add_u32 v118, v118, 23, 0x3b800000
	v_cndmask_b32_e64 v117, v117, v119, s12
	v_and_b32_e32 v119, 0x80000000, v41
	v_lshlrev_b32_e32 v117, 20, v117
	v_or3_b32 v117, v119, v118, v117
.LBB2_1542:                             ;   in Loop: Header=BB2_1290 Depth=2
	s_or_b32 exec_lo, exec_lo, s13
	v_add_f32_e32 v117, v16, v117
	v_and_b32_e32 v16, 0x7f800000, v117
	v_cmp_ne_u32_e64 s12, 0x7f800000, v16
	v_mov_b32_e32 v16, 0x80
	s_and_saveexec_b32 s27, s12
	s_cbranch_execz .LBB2_1550
; %bb.1543:                             ;   in Loop: Header=BB2_1290 Depth=2
	v_mov_b32_e32 v16, 0
	s_mov_b32 s28, exec_lo
	v_cmpx_ne_u32_e32 0, v117
	s_cbranch_execz .LBB2_1549
; %bb.1544:                             ;   in Loop: Header=BB2_1290 Depth=2
	v_bfe_u32 v16, v117, 23, 8
	v_and_b32_e32 v118, 0x7fffff, v117
	v_sub_nc_u32_e32 v119, 0x78, v16
	v_cmp_gt_u32_e64 s12, 0x79, v16
	v_or_b32_e32 v40, 0x800000, v118
	v_cndmask_b32_e64 v119, 0, v119, s12
	v_cmp_eq_u32_e64 s12, 0, v16
	v_add_nc_u32_e32 v16, 0xffffff89, v16
	v_cndmask_b32_e64 v119, v119, 0x77, s12
	v_cndmask_b32_e64 v118, v40, v118, s12
	;; [unrolled: 1-line block ×3, first 2 shown]
	v_lshl_add_u32 v40, 0x100000, v119, -1
	v_lshrrev_b32_e32 v41, v119, v118
	v_lshlrev_b32_e64 v43, v119, 0x80000
	v_add_nc_u32_e32 v119, v119, v16
	v_and_b32_e32 v118, v40, v118
	v_bfe_u32 v42, v41, 20, 1
	v_cmp_eq_u32_e64 s13, v118, v43
	v_add_nc_u32_e32 v40, -1, v42
	v_cndmask_b32_e64 v118, 0, v40, s13
	v_lshrrev_b32_e32 v40, 23, v41
	s_mov_b32 s13, exec_lo
	v_add_nc_u32_e32 v118, v118, v41
	v_xor_b32_e32 v40, 1, v40
	v_and_b32_e32 v16, 0xfffff, v118
	v_add_nc_u32_e32 v118, v16, v41
                                        ; implicit-def: $vgpr16
	v_cmpx_ne_u32_e64 v119, v40
	s_xor_b32 s13, exec_lo, s13
; %bb.1545:                             ;   in Loop: Header=BB2_1290 Depth=2
	v_cmp_lt_u32_e64 s12, 0xffffff, v118
	v_sub_nc_u32_e32 v16, v119, v40
	v_cndmask_b32_e64 v119, 0, 1, s12
	v_add_co_ci_u32_e64 v16, null, 0, v16, s12
	v_lshrrev_b32_e32 v118, v119, v118
; %bb.1546:                             ;   in Loop: Header=BB2_1290 Depth=2
	s_andn2_saveexec_b32 s12, s13
; %bb.1547:                             ;   in Loop: Header=BB2_1290 Depth=2
	v_bfe_u32 v16, v118, 23, 1
; %bb.1548:                             ;   in Loop: Header=BB2_1290 Depth=2
	s_or_b32 exec_lo, exec_lo, s12
	v_lshrrev_b32_e32 v118, 20, v118
	v_min_i32_e32 v119, 15, v16
	v_cmp_gt_i32_e64 s12, 16, v16
	v_and_b32_sdwa v117, v117, v86 dst_sel:DWORD dst_unused:UNUSED_PAD src0_sel:BYTE_3 src1_sel:DWORD
	v_lshlrev_b32_e32 v119, 3, v119
	v_cndmask_b32_e64 v118, 7, v118, s12
	v_and_b32_e32 v119, 0xf8, v119
	v_and_b32_e32 v40, 7, v118
	v_or_b32_e32 v16, v16, v118
	v_or3_b32 v117, v119, v117, v40
	v_cmp_ne_u32_e64 s12, 0, v16
	v_cndmask_b32_e64 v16, 0, v117, s12
.LBB2_1549:                             ;   in Loop: Header=BB2_1290 Depth=2
	s_or_b32 exec_lo, exec_lo, s28
.LBB2_1550:                             ;   in Loop: Header=BB2_1290 Depth=2
	s_or_b32 exec_lo, exec_lo, s27
	v_cmp_gt_i16_sdwa s13, v17, v85 src0_sel:BYTE_1 src1_sel:DWORD
	s_mov_b32 s12, 0
	s_and_saveexec_b32 s27, s13
	s_xor_b32 s13, exec_lo, s27
	s_cbranch_execz .LBB2_1660
; %bb.1551:                             ;   in Loop: Header=BB2_1290 Depth=2
	v_cmp_eq_u16_sdwa s28, v17, v86 src0_sel:BYTE_1 src1_sel:DWORD
	s_mov_b32 s12, -1
	s_and_saveexec_b32 s27, s28
; %bb.1552:                             ;   in Loop: Header=BB2_1290 Depth=2
	s_xor_b32 s12, exec_lo, -1
; %bb.1553:                             ;   in Loop: Header=BB2_1290 Depth=2
	s_or_b32 exec_lo, exec_lo, s27
	s_and_b32 s12, s12, exec_lo
	s_or_saveexec_b32 s13, s13
	v_mov_b32_e32 v117, 0x7f800001
	s_xor_b32 exec_lo, exec_lo, s13
	s_cbranch_execnz .LBB2_1661
.LBB2_1554:                             ;   in Loop: Header=BB2_1290 Depth=2
	s_or_b32 exec_lo, exec_lo, s13
	s_and_saveexec_b32 s13, s12
	s_cbranch_execz .LBB2_1556
.LBB2_1555:                             ;   in Loop: Header=BB2_1290 Depth=2
	v_and_b32_sdwa v117, v87, v17 dst_sel:DWORD dst_unused:UNUSED_PAD src0_sel:DWORD src1_sel:BYTE_1
	v_and_b32_e32 v118, 7, v117
	v_bfe_u32 v41, v117, 3, 4
	v_ffbh_u32_e32 v119, v118
	v_cmp_eq_u32_e64 s12, 0, v41
	v_min_u32_e32 v119, 32, v119
	v_subrev_nc_u32_e32 v40, 28, v119
	v_sub_nc_u32_e32 v119, 29, v119
	v_lshlrev_b32_e32 v117, v40, v117
	v_lshlrev_b32_sdwa v40, v96, v17 dst_sel:DWORD dst_unused:UNUSED_PAD src0_sel:DWORD src1_sel:BYTE_1
	v_cndmask_b32_e64 v119, v41, v119, s12
	v_and_b32_e32 v117, 7, v117
	v_lshl_add_u32 v119, v119, 23, 0x3b800000
	v_cndmask_b32_e64 v117, v118, v117, s12
	v_and_b32_e32 v118, 0x80000000, v40
	v_lshlrev_b32_e32 v117, 20, v117
	v_or3_b32 v117, v118, v119, v117
.LBB2_1556:                             ;   in Loop: Header=BB2_1290 Depth=2
	s_or_b32 exec_lo, exec_lo, s13
	v_cmp_gt_i16_sdwa s13, v13, v85 src0_sel:BYTE_1 src1_sel:DWORD
	s_mov_b32 s12, 0
	s_and_saveexec_b32 s27, s13
	s_xor_b32 s13, exec_lo, s27
	s_cbranch_execz .LBB2_1662
; %bb.1557:                             ;   in Loop: Header=BB2_1290 Depth=2
	v_cmp_eq_u16_sdwa s28, v13, v86 src0_sel:BYTE_1 src1_sel:DWORD
	s_mov_b32 s12, -1
	s_and_saveexec_b32 s27, s28
; %bb.1558:                             ;   in Loop: Header=BB2_1290 Depth=2
	s_xor_b32 s12, exec_lo, -1
; %bb.1559:                             ;   in Loop: Header=BB2_1290 Depth=2
	s_or_b32 exec_lo, exec_lo, s27
	s_and_b32 s12, s12, exec_lo
	s_or_saveexec_b32 s13, s13
	v_mov_b32_e32 v118, 0x7f800001
	s_xor_b32 exec_lo, exec_lo, s13
	s_cbranch_execnz .LBB2_1663
.LBB2_1560:                             ;   in Loop: Header=BB2_1290 Depth=2
	s_or_b32 exec_lo, exec_lo, s13
	s_and_saveexec_b32 s13, s12
	s_cbranch_execz .LBB2_1562
.LBB2_1561:                             ;   in Loop: Header=BB2_1290 Depth=2
	v_and_b32_sdwa v118, v87, v13 dst_sel:DWORD dst_unused:UNUSED_PAD src0_sel:DWORD src1_sel:BYTE_1
	v_and_b32_e32 v119, 7, v118
	v_bfe_u32 v42, v118, 3, 4
	v_ffbh_u32_e32 v40, v119
	v_cmp_eq_u32_e64 s12, 0, v42
	v_min_u32_e32 v40, 32, v40
	v_subrev_nc_u32_e32 v41, 28, v40
	v_sub_nc_u32_e32 v40, 29, v40
	v_lshlrev_b32_e32 v118, v41, v118
	v_lshlrev_b32_sdwa v41, v96, v13 dst_sel:DWORD dst_unused:UNUSED_PAD src0_sel:DWORD src1_sel:BYTE_1
	v_cndmask_b32_e64 v40, v42, v40, s12
	v_and_b32_e32 v118, 7, v118
	v_lshl_add_u32 v40, v40, 23, 0x3b800000
	v_cndmask_b32_e64 v118, v119, v118, s12
	v_and_b32_e32 v119, 0x80000000, v41
	v_lshlrev_b32_e32 v118, 20, v118
	v_or3_b32 v118, v119, v40, v118
.LBB2_1562:                             ;   in Loop: Header=BB2_1290 Depth=2
	s_or_b32 exec_lo, exec_lo, s13
	v_add_f32_e32 v118, v117, v118
	v_and_b32_e32 v117, 0x7f800000, v118
	v_cmp_ne_u32_e64 s12, 0x7f800000, v117
	v_mov_b32_e32 v117, 0x8000
	s_and_saveexec_b32 s27, s12
	s_cbranch_execz .LBB2_1570
; %bb.1563:                             ;   in Loop: Header=BB2_1290 Depth=2
	v_mov_b32_e32 v117, 0
	s_mov_b32 s28, exec_lo
	v_cmpx_ne_u32_e32 0, v118
	s_cbranch_execz .LBB2_1569
; %bb.1564:                             ;   in Loop: Header=BB2_1290 Depth=2
	v_bfe_u32 v117, v118, 23, 8
	v_and_b32_e32 v119, 0x7fffff, v118
	v_sub_nc_u32_e32 v40, 0x78, v117
	v_cmp_gt_u32_e64 s12, 0x79, v117
	v_or_b32_e32 v41, 0x800000, v119
	v_cndmask_b32_e64 v40, 0, v40, s12
	v_cmp_eq_u32_e64 s12, 0, v117
	v_add_nc_u32_e32 v117, 0xffffff89, v117
	v_cndmask_b32_e64 v40, v40, 0x77, s12
	v_cndmask_b32_e64 v119, v41, v119, s12
	;; [unrolled: 1-line block ×3, first 2 shown]
	v_lshl_add_u32 v41, 0x100000, v40, -1
	v_lshrrev_b32_e32 v42, v40, v119
	v_lshlrev_b32_e64 v44, v40, 0x80000
	v_add_nc_u32_e32 v40, v40, v117
	v_and_b32_e32 v119, v41, v119
	v_bfe_u32 v43, v42, 20, 1
	v_cmp_eq_u32_e64 s13, v119, v44
	v_add_nc_u32_e32 v41, -1, v43
	v_cndmask_b32_e64 v119, 0, v41, s13
	v_lshrrev_b32_e32 v41, 23, v42
	s_mov_b32 s13, exec_lo
	v_add_nc_u32_e32 v119, v119, v42
	v_xor_b32_e32 v41, 1, v41
	v_and_b32_e32 v117, 0xfffff, v119
	v_add_nc_u32_e32 v119, v117, v42
                                        ; implicit-def: $vgpr117
	v_cmpx_ne_u32_e64 v40, v41
	s_xor_b32 s13, exec_lo, s13
; %bb.1565:                             ;   in Loop: Header=BB2_1290 Depth=2
	v_cmp_lt_u32_e64 s12, 0xffffff, v119
	v_sub_nc_u32_e32 v117, v40, v41
	v_cndmask_b32_e64 v40, 0, 1, s12
	v_add_co_ci_u32_e64 v117, null, 0, v117, s12
	v_lshrrev_b32_e32 v119, v40, v119
; %bb.1566:                             ;   in Loop: Header=BB2_1290 Depth=2
	s_andn2_saveexec_b32 s12, s13
; %bb.1567:                             ;   in Loop: Header=BB2_1290 Depth=2
	v_bfe_u32 v117, v119, 23, 1
; %bb.1568:                             ;   in Loop: Header=BB2_1290 Depth=2
	s_or_b32 exec_lo, exec_lo, s12
	v_lshrrev_b32_e32 v119, 20, v119
	v_min_i32_e32 v40, 15, v117
	v_cmp_gt_i32_e64 s12, 16, v117
	v_and_b32_sdwa v118, v118, v86 dst_sel:DWORD dst_unused:UNUSED_PAD src0_sel:BYTE_3 src1_sel:DWORD
	v_lshlrev_b32_e32 v40, 3, v40
	v_cndmask_b32_e64 v119, 7, v119, s12
	v_and_b32_e32 v40, 0xf8, v40
	v_and_b32_e32 v41, 7, v119
	v_or_b32_e32 v117, v117, v119
	v_or3_b32 v118, v118, v40, v41
	v_cmp_ne_u32_e64 s12, 0, v117
	v_lshlrev_b32_e32 v118, 8, v118
	v_cndmask_b32_e64 v117, 0, v118, s12
.LBB2_1569:                             ;   in Loop: Header=BB2_1290 Depth=2
	s_or_b32 exec_lo, exec_lo, s28
.LBB2_1570:                             ;   in Loop: Header=BB2_1290 Depth=2
	s_or_b32 exec_lo, exec_lo, s27
	v_and_b32_sdwa v119, v17, v97 dst_sel:DWORD dst_unused:UNUSED_PAD src0_sel:WORD_1 src1_sel:DWORD
	s_mov_b32 s13, 0
	s_mov_b32 s27, exec_lo
	v_cmpx_lt_i16_e32 0x7f, v119
	s_xor_b32 s27, exec_lo, s27
	s_cbranch_execz .LBB2_1664
; %bb.1571:                             ;   in Loop: Header=BB2_1290 Depth=2
	s_mov_b32 s13, -1
	s_mov_b32 s28, exec_lo
	v_cmpx_eq_u16_e32 0x80, v119
; %bb.1572:                             ;   in Loop: Header=BB2_1290 Depth=2
	s_xor_b32 s13, exec_lo, -1
; %bb.1573:                             ;   in Loop: Header=BB2_1290 Depth=2
	s_or_b32 exec_lo, exec_lo, s28
	s_and_b32 s13, s13, exec_lo
                                        ; implicit-def: $vgpr119
	s_or_saveexec_b32 s27, s27
	v_mov_b32_e32 v118, 0x7f800001
	s_xor_b32 exec_lo, exec_lo, s27
	s_cbranch_execnz .LBB2_1665
.LBB2_1574:                             ;   in Loop: Header=BB2_1290 Depth=2
	s_or_b32 exec_lo, exec_lo, s27
	s_and_saveexec_b32 s27, s13
	s_cbranch_execz .LBB2_1576
.LBB2_1575:                             ;   in Loop: Header=BB2_1290 Depth=2
	v_bfe_u32 v118, v17, 16, 3
	v_bfe_u32 v41, v17, 19, 4
	v_lshlrev_b32_e32 v42, 8, v17
	v_ffbh_u32_e32 v119, v118
	v_cmp_eq_u32_e64 s12, 0, v41
	v_min_u32_e32 v119, 32, v119
	v_subrev_nc_u32_e32 v40, 28, v119
	v_sub_nc_u32_e32 v119, 29, v119
	v_lshlrev_b32_sdwa v40, v40, v17 dst_sel:DWORD dst_unused:UNUSED_PAD src0_sel:DWORD src1_sel:WORD_1
	v_cndmask_b32_e64 v119, v41, v119, s12
	v_and_b32_e32 v40, 7, v40
	v_lshl_add_u32 v119, v119, 23, 0x3b800000
	v_cndmask_b32_e64 v118, v118, v40, s12
	v_and_b32_e32 v40, 0x80000000, v42
	v_lshlrev_b32_e32 v118, 20, v118
	v_or3_b32 v118, v40, v119, v118
.LBB2_1576:                             ;   in Loop: Header=BB2_1290 Depth=2
	s_or_b32 exec_lo, exec_lo, s27
	v_and_b32_sdwa v40, v13, v97 dst_sel:DWORD dst_unused:UNUSED_PAD src0_sel:WORD_1 src1_sel:DWORD
	s_mov_b32 s13, 0
	s_mov_b32 s27, exec_lo
	v_cmpx_lt_i16_e32 0x7f, v40
	s_xor_b32 s27, exec_lo, s27
	s_cbranch_execz .LBB2_1666
; %bb.1577:                             ;   in Loop: Header=BB2_1290 Depth=2
	s_mov_b32 s13, -1
	s_mov_b32 s28, exec_lo
	v_cmpx_eq_u16_e32 0x80, v40
; %bb.1578:                             ;   in Loop: Header=BB2_1290 Depth=2
	s_xor_b32 s13, exec_lo, -1
; %bb.1579:                             ;   in Loop: Header=BB2_1290 Depth=2
	s_or_b32 exec_lo, exec_lo, s28
	s_and_b32 s13, s13, exec_lo
                                        ; implicit-def: $vgpr40
	s_or_saveexec_b32 s27, s27
	v_mov_b32_e32 v119, 0x7f800001
	s_xor_b32 exec_lo, exec_lo, s27
	s_cbranch_execnz .LBB2_1667
.LBB2_1580:                             ;   in Loop: Header=BB2_1290 Depth=2
	s_or_b32 exec_lo, exec_lo, s27
	s_and_saveexec_b32 s27, s13
	s_cbranch_execz .LBB2_1582
.LBB2_1581:                             ;   in Loop: Header=BB2_1290 Depth=2
	v_and_b32_sdwa v119, v13, v98 dst_sel:DWORD dst_unused:UNUSED_PAD src0_sel:WORD_1 src1_sel:DWORD
	v_bfe_u32 v42, v13, 19, 4
	v_lshlrev_b32_sdwa v43, v96, v13 dst_sel:DWORD dst_unused:UNUSED_PAD src0_sel:DWORD src1_sel:WORD_1
	v_ffbh_u32_e32 v40, v119
	v_cmp_eq_u32_e64 s12, 0, v42
	v_min_u32_e32 v40, 32, v40
	v_subrev_nc_u32_e32 v41, 28, v40
	v_sub_nc_u32_e32 v40, 29, v40
	v_lshlrev_b32_sdwa v41, v41, v13 dst_sel:DWORD dst_unused:UNUSED_PAD src0_sel:DWORD src1_sel:WORD_1
	v_cndmask_b32_e64 v40, v42, v40, s12
	v_and_b32_e32 v41, 7, v41
	v_lshl_add_u32 v40, v40, 23, 0x3b800000
	v_cndmask_b32_e64 v119, v119, v41, s12
	v_and_b32_e32 v41, 0x80000000, v43
	v_lshlrev_b32_e32 v119, 20, v119
	v_or3_b32 v119, v41, v40, v119
.LBB2_1582:                             ;   in Loop: Header=BB2_1290 Depth=2
	s_or_b32 exec_lo, exec_lo, s27
	v_add_f32_e32 v119, v118, v119
	v_and_b32_e32 v118, 0x7f800000, v119
	v_cmp_ne_u32_e64 s12, 0x7f800000, v118
	v_mov_b32_e32 v118, 0x80
	s_and_saveexec_b32 s27, s12
	s_cbranch_execz .LBB2_1590
; %bb.1583:                             ;   in Loop: Header=BB2_1290 Depth=2
	v_mov_b32_e32 v118, 0
	s_mov_b32 s28, exec_lo
	v_cmpx_ne_u32_e32 0, v119
	s_cbranch_execz .LBB2_1589
; %bb.1584:                             ;   in Loop: Header=BB2_1290 Depth=2
	v_bfe_u32 v118, v119, 23, 8
	v_and_b32_e32 v40, 0x7fffff, v119
	v_sub_nc_u32_e32 v41, 0x78, v118
	v_cmp_gt_u32_e64 s12, 0x79, v118
	v_or_b32_e32 v42, 0x800000, v40
	v_cndmask_b32_e64 v41, 0, v41, s12
	v_cmp_eq_u32_e64 s12, 0, v118
	v_add_nc_u32_e32 v118, 0xffffff89, v118
	v_cndmask_b32_e64 v41, v41, 0x77, s12
	v_cndmask_b32_e64 v40, v42, v40, s12
	;; [unrolled: 1-line block ×3, first 2 shown]
	v_lshl_add_u32 v42, 0x100000, v41, -1
	v_lshrrev_b32_e32 v43, v41, v40
	v_lshlrev_b32_e64 v45, v41, 0x80000
	v_add_nc_u32_e32 v41, v41, v118
	v_and_b32_e32 v40, v42, v40
	v_bfe_u32 v44, v43, 20, 1
	v_cmp_eq_u32_e64 s13, v40, v45
	v_add_nc_u32_e32 v42, -1, v44
	v_cndmask_b32_e64 v40, 0, v42, s13
	v_lshrrev_b32_e32 v42, 23, v43
	s_mov_b32 s13, exec_lo
	v_add_nc_u32_e32 v40, v40, v43
	v_xor_b32_e32 v42, 1, v42
	v_and_b32_e32 v118, 0xfffff, v40
	v_add_nc_u32_e32 v40, v118, v43
                                        ; implicit-def: $vgpr118
	v_cmpx_ne_u32_e64 v41, v42
	s_xor_b32 s13, exec_lo, s13
; %bb.1585:                             ;   in Loop: Header=BB2_1290 Depth=2
	v_cmp_lt_u32_e64 s12, 0xffffff, v40
	v_sub_nc_u32_e32 v118, v41, v42
	v_cndmask_b32_e64 v41, 0, 1, s12
	v_add_co_ci_u32_e64 v118, null, 0, v118, s12
	v_lshrrev_b32_e32 v40, v41, v40
; %bb.1586:                             ;   in Loop: Header=BB2_1290 Depth=2
	s_andn2_saveexec_b32 s12, s13
; %bb.1587:                             ;   in Loop: Header=BB2_1290 Depth=2
	v_bfe_u32 v118, v40, 23, 1
; %bb.1588:                             ;   in Loop: Header=BB2_1290 Depth=2
	s_or_b32 exec_lo, exec_lo, s12
	v_lshrrev_b32_e32 v40, 20, v40
	v_min_i32_e32 v41, 15, v118
	v_cmp_gt_i32_e64 s12, 16, v118
	v_and_b32_sdwa v119, v119, v86 dst_sel:DWORD dst_unused:UNUSED_PAD src0_sel:BYTE_3 src1_sel:DWORD
	v_lshlrev_b32_e32 v41, 3, v41
	v_cndmask_b32_e64 v40, 7, v40, s12
	v_and_b32_e32 v41, 0xf8, v41
	v_and_b32_e32 v42, 7, v40
	v_or_b32_e32 v118, v118, v40
	v_or3_b32 v119, v41, v119, v42
	v_cmp_ne_u32_e64 s12, 0, v118
	v_cndmask_b32_e64 v118, 0, v119, s12
.LBB2_1589:                             ;   in Loop: Header=BB2_1290 Depth=2
	s_or_b32 exec_lo, exec_lo, s28
.LBB2_1590:                             ;   in Loop: Header=BB2_1290 Depth=2
	s_or_b32 exec_lo, exec_lo, s27
	v_cmp_gt_i16_sdwa s13, v17, v85 src0_sel:BYTE_3 src1_sel:DWORD
	s_mov_b32 s12, 0
	s_and_saveexec_b32 s27, s13
	s_xor_b32 s13, exec_lo, s27
	s_cbranch_execz .LBB2_1668
; %bb.1591:                             ;   in Loop: Header=BB2_1290 Depth=2
	v_cmp_eq_u16_sdwa s28, v17, v86 src0_sel:BYTE_3 src1_sel:DWORD
	s_mov_b32 s12, -1
	s_and_saveexec_b32 s27, s28
; %bb.1592:                             ;   in Loop: Header=BB2_1290 Depth=2
	s_xor_b32 s12, exec_lo, -1
; %bb.1593:                             ;   in Loop: Header=BB2_1290 Depth=2
	s_or_b32 exec_lo, exec_lo, s27
	s_and_b32 s12, s12, exec_lo
	s_or_saveexec_b32 s13, s13
	v_mov_b32_e32 v119, 0x7f800001
	s_xor_b32 exec_lo, exec_lo, s13
	s_cbranch_execnz .LBB2_1669
.LBB2_1594:                             ;   in Loop: Header=BB2_1290 Depth=2
	s_or_b32 exec_lo, exec_lo, s13
	s_and_saveexec_b32 s13, s12
	s_cbranch_execz .LBB2_1596
.LBB2_1595:                             ;   in Loop: Header=BB2_1290 Depth=2
	v_bfe_u32 v119, v17, 24, 3
	v_bfe_u32 v42, v17, 27, 4
	v_ffbh_u32_e32 v40, v119
	v_cmp_eq_u32_e64 s12, 0, v42
	v_min_u32_e32 v40, 32, v40
	v_subrev_nc_u32_e32 v41, 28, v40
	v_sub_nc_u32_e32 v40, 29, v40
	v_lshlrev_b32_sdwa v41, v41, v17 dst_sel:DWORD dst_unused:UNUSED_PAD src0_sel:DWORD src1_sel:BYTE_3
	v_cndmask_b32_e64 v40, v42, v40, s12
	v_and_b32_e32 v17, 0x80000000, v17
	v_and_b32_e32 v41, 7, v41
	v_lshl_add_u32 v40, v40, 23, 0x3b800000
	v_cndmask_b32_e64 v119, v119, v41, s12
	v_lshlrev_b32_e32 v119, 20, v119
	v_or3_b32 v119, v17, v40, v119
.LBB2_1596:                             ;   in Loop: Header=BB2_1290 Depth=2
	s_or_b32 exec_lo, exec_lo, s13
	v_cmp_gt_i16_sdwa s13, v13, v85 src0_sel:BYTE_3 src1_sel:DWORD
	s_mov_b32 s12, 0
	s_and_saveexec_b32 s27, s13
	s_xor_b32 s13, exec_lo, s27
	s_cbranch_execz .LBB2_1670
; %bb.1597:                             ;   in Loop: Header=BB2_1290 Depth=2
	v_cmp_eq_u16_sdwa s28, v13, v86 src0_sel:BYTE_3 src1_sel:DWORD
	s_mov_b32 s12, -1
	s_and_saveexec_b32 s27, s28
; %bb.1598:                             ;   in Loop: Header=BB2_1290 Depth=2
	s_xor_b32 s12, exec_lo, -1
; %bb.1599:                             ;   in Loop: Header=BB2_1290 Depth=2
	s_or_b32 exec_lo, exec_lo, s27
	s_and_b32 s12, s12, exec_lo
	s_or_saveexec_b32 s13, s13
	v_mov_b32_e32 v17, 0x7f800001
	s_xor_b32 exec_lo, exec_lo, s13
	s_cbranch_execnz .LBB2_1671
.LBB2_1600:                             ;   in Loop: Header=BB2_1290 Depth=2
	s_or_b32 exec_lo, exec_lo, s13
	s_and_saveexec_b32 s13, s12
	s_cbranch_execz .LBB2_1602
.LBB2_1601:                             ;   in Loop: Header=BB2_1290 Depth=2
	v_and_b32_sdwa v17, v13, v98 dst_sel:DWORD dst_unused:UNUSED_PAD src0_sel:BYTE_3 src1_sel:DWORD
	v_bfe_u32 v42, v13, 27, 4
	v_ffbh_u32_e32 v40, v17
	v_cmp_eq_u32_e64 s12, 0, v42
	v_min_u32_e32 v40, 32, v40
	v_subrev_nc_u32_e32 v41, 28, v40
	v_sub_nc_u32_e32 v40, 29, v40
	v_lshlrev_b32_sdwa v41, v41, v13 dst_sel:DWORD dst_unused:UNUSED_PAD src0_sel:DWORD src1_sel:BYTE_3
	v_cndmask_b32_e64 v40, v42, v40, s12
	v_and_b32_e32 v13, 0x80000000, v13
	v_and_b32_e32 v41, 7, v41
	v_lshl_add_u32 v40, v40, 23, 0x3b800000
	v_cndmask_b32_e64 v17, v17, v41, s12
	v_lshlrev_b32_e32 v17, 20, v17
	v_or3_b32 v17, v13, v40, v17
.LBB2_1602:                             ;   in Loop: Header=BB2_1290 Depth=2
	s_or_b32 exec_lo, exec_lo, s13
	v_add_f32_e32 v13, v119, v17
	v_and_b32_e32 v17, 0x7f800000, v13
	v_cmp_ne_u32_e64 s12, 0x7f800000, v17
	v_mov_b32_e32 v17, 0x8000
	s_and_saveexec_b32 s27, s12
	s_cbranch_execz .LBB2_1289
; %bb.1603:                             ;   in Loop: Header=BB2_1290 Depth=2
	v_mov_b32_e32 v17, 0
	s_mov_b32 s28, exec_lo
	v_cmpx_ne_u32_e32 0, v13
	s_cbranch_execz .LBB2_1288
; %bb.1604:                             ;   in Loop: Header=BB2_1290 Depth=2
	v_bfe_u32 v17, v13, 23, 8
	v_and_b32_e32 v119, 0x7fffff, v13
	v_sub_nc_u32_e32 v40, 0x78, v17
	v_cmp_gt_u32_e64 s12, 0x79, v17
	v_or_b32_e32 v41, 0x800000, v119
	v_cndmask_b32_e64 v40, 0, v40, s12
	v_cmp_eq_u32_e64 s12, 0, v17
	v_add_nc_u32_e32 v17, 0xffffff89, v17
	v_cndmask_b32_e64 v40, v40, 0x77, s12
	v_cndmask_b32_e64 v119, v41, v119, s12
	;; [unrolled: 1-line block ×3, first 2 shown]
	v_lshl_add_u32 v41, 0x100000, v40, -1
	v_lshrrev_b32_e32 v42, v40, v119
	v_lshlrev_b32_e64 v44, v40, 0x80000
	v_add_nc_u32_e32 v40, v40, v17
	v_and_b32_e32 v119, v41, v119
	v_bfe_u32 v43, v42, 20, 1
	v_cmp_eq_u32_e64 s13, v119, v44
	v_add_nc_u32_e32 v41, -1, v43
	v_cndmask_b32_e64 v119, 0, v41, s13
	v_lshrrev_b32_e32 v41, 23, v42
	s_mov_b32 s13, exec_lo
	v_add_nc_u32_e32 v119, v119, v42
	v_xor_b32_e32 v41, 1, v41
	v_and_b32_e32 v17, 0xfffff, v119
	v_add_nc_u32_e32 v119, v17, v42
                                        ; implicit-def: $vgpr17
	v_cmpx_ne_u32_e64 v40, v41
	s_xor_b32 s13, exec_lo, s13
; %bb.1605:                             ;   in Loop: Header=BB2_1290 Depth=2
	v_cmp_lt_u32_e64 s12, 0xffffff, v119
	v_sub_nc_u32_e32 v17, v40, v41
	v_cndmask_b32_e64 v40, 0, 1, s12
	v_add_co_ci_u32_e64 v17, null, 0, v17, s12
	v_lshrrev_b32_e32 v119, v40, v119
; %bb.1606:                             ;   in Loop: Header=BB2_1290 Depth=2
	s_andn2_saveexec_b32 s12, s13
	s_cbranch_execz .LBB2_1287
; %bb.1607:                             ;   in Loop: Header=BB2_1290 Depth=2
	v_bfe_u32 v17, v119, 23, 1
	s_branch .LBB2_1287
.LBB2_1608:                             ;   in Loop: Header=BB2_1290 Depth=2
	s_or_saveexec_b32 s13, s13
	v_mov_b32_e32 v102, 0x7f800001
	s_xor_b32 exec_lo, exec_lo, s13
	s_cbranch_execz .LBB2_1294
.LBB2_1609:                             ;   in Loop: Header=BB2_1290 Depth=2
	v_cmp_ne_u16_sdwa s27, v14, v35 src0_sel:BYTE_0 src1_sel:DWORD
	v_mov_b32_e32 v102, 0
	s_andn2_b32 s12, s12, exec_lo
	s_and_b32 s27, s27, exec_lo
	s_or_b32 s12, s12, s27
	s_or_b32 exec_lo, exec_lo, s13
	s_and_saveexec_b32 s13, s12
	s_cbranch_execnz .LBB2_1295
	s_branch .LBB2_1296
.LBB2_1610:                             ;   in Loop: Header=BB2_1290 Depth=2
	s_or_saveexec_b32 s13, s13
	v_mov_b32_e32 v103, 0x7f800001
	s_xor_b32 exec_lo, exec_lo, s13
	s_cbranch_execz .LBB2_1300
.LBB2_1611:                             ;   in Loop: Header=BB2_1290 Depth=2
	v_cmp_ne_u16_sdwa s27, v10, v35 src0_sel:BYTE_0 src1_sel:DWORD
	v_mov_b32_e32 v103, 0
	s_andn2_b32 s12, s12, exec_lo
	s_and_b32 s27, s27, exec_lo
	s_or_b32 s12, s12, s27
	s_or_b32 exec_lo, exec_lo, s13
	s_and_saveexec_b32 s13, s12
	s_cbranch_execnz .LBB2_1301
	s_branch .LBB2_1302
.LBB2_1612:                             ;   in Loop: Header=BB2_1290 Depth=2
	s_or_saveexec_b32 s13, s13
	v_mov_b32_e32 v103, 0x7f800001
	s_xor_b32 exec_lo, exec_lo, s13
	s_cbranch_execz .LBB2_1314
.LBB2_1613:                             ;   in Loop: Header=BB2_1290 Depth=2
	v_cmp_ne_u16_sdwa s27, v14, v35 src0_sel:BYTE_1 src1_sel:DWORD
	v_mov_b32_e32 v103, 0
	s_andn2_b32 s12, s12, exec_lo
	s_and_b32 s27, s27, exec_lo
	s_or_b32 s12, s12, s27
	s_or_b32 exec_lo, exec_lo, s13
	s_and_saveexec_b32 s13, s12
	s_cbranch_execnz .LBB2_1315
	s_branch .LBB2_1316
.LBB2_1614:                             ;   in Loop: Header=BB2_1290 Depth=2
	s_or_saveexec_b32 s13, s13
	v_mov_b32_e32 v112, 0x7f800001
	s_xor_b32 exec_lo, exec_lo, s13
	s_cbranch_execz .LBB2_1320
.LBB2_1615:                             ;   in Loop: Header=BB2_1290 Depth=2
	v_cmp_ne_u16_sdwa s27, v10, v35 src0_sel:BYTE_1 src1_sel:DWORD
	v_mov_b32_e32 v112, 0
	s_andn2_b32 s12, s12, exec_lo
	s_and_b32 s27, s27, exec_lo
	s_or_b32 s12, s12, s27
	s_or_b32 exec_lo, exec_lo, s13
	s_and_saveexec_b32 s13, s12
	s_cbranch_execnz .LBB2_1321
	s_branch .LBB2_1322
.LBB2_1616:                             ;   in Loop: Header=BB2_1290 Depth=2
	s_or_saveexec_b32 s27, s27
	v_mov_b32_e32 v112, 0x7f800001
	s_xor_b32 exec_lo, exec_lo, s27
	s_cbranch_execz .LBB2_1334
.LBB2_1617:                             ;   in Loop: Header=BB2_1290 Depth=2
	v_cmp_ne_u16_e64 s12, 0, v113
	v_mov_b32_e32 v112, 0
	s_andn2_b32 s13, s13, exec_lo
	s_and_b32 s12, s12, exec_lo
	s_or_b32 s13, s13, s12
	s_or_b32 exec_lo, exec_lo, s27
	s_and_saveexec_b32 s27, s13
	s_cbranch_execnz .LBB2_1335
	s_branch .LBB2_1336
.LBB2_1618:                             ;   in Loop: Header=BB2_1290 Depth=2
	s_or_saveexec_b32 s27, s27
	v_mov_b32_e32 v113, 0x7f800001
	s_xor_b32 exec_lo, exec_lo, s27
	s_cbranch_execz .LBB2_1340
.LBB2_1619:                             ;   in Loop: Header=BB2_1290 Depth=2
	v_cmp_ne_u16_e64 s12, 0, v114
	v_mov_b32_e32 v113, 0
	s_andn2_b32 s13, s13, exec_lo
	s_and_b32 s12, s12, exec_lo
	s_or_b32 s13, s13, s12
	s_or_b32 exec_lo, exec_lo, s27
	s_and_saveexec_b32 s27, s13
	s_cbranch_execnz .LBB2_1341
	s_branch .LBB2_1342
.LBB2_1620:                             ;   in Loop: Header=BB2_1290 Depth=2
	s_or_saveexec_b32 s13, s13
	v_mov_b32_e32 v113, 0x7f800001
	s_xor_b32 exec_lo, exec_lo, s13
	s_cbranch_execz .LBB2_1354
.LBB2_1621:                             ;   in Loop: Header=BB2_1290 Depth=2
	v_cmp_ne_u16_sdwa s27, v14, v35 src0_sel:BYTE_3 src1_sel:DWORD
	v_mov_b32_e32 v113, 0
	s_andn2_b32 s12, s12, exec_lo
	s_and_b32 s27, s27, exec_lo
	s_or_b32 s12, s12, s27
	s_or_b32 exec_lo, exec_lo, s13
	s_and_saveexec_b32 s13, s12
	s_cbranch_execnz .LBB2_1355
	s_branch .LBB2_1356
.LBB2_1622:                             ;   in Loop: Header=BB2_1290 Depth=2
	s_or_saveexec_b32 s13, s13
	v_mov_b32_e32 v14, 0x7f800001
	s_xor_b32 exec_lo, exec_lo, s13
	s_cbranch_execz .LBB2_1360
.LBB2_1623:                             ;   in Loop: Header=BB2_1290 Depth=2
	v_cmp_ne_u16_sdwa s27, v10, v35 src0_sel:BYTE_3 src1_sel:DWORD
	v_mov_b32_e32 v14, 0
	s_andn2_b32 s12, s12, exec_lo
	s_and_b32 s27, s27, exec_lo
	s_or_b32 s12, s12, s27
	s_or_b32 exec_lo, exec_lo, s13
	s_and_saveexec_b32 s13, s12
	s_cbranch_execnz .LBB2_1361
	s_branch .LBB2_1362
.LBB2_1624:                             ;   in Loop: Header=BB2_1290 Depth=2
	s_or_saveexec_b32 s13, s13
	v_mov_b32_e32 v14, 0x7f800001
	s_xor_b32 exec_lo, exec_lo, s13
	s_cbranch_execz .LBB2_1374
.LBB2_1625:                             ;   in Loop: Header=BB2_1290 Depth=2
	v_cmp_ne_u16_sdwa s27, v15, v35 src0_sel:BYTE_0 src1_sel:DWORD
	v_mov_b32_e32 v14, 0
	s_andn2_b32 s12, s12, exec_lo
	s_and_b32 s27, s27, exec_lo
	s_or_b32 s12, s12, s27
	s_or_b32 exec_lo, exec_lo, s13
	s_and_saveexec_b32 s13, s12
	s_cbranch_execnz .LBB2_1375
	s_branch .LBB2_1376
.LBB2_1626:                             ;   in Loop: Header=BB2_1290 Depth=2
	s_or_saveexec_b32 s13, s13
	v_mov_b32_e32 v113, 0x7f800001
	s_xor_b32 exec_lo, exec_lo, s13
	s_cbranch_execz .LBB2_1380
.LBB2_1627:                             ;   in Loop: Header=BB2_1290 Depth=2
	v_cmp_ne_u16_sdwa s27, v11, v35 src0_sel:BYTE_0 src1_sel:DWORD
	v_mov_b32_e32 v113, 0
	s_andn2_b32 s12, s12, exec_lo
	s_and_b32 s27, s27, exec_lo
	s_or_b32 s12, s12, s27
	s_or_b32 exec_lo, exec_lo, s13
	s_and_saveexec_b32 s13, s12
	s_cbranch_execnz .LBB2_1381
	s_branch .LBB2_1382
.LBB2_1628:                             ;   in Loop: Header=BB2_1290 Depth=2
	s_or_saveexec_b32 s13, s13
	v_mov_b32_e32 v113, 0x7f800001
	s_xor_b32 exec_lo, exec_lo, s13
	s_cbranch_execz .LBB2_1394
.LBB2_1629:                             ;   in Loop: Header=BB2_1290 Depth=2
	v_cmp_ne_u16_sdwa s27, v15, v35 src0_sel:BYTE_1 src1_sel:DWORD
	v_mov_b32_e32 v113, 0
	s_andn2_b32 s12, s12, exec_lo
	s_and_b32 s27, s27, exec_lo
	s_or_b32 s12, s12, s27
	s_or_b32 exec_lo, exec_lo, s13
	s_and_saveexec_b32 s13, s12
	s_cbranch_execnz .LBB2_1395
	s_branch .LBB2_1396
.LBB2_1630:                             ;   in Loop: Header=BB2_1290 Depth=2
	s_or_saveexec_b32 s13, s13
	v_mov_b32_e32 v114, 0x7f800001
	s_xor_b32 exec_lo, exec_lo, s13
	s_cbranch_execz .LBB2_1400
.LBB2_1631:                             ;   in Loop: Header=BB2_1290 Depth=2
	v_cmp_ne_u16_sdwa s27, v11, v35 src0_sel:BYTE_1 src1_sel:DWORD
	v_mov_b32_e32 v114, 0
	s_andn2_b32 s12, s12, exec_lo
	s_and_b32 s27, s27, exec_lo
	s_or_b32 s12, s12, s27
	s_or_b32 exec_lo, exec_lo, s13
	s_and_saveexec_b32 s13, s12
	s_cbranch_execnz .LBB2_1401
	s_branch .LBB2_1402
.LBB2_1632:                             ;   in Loop: Header=BB2_1290 Depth=2
	s_or_saveexec_b32 s27, s27
	v_mov_b32_e32 v114, 0x7f800001
	s_xor_b32 exec_lo, exec_lo, s27
	s_cbranch_execz .LBB2_1414
.LBB2_1633:                             ;   in Loop: Header=BB2_1290 Depth=2
	v_cmp_ne_u16_e64 s12, 0, v115
	v_mov_b32_e32 v114, 0
	s_andn2_b32 s13, s13, exec_lo
	s_and_b32 s12, s12, exec_lo
	s_or_b32 s13, s13, s12
	s_or_b32 exec_lo, exec_lo, s27
	s_and_saveexec_b32 s27, s13
	s_cbranch_execnz .LBB2_1415
	s_branch .LBB2_1416
.LBB2_1634:                             ;   in Loop: Header=BB2_1290 Depth=2
	s_or_saveexec_b32 s27, s27
	v_mov_b32_e32 v115, 0x7f800001
	s_xor_b32 exec_lo, exec_lo, s27
	s_cbranch_execz .LBB2_1420
.LBB2_1635:                             ;   in Loop: Header=BB2_1290 Depth=2
	v_cmp_ne_u16_e64 s12, 0, v116
	v_mov_b32_e32 v115, 0
	s_andn2_b32 s13, s13, exec_lo
	s_and_b32 s12, s12, exec_lo
	s_or_b32 s13, s13, s12
	s_or_b32 exec_lo, exec_lo, s27
	s_and_saveexec_b32 s27, s13
	s_cbranch_execnz .LBB2_1421
	s_branch .LBB2_1422
.LBB2_1636:                             ;   in Loop: Header=BB2_1290 Depth=2
	s_or_saveexec_b32 s13, s13
	v_mov_b32_e32 v115, 0x7f800001
	s_xor_b32 exec_lo, exec_lo, s13
	s_cbranch_execz .LBB2_1434
.LBB2_1637:                             ;   in Loop: Header=BB2_1290 Depth=2
	v_cmp_ne_u16_sdwa s27, v15, v35 src0_sel:BYTE_3 src1_sel:DWORD
	v_mov_b32_e32 v115, 0
	s_andn2_b32 s12, s12, exec_lo
	s_and_b32 s27, s27, exec_lo
	s_or_b32 s12, s12, s27
	s_or_b32 exec_lo, exec_lo, s13
	s_and_saveexec_b32 s13, s12
	s_cbranch_execnz .LBB2_1435
	s_branch .LBB2_1436
.LBB2_1638:                             ;   in Loop: Header=BB2_1290 Depth=2
	s_or_saveexec_b32 s13, s13
	v_mov_b32_e32 v15, 0x7f800001
	s_xor_b32 exec_lo, exec_lo, s13
	s_cbranch_execz .LBB2_1440
.LBB2_1639:                             ;   in Loop: Header=BB2_1290 Depth=2
	v_cmp_ne_u16_sdwa s27, v11, v35 src0_sel:BYTE_3 src1_sel:DWORD
	v_mov_b32_e32 v15, 0
	s_andn2_b32 s12, s12, exec_lo
	s_and_b32 s27, s27, exec_lo
	s_or_b32 s12, s12, s27
	s_or_b32 exec_lo, exec_lo, s13
	s_and_saveexec_b32 s13, s12
	s_cbranch_execnz .LBB2_1441
	s_branch .LBB2_1442
.LBB2_1640:                             ;   in Loop: Header=BB2_1290 Depth=2
	s_or_saveexec_b32 s13, s13
	v_mov_b32_e32 v15, 0x7f800001
	s_xor_b32 exec_lo, exec_lo, s13
	s_cbranch_execz .LBB2_1454
.LBB2_1641:                             ;   in Loop: Header=BB2_1290 Depth=2
	v_cmp_ne_u16_sdwa s27, v16, v35 src0_sel:BYTE_0 src1_sel:DWORD
	v_mov_b32_e32 v15, 0
	s_andn2_b32 s12, s12, exec_lo
	s_and_b32 s27, s27, exec_lo
	s_or_b32 s12, s12, s27
	s_or_b32 exec_lo, exec_lo, s13
	s_and_saveexec_b32 s13, s12
	s_cbranch_execnz .LBB2_1455
	s_branch .LBB2_1456
.LBB2_1642:                             ;   in Loop: Header=BB2_1290 Depth=2
	s_or_saveexec_b32 s13, s13
	v_mov_b32_e32 v115, 0x7f800001
	s_xor_b32 exec_lo, exec_lo, s13
	s_cbranch_execz .LBB2_1460
.LBB2_1643:                             ;   in Loop: Header=BB2_1290 Depth=2
	v_cmp_ne_u16_sdwa s27, v12, v35 src0_sel:BYTE_0 src1_sel:DWORD
	v_mov_b32_e32 v115, 0
	s_andn2_b32 s12, s12, exec_lo
	s_and_b32 s27, s27, exec_lo
	s_or_b32 s12, s12, s27
	s_or_b32 exec_lo, exec_lo, s13
	s_and_saveexec_b32 s13, s12
	s_cbranch_execnz .LBB2_1461
	s_branch .LBB2_1462
.LBB2_1644:                             ;   in Loop: Header=BB2_1290 Depth=2
	s_or_saveexec_b32 s13, s13
	v_mov_b32_e32 v115, 0x7f800001
	s_xor_b32 exec_lo, exec_lo, s13
	s_cbranch_execz .LBB2_1474
.LBB2_1645:                             ;   in Loop: Header=BB2_1290 Depth=2
	v_cmp_ne_u16_sdwa s27, v16, v35 src0_sel:BYTE_1 src1_sel:DWORD
	v_mov_b32_e32 v115, 0
	s_andn2_b32 s12, s12, exec_lo
	s_and_b32 s27, s27, exec_lo
	s_or_b32 s12, s12, s27
	s_or_b32 exec_lo, exec_lo, s13
	s_and_saveexec_b32 s13, s12
	s_cbranch_execnz .LBB2_1475
	s_branch .LBB2_1476
.LBB2_1646:                             ;   in Loop: Header=BB2_1290 Depth=2
	s_or_saveexec_b32 s13, s13
	v_mov_b32_e32 v116, 0x7f800001
	s_xor_b32 exec_lo, exec_lo, s13
	s_cbranch_execz .LBB2_1480
.LBB2_1647:                             ;   in Loop: Header=BB2_1290 Depth=2
	v_cmp_ne_u16_sdwa s27, v12, v35 src0_sel:BYTE_1 src1_sel:DWORD
	v_mov_b32_e32 v116, 0
	s_andn2_b32 s12, s12, exec_lo
	s_and_b32 s27, s27, exec_lo
	s_or_b32 s12, s12, s27
	s_or_b32 exec_lo, exec_lo, s13
	s_and_saveexec_b32 s13, s12
	s_cbranch_execnz .LBB2_1481
	s_branch .LBB2_1482
.LBB2_1648:                             ;   in Loop: Header=BB2_1290 Depth=2
	s_or_saveexec_b32 s27, s27
	v_mov_b32_e32 v116, 0x7f800001
	s_xor_b32 exec_lo, exec_lo, s27
	s_cbranch_execz .LBB2_1494
.LBB2_1649:                             ;   in Loop: Header=BB2_1290 Depth=2
	v_cmp_ne_u16_e64 s12, 0, v117
	v_mov_b32_e32 v116, 0
	s_andn2_b32 s13, s13, exec_lo
	s_and_b32 s12, s12, exec_lo
	s_or_b32 s13, s13, s12
	s_or_b32 exec_lo, exec_lo, s27
	s_and_saveexec_b32 s27, s13
	s_cbranch_execnz .LBB2_1495
	s_branch .LBB2_1496
.LBB2_1650:                             ;   in Loop: Header=BB2_1290 Depth=2
	s_or_saveexec_b32 s27, s27
	v_mov_b32_e32 v117, 0x7f800001
	s_xor_b32 exec_lo, exec_lo, s27
	s_cbranch_execz .LBB2_1500
.LBB2_1651:                             ;   in Loop: Header=BB2_1290 Depth=2
	v_cmp_ne_u16_e64 s12, 0, v118
	v_mov_b32_e32 v117, 0
	s_andn2_b32 s13, s13, exec_lo
	s_and_b32 s12, s12, exec_lo
	s_or_b32 s13, s13, s12
	s_or_b32 exec_lo, exec_lo, s27
	s_and_saveexec_b32 s27, s13
	s_cbranch_execnz .LBB2_1501
	s_branch .LBB2_1502
.LBB2_1652:                             ;   in Loop: Header=BB2_1290 Depth=2
	s_or_saveexec_b32 s13, s13
	v_mov_b32_e32 v117, 0x7f800001
	s_xor_b32 exec_lo, exec_lo, s13
	s_cbranch_execz .LBB2_1514
.LBB2_1653:                             ;   in Loop: Header=BB2_1290 Depth=2
	v_cmp_ne_u16_sdwa s27, v16, v35 src0_sel:BYTE_3 src1_sel:DWORD
	v_mov_b32_e32 v117, 0
	s_andn2_b32 s12, s12, exec_lo
	s_and_b32 s27, s27, exec_lo
	s_or_b32 s12, s12, s27
	s_or_b32 exec_lo, exec_lo, s13
	s_and_saveexec_b32 s13, s12
	s_cbranch_execnz .LBB2_1515
	s_branch .LBB2_1516
.LBB2_1654:                             ;   in Loop: Header=BB2_1290 Depth=2
	s_or_saveexec_b32 s13, s13
	v_mov_b32_e32 v16, 0x7f800001
	s_xor_b32 exec_lo, exec_lo, s13
	s_cbranch_execz .LBB2_1520
.LBB2_1655:                             ;   in Loop: Header=BB2_1290 Depth=2
	v_cmp_ne_u16_sdwa s27, v12, v35 src0_sel:BYTE_3 src1_sel:DWORD
	v_mov_b32_e32 v16, 0
	s_andn2_b32 s12, s12, exec_lo
	s_and_b32 s27, s27, exec_lo
	s_or_b32 s12, s12, s27
	s_or_b32 exec_lo, exec_lo, s13
	s_and_saveexec_b32 s13, s12
	s_cbranch_execnz .LBB2_1521
	s_branch .LBB2_1522
.LBB2_1656:                             ;   in Loop: Header=BB2_1290 Depth=2
	s_or_saveexec_b32 s13, s13
	v_mov_b32_e32 v16, 0x7f800001
	s_xor_b32 exec_lo, exec_lo, s13
	s_cbranch_execz .LBB2_1534
.LBB2_1657:                             ;   in Loop: Header=BB2_1290 Depth=2
	v_cmp_ne_u16_sdwa s27, v17, v35 src0_sel:BYTE_0 src1_sel:DWORD
	v_mov_b32_e32 v16, 0
	s_andn2_b32 s12, s12, exec_lo
	s_and_b32 s27, s27, exec_lo
	s_or_b32 s12, s12, s27
	s_or_b32 exec_lo, exec_lo, s13
	s_and_saveexec_b32 s13, s12
	s_cbranch_execnz .LBB2_1535
	s_branch .LBB2_1536
.LBB2_1658:                             ;   in Loop: Header=BB2_1290 Depth=2
	s_or_saveexec_b32 s13, s13
	v_mov_b32_e32 v117, 0x7f800001
	s_xor_b32 exec_lo, exec_lo, s13
	s_cbranch_execz .LBB2_1540
.LBB2_1659:                             ;   in Loop: Header=BB2_1290 Depth=2
	v_cmp_ne_u16_sdwa s27, v13, v35 src0_sel:BYTE_0 src1_sel:DWORD
	v_mov_b32_e32 v117, 0
	s_andn2_b32 s12, s12, exec_lo
	s_and_b32 s27, s27, exec_lo
	s_or_b32 s12, s12, s27
	s_or_b32 exec_lo, exec_lo, s13
	s_and_saveexec_b32 s13, s12
	s_cbranch_execnz .LBB2_1541
	s_branch .LBB2_1542
.LBB2_1660:                             ;   in Loop: Header=BB2_1290 Depth=2
	s_or_saveexec_b32 s13, s13
	v_mov_b32_e32 v117, 0x7f800001
	s_xor_b32 exec_lo, exec_lo, s13
	s_cbranch_execz .LBB2_1554
.LBB2_1661:                             ;   in Loop: Header=BB2_1290 Depth=2
	v_cmp_ne_u16_sdwa s27, v17, v35 src0_sel:BYTE_1 src1_sel:DWORD
	v_mov_b32_e32 v117, 0
	s_andn2_b32 s12, s12, exec_lo
	s_and_b32 s27, s27, exec_lo
	s_or_b32 s12, s12, s27
	s_or_b32 exec_lo, exec_lo, s13
	s_and_saveexec_b32 s13, s12
	s_cbranch_execnz .LBB2_1555
	s_branch .LBB2_1556
.LBB2_1662:                             ;   in Loop: Header=BB2_1290 Depth=2
	s_or_saveexec_b32 s13, s13
	v_mov_b32_e32 v118, 0x7f800001
	s_xor_b32 exec_lo, exec_lo, s13
	s_cbranch_execz .LBB2_1560
.LBB2_1663:                             ;   in Loop: Header=BB2_1290 Depth=2
	v_cmp_ne_u16_sdwa s27, v13, v35 src0_sel:BYTE_1 src1_sel:DWORD
	v_mov_b32_e32 v118, 0
	s_andn2_b32 s12, s12, exec_lo
	s_and_b32 s27, s27, exec_lo
	s_or_b32 s12, s12, s27
	s_or_b32 exec_lo, exec_lo, s13
	s_and_saveexec_b32 s13, s12
	s_cbranch_execnz .LBB2_1561
	s_branch .LBB2_1562
.LBB2_1664:                             ;   in Loop: Header=BB2_1290 Depth=2
	s_or_saveexec_b32 s27, s27
	v_mov_b32_e32 v118, 0x7f800001
	s_xor_b32 exec_lo, exec_lo, s27
	s_cbranch_execz .LBB2_1574
.LBB2_1665:                             ;   in Loop: Header=BB2_1290 Depth=2
	v_cmp_ne_u16_e64 s12, 0, v119
	v_mov_b32_e32 v118, 0
	s_andn2_b32 s13, s13, exec_lo
	s_and_b32 s12, s12, exec_lo
	s_or_b32 s13, s13, s12
	s_or_b32 exec_lo, exec_lo, s27
	s_and_saveexec_b32 s27, s13
	s_cbranch_execnz .LBB2_1575
	s_branch .LBB2_1576
.LBB2_1666:                             ;   in Loop: Header=BB2_1290 Depth=2
	s_or_saveexec_b32 s27, s27
	v_mov_b32_e32 v119, 0x7f800001
	s_xor_b32 exec_lo, exec_lo, s27
	s_cbranch_execz .LBB2_1580
.LBB2_1667:                             ;   in Loop: Header=BB2_1290 Depth=2
	v_cmp_ne_u16_e64 s12, 0, v40
	v_mov_b32_e32 v119, 0
	s_andn2_b32 s13, s13, exec_lo
	s_and_b32 s12, s12, exec_lo
	s_or_b32 s13, s13, s12
	s_or_b32 exec_lo, exec_lo, s27
	s_and_saveexec_b32 s27, s13
	s_cbranch_execnz .LBB2_1581
	s_branch .LBB2_1582
.LBB2_1668:                             ;   in Loop: Header=BB2_1290 Depth=2
	s_or_saveexec_b32 s13, s13
	v_mov_b32_e32 v119, 0x7f800001
	s_xor_b32 exec_lo, exec_lo, s13
	s_cbranch_execz .LBB2_1594
.LBB2_1669:                             ;   in Loop: Header=BB2_1290 Depth=2
	v_cmp_ne_u16_sdwa s27, v17, v35 src0_sel:BYTE_3 src1_sel:DWORD
	v_mov_b32_e32 v119, 0
	s_andn2_b32 s12, s12, exec_lo
	s_and_b32 s27, s27, exec_lo
	s_or_b32 s12, s12, s27
	s_or_b32 exec_lo, exec_lo, s13
	s_and_saveexec_b32 s13, s12
	s_cbranch_execnz .LBB2_1595
	s_branch .LBB2_1596
.LBB2_1670:                             ;   in Loop: Header=BB2_1290 Depth=2
	s_or_saveexec_b32 s13, s13
	v_mov_b32_e32 v17, 0x7f800001
	s_xor_b32 exec_lo, exec_lo, s13
	s_cbranch_execz .LBB2_1600
.LBB2_1671:                             ;   in Loop: Header=BB2_1290 Depth=2
	v_cmp_ne_u16_sdwa s27, v13, v35 src0_sel:BYTE_3 src1_sel:DWORD
	v_mov_b32_e32 v17, 0
	s_andn2_b32 s12, s12, exec_lo
	s_and_b32 s27, s27, exec_lo
	s_or_b32 s12, s12, s27
	s_or_b32 exec_lo, exec_lo, s13
	s_and_saveexec_b32 s13, s12
	s_cbranch_execnz .LBB2_1601
	s_branch .LBB2_1602
.LBB2_1672:                             ;   in Loop: Header=BB2_1213 Depth=1
	s_or_b32 exec_lo, exec_lo, s26
.LBB2_1673:                             ;   in Loop: Header=BB2_1213 Depth=1
	s_or_b32 exec_lo, exec_lo, s25
	v_and_b32_e32 v10, 15, v34
	s_mov_b32 s25, 0
	s_mov_b32 s13, exec_lo
                                        ; implicit-def: $vgpr16
	v_cndmask_b32_e32 v100, v99, v10, vcc_lo
	v_mov_b32_e32 v99, 0
	v_cmpx_ne_u32_e32 0, v100
	s_cbranch_execz .LBB2_2063
; %bb.1674:                             ;   in Loop: Header=BB2_1213 Depth=1
	v_cmp_lt_i32_e64 s12, 0, v101
	s_mov_b32 s25, exec_lo
	v_cndmask_b32_e64 v10, 0, v30, s12
	v_sub_nc_u32_e32 v10, v10, v101
	v_lshl_add_u32 v10, v10, 5, v71
	v_ashrrev_i32_e32 v11, 31, v10
	v_lshrrev_b32_e32 v11, 27, v11
	v_add_nc_u32_e32 v11, v10, v11
	v_and_b32_e32 v12, 0xffffffe0, v11
	v_ashrrev_i32_e32 v11, 5, v11
	v_sub_nc_u32_e32 v101, v10, v12
	v_and_b32_e32 v12, 0x1f0, v34
	v_sub_nc_u32_e32 v102, 0, v11
	v_lshlrev_b32_e32 v10, 4, v101
	v_cndmask_b32_e32 v12, 0, v12, vcc_lo
	v_lshl_add_u32 v10, v11, 9, v10
	v_and_or_b32 v99, 0x3ffffe00, v34, v12
	v_sub_nc_u32_e32 v103, v100, v10
	v_cmpx_lt_i32_e32 15, v103
	s_cbranch_execz .LBB2_2062
; %bb.1675:                             ;   in Loop: Header=BB2_1213 Depth=1
	s_trap 2
	ds_read_b64 v[11:12], v0
	v_add_nc_u32_e32 v10, v10, v99
	s_mov_b32 s26, 0
	v_ashrrev_i32_e32 v13, 31, v10
	v_add_co_u32 v52, vcc_lo, v10, v48
	v_add_co_ci_u32_e64 v53, null, v13, v49, vcc_lo
	s_waitcnt lgkmcnt(0)
	v_add_co_u32 v54, vcc_lo, v11, v10
	v_add_co_ci_u32_e64 v55, null, v12, v13, vcc_lo
	v_add_co_u32 v64, vcc_lo, v10, v50
	v_add_co_ci_u32_e64 v65, null, v13, v51, vcc_lo
	s_branch .LBB2_1679
.LBB2_1676:                             ;   in Loop: Header=BB2_1679 Depth=2
	s_or_b32 exec_lo, exec_lo, s12
	v_lshrrev_b32_e32 v41, 20, v41
	v_min_i32_e32 v42, 15, v17
	v_cmp_gt_i32_e32 vcc_lo, 16, v17
	v_and_b32_sdwa v13, v13, v86 dst_sel:DWORD dst_unused:UNUSED_PAD src0_sel:BYTE_3 src1_sel:DWORD
	v_lshlrev_b32_e32 v42, 3, v42
	v_cndmask_b32_e32 v41, 7, v41, vcc_lo
	v_and_b32_e32 v42, 0xf8, v42
	v_and_b32_e32 v43, 7, v41
	v_or_b32_e32 v17, v17, v41
	v_or3_b32 v13, v13, v42, v43
	v_cmp_ne_u32_e32 vcc_lo, 0, v17
	v_lshlrev_b32_e32 v13, 8, v13
	v_cndmask_b32_e32 v17, 0, v13, vcc_lo
.LBB2_1677:                             ;   in Loop: Header=BB2_1679 Depth=2
	s_or_b32 exec_lo, exec_lo, s28
.LBB2_1678:                             ;   in Loop: Header=BB2_1679 Depth=2
	s_or_b32 exec_lo, exec_lo, s27
	v_or_b32_sdwa v11, v11, v116 dst_sel:WORD_1 dst_unused:UNUSED_PAD src0_sel:DWORD src1_sel:DWORD
	v_or_b32_sdwa v10, v10, v114 dst_sel:WORD_1 dst_unused:UNUSED_PAD src0_sel:DWORD src1_sel:DWORD
	;; [unrolled: 1-line block ×4, first 2 shown]
	v_sub_nc_u32_e32 v103, v103, v81
	v_or3_b32 v11, v115, v14, v11
	v_or3_b32 v10, v113, v112, v10
	;; [unrolled: 1-line block ×4, first 2 shown]
	v_add_co_u32 v52, vcc_lo, v52, v81
	v_add_co_ci_u32_e64 v53, null, 0, v53, vcc_lo
	v_add_co_u32 v54, vcc_lo, v54, v81
	global_store_dwordx4 v[64:65], v[10:13], off glc slc
	v_add_co_ci_u32_e64 v55, null, 0, v55, vcc_lo
	v_cmp_gt_i32_e32 vcc_lo, 16, v103
	v_add_co_u32 v64, s12, v64, v81
	v_add_co_ci_u32_e64 v65, null, 0, v65, s12
	v_sub_nc_u32_e32 v102, v102, v30
	s_or_b32 s26, vcc_lo, s26
	s_andn2_b32 exec_lo, exec_lo, s26
	s_cbranch_execz .LBB2_2061
.LBB2_1679:                             ;   Parent Loop BB2_1213 Depth=1
                                        ; =>  This Inner Loop Header: Depth=2
	global_load_dwordx4 v[14:17], v[52:53], off slc
	global_load_dwordx4 v[10:13], v[54:55], off slc
	s_mov_b32 s12, 0
	s_waitcnt vmcnt(1)
	v_cmp_gt_i16_sdwa s27, v14, v85 src0_sel:BYTE_0 src1_sel:DWORD
	s_and_saveexec_b32 s28, s27
	s_xor_b32 s27, exec_lo, s28
	s_cbranch_execz .LBB2_1997
; %bb.1680:                             ;   in Loop: Header=BB2_1679 Depth=2
	v_cmp_eq_u16_sdwa s29, v14, v86 src0_sel:BYTE_0 src1_sel:DWORD
	s_mov_b32 s12, -1
	s_and_saveexec_b32 s28, s29
; %bb.1681:                             ;   in Loop: Header=BB2_1679 Depth=2
	s_xor_b32 s12, exec_lo, -1
; %bb.1682:                             ;   in Loop: Header=BB2_1679 Depth=2
	s_or_b32 exec_lo, exec_lo, s28
	s_and_b32 s12, s12, exec_lo
	s_or_saveexec_b32 s27, s27
	v_mov_b32_e32 v112, 0x7f800001
	s_xor_b32 exec_lo, exec_lo, s27
	s_cbranch_execnz .LBB2_1998
.LBB2_1683:                             ;   in Loop: Header=BB2_1679 Depth=2
	s_or_b32 exec_lo, exec_lo, s27
	s_and_saveexec_b32 s27, s12
	s_cbranch_execz .LBB2_1685
.LBB2_1684:                             ;   in Loop: Header=BB2_1679 Depth=2
	v_and_b32_e32 v112, 7, v14
	v_bfe_u32 v115, v14, 3, 4
	v_lshlrev_b32_e32 v116, 24, v14
	v_ffbh_u32_e32 v113, v112
	v_cmp_eq_u32_e32 vcc_lo, 0, v115
	v_min_u32_e32 v113, 32, v113
	v_subrev_nc_u32_e32 v114, 28, v113
	v_sub_nc_u32_e32 v113, 29, v113
	v_lshlrev_b32_e32 v114, v114, v14
	v_cndmask_b32_e32 v113, v115, v113, vcc_lo
	v_and_b32_e32 v114, 7, v114
	v_lshl_add_u32 v113, v113, 23, 0x3b800000
	v_cndmask_b32_e32 v112, v112, v114, vcc_lo
	v_and_b32_e32 v114, 0x80000000, v116
	v_lshlrev_b32_e32 v112, 20, v112
	v_or3_b32 v112, v114, v113, v112
.LBB2_1685:                             ;   in Loop: Header=BB2_1679 Depth=2
	s_or_b32 exec_lo, exec_lo, s27
	s_waitcnt vmcnt(0)
	v_cmp_gt_i16_sdwa s27, v10, v85 src0_sel:BYTE_0 src1_sel:DWORD
	s_mov_b32 s12, 0
	s_and_saveexec_b32 s28, s27
	s_xor_b32 s27, exec_lo, s28
	s_cbranch_execz .LBB2_1999
; %bb.1686:                             ;   in Loop: Header=BB2_1679 Depth=2
	v_cmp_eq_u16_sdwa s29, v10, v86 src0_sel:BYTE_0 src1_sel:DWORD
	s_mov_b32 s12, -1
	s_and_saveexec_b32 s28, s29
; %bb.1687:                             ;   in Loop: Header=BB2_1679 Depth=2
	s_xor_b32 s12, exec_lo, -1
; %bb.1688:                             ;   in Loop: Header=BB2_1679 Depth=2
	s_or_b32 exec_lo, exec_lo, s28
	s_and_b32 s12, s12, exec_lo
	s_or_saveexec_b32 s27, s27
	v_mov_b32_e32 v113, 0x7f800001
	s_xor_b32 exec_lo, exec_lo, s27
	s_cbranch_execnz .LBB2_2000
.LBB2_1689:                             ;   in Loop: Header=BB2_1679 Depth=2
	s_or_b32 exec_lo, exec_lo, s27
	s_and_saveexec_b32 s27, s12
	s_cbranch_execz .LBB2_1691
.LBB2_1690:                             ;   in Loop: Header=BB2_1679 Depth=2
	v_and_b32_e32 v113, 7, v10
	v_bfe_u32 v116, v10, 3, 4
	v_lshlrev_b32_e32 v117, 24, v10
	v_ffbh_u32_e32 v114, v113
	v_cmp_eq_u32_e32 vcc_lo, 0, v116
	v_min_u32_e32 v114, 32, v114
	v_subrev_nc_u32_e32 v115, 28, v114
	v_sub_nc_u32_e32 v114, 29, v114
	v_lshlrev_b32_e32 v115, v115, v10
	v_cndmask_b32_e32 v114, v116, v114, vcc_lo
	v_and_b32_e32 v115, 7, v115
	v_lshl_add_u32 v114, v114, 23, 0x3b800000
	v_cndmask_b32_e32 v113, v113, v115, vcc_lo
	v_and_b32_e32 v115, 0x80000000, v117
	v_lshlrev_b32_e32 v113, 20, v113
	v_or3_b32 v113, v115, v114, v113
.LBB2_1691:                             ;   in Loop: Header=BB2_1679 Depth=2
	s_or_b32 exec_lo, exec_lo, s27
	v_add_f32_e32 v113, v112, v113
	v_and_b32_e32 v112, 0x7f800000, v113
	v_cmp_ne_u32_e32 vcc_lo, 0x7f800000, v112
	v_mov_b32_e32 v112, 0x80
	s_and_saveexec_b32 s27, vcc_lo
	s_cbranch_execz .LBB2_1699
; %bb.1692:                             ;   in Loop: Header=BB2_1679 Depth=2
	v_mov_b32_e32 v112, 0
	s_mov_b32 s28, exec_lo
	v_cmpx_ne_u32_e32 0, v113
	s_cbranch_execz .LBB2_1698
; %bb.1693:                             ;   in Loop: Header=BB2_1679 Depth=2
	v_bfe_u32 v112, v113, 23, 8
	v_and_b32_e32 v114, 0x7fffff, v113
	v_sub_nc_u32_e32 v115, 0x78, v112
	v_cmp_gt_u32_e32 vcc_lo, 0x79, v112
	v_or_b32_e32 v116, 0x800000, v114
	v_cndmask_b32_e32 v115, 0, v115, vcc_lo
	v_cmp_eq_u32_e32 vcc_lo, 0, v112
	v_add_nc_u32_e32 v112, 0xffffff89, v112
	v_cndmask_b32_e64 v115, v115, 0x77, vcc_lo
	v_cndmask_b32_e32 v114, v116, v114, vcc_lo
	v_cndmask_b32_e64 v112, v112, 0xffffff8a, vcc_lo
	v_lshl_add_u32 v116, 0x100000, v115, -1
	v_lshrrev_b32_e32 v117, v115, v114
	v_lshlrev_b32_e64 v119, v115, 0x80000
	v_add_nc_u32_e32 v115, v115, v112
	v_and_b32_e32 v114, v116, v114
	v_bfe_u32 v118, v117, 20, 1
	v_cmp_eq_u32_e64 s12, v114, v119
	v_add_nc_u32_e32 v116, -1, v118
	v_cndmask_b32_e64 v114, 0, v116, s12
	v_lshrrev_b32_e32 v116, 23, v117
	s_mov_b32 s12, exec_lo
	v_add_nc_u32_e32 v114, v114, v117
	v_xor_b32_e32 v116, 1, v116
	v_and_b32_e32 v112, 0xfffff, v114
	v_add_nc_u32_e32 v114, v112, v117
                                        ; implicit-def: $vgpr112
	v_cmpx_ne_u32_e64 v115, v116
	s_xor_b32 s12, exec_lo, s12
; %bb.1694:                             ;   in Loop: Header=BB2_1679 Depth=2
	v_cmp_lt_u32_e32 vcc_lo, 0xffffff, v114
	v_sub_nc_u32_e32 v112, v115, v116
	v_cndmask_b32_e64 v115, 0, 1, vcc_lo
	v_add_co_ci_u32_e64 v112, null, 0, v112, vcc_lo
	v_lshrrev_b32_e32 v114, v115, v114
; %bb.1695:                             ;   in Loop: Header=BB2_1679 Depth=2
	s_andn2_saveexec_b32 s12, s12
; %bb.1696:                             ;   in Loop: Header=BB2_1679 Depth=2
	v_bfe_u32 v112, v114, 23, 1
; %bb.1697:                             ;   in Loop: Header=BB2_1679 Depth=2
	s_or_b32 exec_lo, exec_lo, s12
	v_lshrrev_b32_e32 v114, 20, v114
	v_min_i32_e32 v115, 15, v112
	v_cmp_gt_i32_e32 vcc_lo, 16, v112
	v_and_b32_sdwa v113, v113, v86 dst_sel:DWORD dst_unused:UNUSED_PAD src0_sel:BYTE_3 src1_sel:DWORD
	v_lshlrev_b32_e32 v115, 3, v115
	v_cndmask_b32_e32 v114, 7, v114, vcc_lo
	v_and_b32_e32 v115, 0xf8, v115
	v_and_b32_e32 v116, 7, v114
	v_or_b32_e32 v112, v112, v114
	v_or3_b32 v113, v115, v113, v116
	v_cmp_ne_u32_e32 vcc_lo, 0, v112
	v_cndmask_b32_e32 v112, 0, v113, vcc_lo
.LBB2_1698:                             ;   in Loop: Header=BB2_1679 Depth=2
	s_or_b32 exec_lo, exec_lo, s28
.LBB2_1699:                             ;   in Loop: Header=BB2_1679 Depth=2
	s_or_b32 exec_lo, exec_lo, s27
	v_cmp_gt_i16_sdwa s27, v14, v85 src0_sel:BYTE_1 src1_sel:DWORD
	s_mov_b32 s12, 0
	s_and_saveexec_b32 s28, s27
	s_xor_b32 s27, exec_lo, s28
	s_cbranch_execz .LBB2_2001
; %bb.1700:                             ;   in Loop: Header=BB2_1679 Depth=2
	v_cmp_eq_u16_sdwa s29, v14, v86 src0_sel:BYTE_1 src1_sel:DWORD
	s_mov_b32 s12, -1
	s_and_saveexec_b32 s28, s29
; %bb.1701:                             ;   in Loop: Header=BB2_1679 Depth=2
	s_xor_b32 s12, exec_lo, -1
; %bb.1702:                             ;   in Loop: Header=BB2_1679 Depth=2
	s_or_b32 exec_lo, exec_lo, s28
	s_and_b32 s12, s12, exec_lo
	s_or_saveexec_b32 s27, s27
	v_mov_b32_e32 v113, 0x7f800001
	s_xor_b32 exec_lo, exec_lo, s27
	s_cbranch_execnz .LBB2_2002
.LBB2_1703:                             ;   in Loop: Header=BB2_1679 Depth=2
	s_or_b32 exec_lo, exec_lo, s27
	s_and_saveexec_b32 s27, s12
	s_cbranch_execz .LBB2_1705
.LBB2_1704:                             ;   in Loop: Header=BB2_1679 Depth=2
	v_and_b32_sdwa v113, v87, v14 dst_sel:DWORD dst_unused:UNUSED_PAD src0_sel:DWORD src1_sel:BYTE_1
	v_and_b32_e32 v114, 7, v113
	v_bfe_u32 v117, v113, 3, 4
	v_ffbh_u32_e32 v115, v114
	v_cmp_eq_u32_e32 vcc_lo, 0, v117
	v_min_u32_e32 v115, 32, v115
	v_subrev_nc_u32_e32 v116, 28, v115
	v_sub_nc_u32_e32 v115, 29, v115
	v_lshlrev_b32_e32 v113, v116, v113
	v_lshlrev_b32_sdwa v116, v96, v14 dst_sel:DWORD dst_unused:UNUSED_PAD src0_sel:DWORD src1_sel:BYTE_1
	v_cndmask_b32_e32 v115, v117, v115, vcc_lo
	v_and_b32_e32 v113, 7, v113
	v_lshl_add_u32 v115, v115, 23, 0x3b800000
	v_cndmask_b32_e32 v113, v114, v113, vcc_lo
	v_and_b32_e32 v114, 0x80000000, v116
	v_lshlrev_b32_e32 v113, 20, v113
	v_or3_b32 v113, v114, v115, v113
.LBB2_1705:                             ;   in Loop: Header=BB2_1679 Depth=2
	s_or_b32 exec_lo, exec_lo, s27
	v_cmp_gt_i16_sdwa s27, v10, v85 src0_sel:BYTE_1 src1_sel:DWORD
	s_mov_b32 s12, 0
	s_and_saveexec_b32 s28, s27
	s_xor_b32 s27, exec_lo, s28
	s_cbranch_execz .LBB2_2003
; %bb.1706:                             ;   in Loop: Header=BB2_1679 Depth=2
	v_cmp_eq_u16_sdwa s29, v10, v86 src0_sel:BYTE_1 src1_sel:DWORD
	s_mov_b32 s12, -1
	s_and_saveexec_b32 s28, s29
; %bb.1707:                             ;   in Loop: Header=BB2_1679 Depth=2
	s_xor_b32 s12, exec_lo, -1
; %bb.1708:                             ;   in Loop: Header=BB2_1679 Depth=2
	s_or_b32 exec_lo, exec_lo, s28
	s_and_b32 s12, s12, exec_lo
	s_or_saveexec_b32 s27, s27
	v_mov_b32_e32 v114, 0x7f800001
	s_xor_b32 exec_lo, exec_lo, s27
	s_cbranch_execnz .LBB2_2004
.LBB2_1709:                             ;   in Loop: Header=BB2_1679 Depth=2
	s_or_b32 exec_lo, exec_lo, s27
	s_and_saveexec_b32 s27, s12
	s_cbranch_execz .LBB2_1711
.LBB2_1710:                             ;   in Loop: Header=BB2_1679 Depth=2
	v_and_b32_sdwa v114, v87, v10 dst_sel:DWORD dst_unused:UNUSED_PAD src0_sel:DWORD src1_sel:BYTE_1
	v_and_b32_e32 v115, 7, v114
	v_bfe_u32 v118, v114, 3, 4
	v_ffbh_u32_e32 v116, v115
	v_cmp_eq_u32_e32 vcc_lo, 0, v118
	v_min_u32_e32 v116, 32, v116
	v_subrev_nc_u32_e32 v117, 28, v116
	v_sub_nc_u32_e32 v116, 29, v116
	v_lshlrev_b32_e32 v114, v117, v114
	v_lshlrev_b32_sdwa v117, v96, v10 dst_sel:DWORD dst_unused:UNUSED_PAD src0_sel:DWORD src1_sel:BYTE_1
	v_cndmask_b32_e32 v116, v118, v116, vcc_lo
	v_and_b32_e32 v114, 7, v114
	v_lshl_add_u32 v116, v116, 23, 0x3b800000
	v_cndmask_b32_e32 v114, v115, v114, vcc_lo
	v_and_b32_e32 v115, 0x80000000, v117
	v_lshlrev_b32_e32 v114, 20, v114
	v_or3_b32 v114, v115, v116, v114
.LBB2_1711:                             ;   in Loop: Header=BB2_1679 Depth=2
	s_or_b32 exec_lo, exec_lo, s27
	v_add_f32_e32 v114, v113, v114
	v_and_b32_e32 v113, 0x7f800000, v114
	v_cmp_ne_u32_e32 vcc_lo, 0x7f800000, v113
	v_mov_b32_e32 v113, 0x8000
	s_and_saveexec_b32 s27, vcc_lo
	s_cbranch_execz .LBB2_1719
; %bb.1712:                             ;   in Loop: Header=BB2_1679 Depth=2
	v_mov_b32_e32 v113, 0
	s_mov_b32 s28, exec_lo
	v_cmpx_ne_u32_e32 0, v114
	s_cbranch_execz .LBB2_1718
; %bb.1713:                             ;   in Loop: Header=BB2_1679 Depth=2
	v_bfe_u32 v113, v114, 23, 8
	v_and_b32_e32 v115, 0x7fffff, v114
	v_sub_nc_u32_e32 v116, 0x78, v113
	v_cmp_gt_u32_e32 vcc_lo, 0x79, v113
	v_or_b32_e32 v117, 0x800000, v115
	v_cndmask_b32_e32 v116, 0, v116, vcc_lo
	v_cmp_eq_u32_e32 vcc_lo, 0, v113
	v_add_nc_u32_e32 v113, 0xffffff89, v113
	v_cndmask_b32_e64 v116, v116, 0x77, vcc_lo
	v_cndmask_b32_e32 v115, v117, v115, vcc_lo
	v_cndmask_b32_e64 v113, v113, 0xffffff8a, vcc_lo
	v_lshl_add_u32 v117, 0x100000, v116, -1
	v_lshrrev_b32_e32 v118, v116, v115
	v_lshlrev_b32_e64 v40, v116, 0x80000
	v_add_nc_u32_e32 v116, v116, v113
	v_and_b32_e32 v115, v117, v115
	v_bfe_u32 v119, v118, 20, 1
	v_cmp_eq_u32_e64 s12, v115, v40
	v_add_nc_u32_e32 v117, -1, v119
	v_cndmask_b32_e64 v115, 0, v117, s12
	v_lshrrev_b32_e32 v117, 23, v118
	s_mov_b32 s12, exec_lo
	v_add_nc_u32_e32 v115, v115, v118
	v_xor_b32_e32 v117, 1, v117
	v_and_b32_e32 v113, 0xfffff, v115
	v_add_nc_u32_e32 v115, v113, v118
                                        ; implicit-def: $vgpr113
	v_cmpx_ne_u32_e64 v116, v117
	s_xor_b32 s12, exec_lo, s12
; %bb.1714:                             ;   in Loop: Header=BB2_1679 Depth=2
	v_cmp_lt_u32_e32 vcc_lo, 0xffffff, v115
	v_sub_nc_u32_e32 v113, v116, v117
	v_cndmask_b32_e64 v116, 0, 1, vcc_lo
	v_add_co_ci_u32_e64 v113, null, 0, v113, vcc_lo
	v_lshrrev_b32_e32 v115, v116, v115
; %bb.1715:                             ;   in Loop: Header=BB2_1679 Depth=2
	s_andn2_saveexec_b32 s12, s12
; %bb.1716:                             ;   in Loop: Header=BB2_1679 Depth=2
	v_bfe_u32 v113, v115, 23, 1
; %bb.1717:                             ;   in Loop: Header=BB2_1679 Depth=2
	s_or_b32 exec_lo, exec_lo, s12
	v_lshrrev_b32_e32 v115, 20, v115
	v_min_i32_e32 v116, 15, v113
	v_cmp_gt_i32_e32 vcc_lo, 16, v113
	v_and_b32_sdwa v114, v114, v86 dst_sel:DWORD dst_unused:UNUSED_PAD src0_sel:BYTE_3 src1_sel:DWORD
	v_lshlrev_b32_e32 v116, 3, v116
	v_cndmask_b32_e32 v115, 7, v115, vcc_lo
	v_and_b32_e32 v116, 0xf8, v116
	v_and_b32_e32 v117, 7, v115
	v_or_b32_e32 v113, v113, v115
	v_or3_b32 v114, v114, v116, v117
	v_cmp_ne_u32_e32 vcc_lo, 0, v113
	v_lshlrev_b32_e32 v114, 8, v114
	v_cndmask_b32_e32 v113, 0, v114, vcc_lo
.LBB2_1718:                             ;   in Loop: Header=BB2_1679 Depth=2
	s_or_b32 exec_lo, exec_lo, s28
.LBB2_1719:                             ;   in Loop: Header=BB2_1679 Depth=2
	s_or_b32 exec_lo, exec_lo, s27
	v_and_b32_sdwa v115, v14, v97 dst_sel:DWORD dst_unused:UNUSED_PAD src0_sel:WORD_1 src1_sel:DWORD
	s_mov_b32 s12, 0
	s_mov_b32 s27, exec_lo
	v_cmpx_lt_i16_e32 0x7f, v115
	s_xor_b32 s27, exec_lo, s27
	s_cbranch_execz .LBB2_2005
; %bb.1720:                             ;   in Loop: Header=BB2_1679 Depth=2
	s_mov_b32 s12, -1
	s_mov_b32 s28, exec_lo
	v_cmpx_eq_u16_e32 0x80, v115
; %bb.1721:                             ;   in Loop: Header=BB2_1679 Depth=2
	s_xor_b32 s12, exec_lo, -1
; %bb.1722:                             ;   in Loop: Header=BB2_1679 Depth=2
	s_or_b32 exec_lo, exec_lo, s28
	s_and_b32 s12, s12, exec_lo
                                        ; implicit-def: $vgpr115
	s_or_saveexec_b32 s27, s27
	v_mov_b32_e32 v114, 0x7f800001
	s_xor_b32 exec_lo, exec_lo, s27
	s_cbranch_execnz .LBB2_2006
.LBB2_1723:                             ;   in Loop: Header=BB2_1679 Depth=2
	s_or_b32 exec_lo, exec_lo, s27
	s_and_saveexec_b32 s27, s12
	s_cbranch_execz .LBB2_1725
.LBB2_1724:                             ;   in Loop: Header=BB2_1679 Depth=2
	v_bfe_u32 v114, v14, 16, 3
	v_bfe_u32 v117, v14, 19, 4
	v_lshlrev_b32_e32 v118, 8, v14
	v_ffbh_u32_e32 v115, v114
	v_cmp_eq_u32_e32 vcc_lo, 0, v117
	v_min_u32_e32 v115, 32, v115
	v_subrev_nc_u32_e32 v116, 28, v115
	v_sub_nc_u32_e32 v115, 29, v115
	v_lshlrev_b32_sdwa v116, v116, v14 dst_sel:DWORD dst_unused:UNUSED_PAD src0_sel:DWORD src1_sel:WORD_1
	v_cndmask_b32_e32 v115, v117, v115, vcc_lo
	v_and_b32_e32 v116, 7, v116
	v_lshl_add_u32 v115, v115, 23, 0x3b800000
	v_cndmask_b32_e32 v114, v114, v116, vcc_lo
	v_and_b32_e32 v116, 0x80000000, v118
	v_lshlrev_b32_e32 v114, 20, v114
	v_or3_b32 v114, v116, v115, v114
.LBB2_1725:                             ;   in Loop: Header=BB2_1679 Depth=2
	s_or_b32 exec_lo, exec_lo, s27
	v_and_b32_sdwa v116, v10, v97 dst_sel:DWORD dst_unused:UNUSED_PAD src0_sel:WORD_1 src1_sel:DWORD
	s_mov_b32 s12, 0
	s_mov_b32 s27, exec_lo
	v_cmpx_lt_i16_e32 0x7f, v116
	s_xor_b32 s27, exec_lo, s27
	s_cbranch_execz .LBB2_2007
; %bb.1726:                             ;   in Loop: Header=BB2_1679 Depth=2
	s_mov_b32 s12, -1
	s_mov_b32 s28, exec_lo
	v_cmpx_eq_u16_e32 0x80, v116
; %bb.1727:                             ;   in Loop: Header=BB2_1679 Depth=2
	s_xor_b32 s12, exec_lo, -1
; %bb.1728:                             ;   in Loop: Header=BB2_1679 Depth=2
	s_or_b32 exec_lo, exec_lo, s28
	s_and_b32 s12, s12, exec_lo
                                        ; implicit-def: $vgpr116
	s_or_saveexec_b32 s27, s27
	v_mov_b32_e32 v115, 0x7f800001
	s_xor_b32 exec_lo, exec_lo, s27
	s_cbranch_execnz .LBB2_2008
.LBB2_1729:                             ;   in Loop: Header=BB2_1679 Depth=2
	s_or_b32 exec_lo, exec_lo, s27
	s_and_saveexec_b32 s27, s12
	s_cbranch_execz .LBB2_1731
.LBB2_1730:                             ;   in Loop: Header=BB2_1679 Depth=2
	v_and_b32_sdwa v115, v10, v98 dst_sel:DWORD dst_unused:UNUSED_PAD src0_sel:WORD_1 src1_sel:DWORD
	v_bfe_u32 v118, v10, 19, 4
	v_lshlrev_b32_sdwa v119, v96, v10 dst_sel:DWORD dst_unused:UNUSED_PAD src0_sel:DWORD src1_sel:WORD_1
	v_ffbh_u32_e32 v116, v115
	v_cmp_eq_u32_e32 vcc_lo, 0, v118
	v_min_u32_e32 v116, 32, v116
	v_subrev_nc_u32_e32 v117, 28, v116
	v_sub_nc_u32_e32 v116, 29, v116
	v_lshlrev_b32_sdwa v117, v117, v10 dst_sel:DWORD dst_unused:UNUSED_PAD src0_sel:DWORD src1_sel:WORD_1
	v_cndmask_b32_e32 v116, v118, v116, vcc_lo
	v_and_b32_e32 v117, 7, v117
	v_lshl_add_u32 v116, v116, 23, 0x3b800000
	v_cndmask_b32_e32 v115, v115, v117, vcc_lo
	v_and_b32_e32 v117, 0x80000000, v119
	v_lshlrev_b32_e32 v115, 20, v115
	v_or3_b32 v115, v117, v116, v115
.LBB2_1731:                             ;   in Loop: Header=BB2_1679 Depth=2
	s_or_b32 exec_lo, exec_lo, s27
	v_add_f32_e32 v115, v114, v115
	v_and_b32_e32 v114, 0x7f800000, v115
	v_cmp_ne_u32_e32 vcc_lo, 0x7f800000, v114
	v_mov_b32_e32 v114, 0x80
	s_and_saveexec_b32 s27, vcc_lo
	s_cbranch_execz .LBB2_1739
; %bb.1732:                             ;   in Loop: Header=BB2_1679 Depth=2
	v_mov_b32_e32 v114, 0
	s_mov_b32 s28, exec_lo
	v_cmpx_ne_u32_e32 0, v115
	s_cbranch_execz .LBB2_1738
; %bb.1733:                             ;   in Loop: Header=BB2_1679 Depth=2
	v_bfe_u32 v114, v115, 23, 8
	v_and_b32_e32 v116, 0x7fffff, v115
	v_sub_nc_u32_e32 v117, 0x78, v114
	v_cmp_gt_u32_e32 vcc_lo, 0x79, v114
	v_or_b32_e32 v118, 0x800000, v116
	v_cndmask_b32_e32 v117, 0, v117, vcc_lo
	v_cmp_eq_u32_e32 vcc_lo, 0, v114
	v_add_nc_u32_e32 v114, 0xffffff89, v114
	v_cndmask_b32_e64 v117, v117, 0x77, vcc_lo
	v_cndmask_b32_e32 v116, v118, v116, vcc_lo
	v_cndmask_b32_e64 v114, v114, 0xffffff8a, vcc_lo
	v_lshl_add_u32 v118, 0x100000, v117, -1
	v_lshrrev_b32_e32 v119, v117, v116
	v_lshlrev_b32_e64 v41, v117, 0x80000
	v_add_nc_u32_e32 v117, v117, v114
	v_and_b32_e32 v116, v118, v116
	v_bfe_u32 v40, v119, 20, 1
	v_cmp_eq_u32_e64 s12, v116, v41
	v_add_nc_u32_e32 v118, -1, v40
	v_cndmask_b32_e64 v116, 0, v118, s12
	v_lshrrev_b32_e32 v118, 23, v119
	s_mov_b32 s12, exec_lo
	v_add_nc_u32_e32 v116, v116, v119
	v_xor_b32_e32 v118, 1, v118
	v_and_b32_e32 v114, 0xfffff, v116
	v_add_nc_u32_e32 v116, v114, v119
                                        ; implicit-def: $vgpr114
	v_cmpx_ne_u32_e64 v117, v118
	s_xor_b32 s12, exec_lo, s12
; %bb.1734:                             ;   in Loop: Header=BB2_1679 Depth=2
	v_cmp_lt_u32_e32 vcc_lo, 0xffffff, v116
	v_sub_nc_u32_e32 v114, v117, v118
	v_cndmask_b32_e64 v117, 0, 1, vcc_lo
	v_add_co_ci_u32_e64 v114, null, 0, v114, vcc_lo
	v_lshrrev_b32_e32 v116, v117, v116
; %bb.1735:                             ;   in Loop: Header=BB2_1679 Depth=2
	s_andn2_saveexec_b32 s12, s12
; %bb.1736:                             ;   in Loop: Header=BB2_1679 Depth=2
	v_bfe_u32 v114, v116, 23, 1
; %bb.1737:                             ;   in Loop: Header=BB2_1679 Depth=2
	s_or_b32 exec_lo, exec_lo, s12
	v_lshrrev_b32_e32 v116, 20, v116
	v_min_i32_e32 v117, 15, v114
	v_cmp_gt_i32_e32 vcc_lo, 16, v114
	v_and_b32_sdwa v115, v115, v86 dst_sel:DWORD dst_unused:UNUSED_PAD src0_sel:BYTE_3 src1_sel:DWORD
	v_lshlrev_b32_e32 v117, 3, v117
	v_cndmask_b32_e32 v116, 7, v116, vcc_lo
	v_and_b32_e32 v117, 0xf8, v117
	v_and_b32_e32 v118, 7, v116
	v_or_b32_e32 v114, v114, v116
	v_or3_b32 v115, v117, v115, v118
	v_cmp_ne_u32_e32 vcc_lo, 0, v114
	v_cndmask_b32_e32 v114, 0, v115, vcc_lo
.LBB2_1738:                             ;   in Loop: Header=BB2_1679 Depth=2
	s_or_b32 exec_lo, exec_lo, s28
.LBB2_1739:                             ;   in Loop: Header=BB2_1679 Depth=2
	s_or_b32 exec_lo, exec_lo, s27
	v_cmp_gt_i16_sdwa s27, v14, v85 src0_sel:BYTE_3 src1_sel:DWORD
	s_mov_b32 s12, 0
	s_and_saveexec_b32 s28, s27
	s_xor_b32 s27, exec_lo, s28
	s_cbranch_execz .LBB2_2009
; %bb.1740:                             ;   in Loop: Header=BB2_1679 Depth=2
	v_cmp_eq_u16_sdwa s29, v14, v86 src0_sel:BYTE_3 src1_sel:DWORD
	s_mov_b32 s12, -1
	s_and_saveexec_b32 s28, s29
; %bb.1741:                             ;   in Loop: Header=BB2_1679 Depth=2
	s_xor_b32 s12, exec_lo, -1
; %bb.1742:                             ;   in Loop: Header=BB2_1679 Depth=2
	s_or_b32 exec_lo, exec_lo, s28
	s_and_b32 s12, s12, exec_lo
	s_or_saveexec_b32 s27, s27
	v_mov_b32_e32 v115, 0x7f800001
	s_xor_b32 exec_lo, exec_lo, s27
	s_cbranch_execnz .LBB2_2010
.LBB2_1743:                             ;   in Loop: Header=BB2_1679 Depth=2
	s_or_b32 exec_lo, exec_lo, s27
	s_and_saveexec_b32 s27, s12
	s_cbranch_execz .LBB2_1745
.LBB2_1744:                             ;   in Loop: Header=BB2_1679 Depth=2
	v_bfe_u32 v115, v14, 24, 3
	v_bfe_u32 v118, v14, 27, 4
	v_ffbh_u32_e32 v116, v115
	v_cmp_eq_u32_e32 vcc_lo, 0, v118
	v_min_u32_e32 v116, 32, v116
	v_subrev_nc_u32_e32 v117, 28, v116
	v_sub_nc_u32_e32 v116, 29, v116
	v_lshlrev_b32_sdwa v117, v117, v14 dst_sel:DWORD dst_unused:UNUSED_PAD src0_sel:DWORD src1_sel:BYTE_3
	v_cndmask_b32_e32 v116, v118, v116, vcc_lo
	v_and_b32_e32 v14, 0x80000000, v14
	v_and_b32_e32 v117, 7, v117
	v_lshl_add_u32 v116, v116, 23, 0x3b800000
	v_cndmask_b32_e32 v115, v115, v117, vcc_lo
	v_lshlrev_b32_e32 v115, 20, v115
	v_or3_b32 v115, v14, v116, v115
.LBB2_1745:                             ;   in Loop: Header=BB2_1679 Depth=2
	s_or_b32 exec_lo, exec_lo, s27
	v_cmp_gt_i16_sdwa s27, v10, v85 src0_sel:BYTE_3 src1_sel:DWORD
	s_mov_b32 s12, 0
	s_and_saveexec_b32 s28, s27
	s_xor_b32 s27, exec_lo, s28
	s_cbranch_execz .LBB2_2011
; %bb.1746:                             ;   in Loop: Header=BB2_1679 Depth=2
	v_cmp_eq_u16_sdwa s29, v10, v86 src0_sel:BYTE_3 src1_sel:DWORD
	s_mov_b32 s12, -1
	s_and_saveexec_b32 s28, s29
; %bb.1747:                             ;   in Loop: Header=BB2_1679 Depth=2
	s_xor_b32 s12, exec_lo, -1
; %bb.1748:                             ;   in Loop: Header=BB2_1679 Depth=2
	s_or_b32 exec_lo, exec_lo, s28
	s_and_b32 s12, s12, exec_lo
	s_or_saveexec_b32 s27, s27
	v_mov_b32_e32 v14, 0x7f800001
	s_xor_b32 exec_lo, exec_lo, s27
	s_cbranch_execnz .LBB2_2012
.LBB2_1749:                             ;   in Loop: Header=BB2_1679 Depth=2
	s_or_b32 exec_lo, exec_lo, s27
	s_and_saveexec_b32 s27, s12
	s_cbranch_execz .LBB2_1751
.LBB2_1750:                             ;   in Loop: Header=BB2_1679 Depth=2
	v_and_b32_sdwa v14, v10, v98 dst_sel:DWORD dst_unused:UNUSED_PAD src0_sel:BYTE_3 src1_sel:DWORD
	v_bfe_u32 v118, v10, 27, 4
	v_ffbh_u32_e32 v116, v14
	v_cmp_eq_u32_e32 vcc_lo, 0, v118
	v_min_u32_e32 v116, 32, v116
	v_subrev_nc_u32_e32 v117, 28, v116
	v_sub_nc_u32_e32 v116, 29, v116
	v_lshlrev_b32_sdwa v117, v117, v10 dst_sel:DWORD dst_unused:UNUSED_PAD src0_sel:DWORD src1_sel:BYTE_3
	v_cndmask_b32_e32 v116, v118, v116, vcc_lo
	v_and_b32_e32 v10, 0x80000000, v10
	v_and_b32_e32 v117, 7, v117
	v_lshl_add_u32 v116, v116, 23, 0x3b800000
	v_cndmask_b32_e32 v14, v14, v117, vcc_lo
	v_lshlrev_b32_e32 v14, 20, v14
	v_or3_b32 v14, v10, v116, v14
.LBB2_1751:                             ;   in Loop: Header=BB2_1679 Depth=2
	s_or_b32 exec_lo, exec_lo, s27
	v_add_f32_e32 v14, v115, v14
	v_and_b32_e32 v10, 0x7f800000, v14
	v_cmp_ne_u32_e32 vcc_lo, 0x7f800000, v10
	v_mov_b32_e32 v10, 0x8000
	s_and_saveexec_b32 s27, vcc_lo
	s_cbranch_execz .LBB2_1759
; %bb.1752:                             ;   in Loop: Header=BB2_1679 Depth=2
	v_mov_b32_e32 v10, 0
	s_mov_b32 s28, exec_lo
	v_cmpx_ne_u32_e32 0, v14
	s_cbranch_execz .LBB2_1758
; %bb.1753:                             ;   in Loop: Header=BB2_1679 Depth=2
	v_bfe_u32 v10, v14, 23, 8
	v_and_b32_e32 v115, 0x7fffff, v14
	v_sub_nc_u32_e32 v116, 0x78, v10
	v_cmp_gt_u32_e32 vcc_lo, 0x79, v10
	v_or_b32_e32 v117, 0x800000, v115
	v_cndmask_b32_e32 v116, 0, v116, vcc_lo
	v_cmp_eq_u32_e32 vcc_lo, 0, v10
	v_add_nc_u32_e32 v10, 0xffffff89, v10
	v_cndmask_b32_e64 v116, v116, 0x77, vcc_lo
	v_cndmask_b32_e32 v115, v117, v115, vcc_lo
	v_cndmask_b32_e64 v10, v10, 0xffffff8a, vcc_lo
	v_lshl_add_u32 v117, 0x100000, v116, -1
	v_lshrrev_b32_e32 v118, v116, v115
	v_lshlrev_b32_e64 v40, v116, 0x80000
	v_add_nc_u32_e32 v116, v116, v10
	v_and_b32_e32 v115, v117, v115
	v_bfe_u32 v119, v118, 20, 1
	v_cmp_eq_u32_e64 s12, v115, v40
	v_add_nc_u32_e32 v117, -1, v119
	v_cndmask_b32_e64 v115, 0, v117, s12
	v_lshrrev_b32_e32 v117, 23, v118
	s_mov_b32 s12, exec_lo
	v_add_nc_u32_e32 v115, v115, v118
	v_xor_b32_e32 v117, 1, v117
	v_and_b32_e32 v10, 0xfffff, v115
	v_add_nc_u32_e32 v115, v10, v118
                                        ; implicit-def: $vgpr10
	v_cmpx_ne_u32_e64 v116, v117
	s_xor_b32 s12, exec_lo, s12
; %bb.1754:                             ;   in Loop: Header=BB2_1679 Depth=2
	v_cmp_lt_u32_e32 vcc_lo, 0xffffff, v115
	v_sub_nc_u32_e32 v10, v116, v117
	v_cndmask_b32_e64 v116, 0, 1, vcc_lo
	v_add_co_ci_u32_e64 v10, null, 0, v10, vcc_lo
	v_lshrrev_b32_e32 v115, v116, v115
; %bb.1755:                             ;   in Loop: Header=BB2_1679 Depth=2
	s_andn2_saveexec_b32 s12, s12
; %bb.1756:                             ;   in Loop: Header=BB2_1679 Depth=2
	v_bfe_u32 v10, v115, 23, 1
; %bb.1757:                             ;   in Loop: Header=BB2_1679 Depth=2
	s_or_b32 exec_lo, exec_lo, s12
	v_lshrrev_b32_e32 v115, 20, v115
	v_min_i32_e32 v116, 15, v10
	v_cmp_gt_i32_e32 vcc_lo, 16, v10
	v_and_b32_sdwa v14, v14, v86 dst_sel:DWORD dst_unused:UNUSED_PAD src0_sel:BYTE_3 src1_sel:DWORD
	v_lshlrev_b32_e32 v116, 3, v116
	v_cndmask_b32_e32 v115, 7, v115, vcc_lo
	v_and_b32_e32 v116, 0xf8, v116
	v_and_b32_e32 v117, 7, v115
	v_or_b32_e32 v10, v10, v115
	v_or3_b32 v14, v14, v116, v117
	v_cmp_ne_u32_e32 vcc_lo, 0, v10
	v_lshlrev_b32_e32 v14, 8, v14
	v_cndmask_b32_e32 v10, 0, v14, vcc_lo
.LBB2_1758:                             ;   in Loop: Header=BB2_1679 Depth=2
	s_or_b32 exec_lo, exec_lo, s28
.LBB2_1759:                             ;   in Loop: Header=BB2_1679 Depth=2
	s_or_b32 exec_lo, exec_lo, s27
	v_cmp_gt_i16_sdwa s27, v15, v85 src0_sel:BYTE_0 src1_sel:DWORD
	s_mov_b32 s12, 0
	s_and_saveexec_b32 s28, s27
	s_xor_b32 s27, exec_lo, s28
	s_cbranch_execz .LBB2_2013
; %bb.1760:                             ;   in Loop: Header=BB2_1679 Depth=2
	v_cmp_eq_u16_sdwa s29, v15, v86 src0_sel:BYTE_0 src1_sel:DWORD
	s_mov_b32 s12, -1
	s_and_saveexec_b32 s28, s29
; %bb.1761:                             ;   in Loop: Header=BB2_1679 Depth=2
	s_xor_b32 s12, exec_lo, -1
; %bb.1762:                             ;   in Loop: Header=BB2_1679 Depth=2
	s_or_b32 exec_lo, exec_lo, s28
	s_and_b32 s12, s12, exec_lo
	s_or_saveexec_b32 s27, s27
	v_mov_b32_e32 v14, 0x7f800001
	s_xor_b32 exec_lo, exec_lo, s27
	s_cbranch_execnz .LBB2_2014
.LBB2_1763:                             ;   in Loop: Header=BB2_1679 Depth=2
	s_or_b32 exec_lo, exec_lo, s27
	s_and_saveexec_b32 s27, s12
	s_cbranch_execz .LBB2_1765
.LBB2_1764:                             ;   in Loop: Header=BB2_1679 Depth=2
	v_and_b32_e32 v14, 7, v15
	v_bfe_u32 v117, v15, 3, 4
	v_lshlrev_b32_e32 v118, 24, v15
	v_ffbh_u32_e32 v115, v14
	v_cmp_eq_u32_e32 vcc_lo, 0, v117
	v_min_u32_e32 v115, 32, v115
	v_subrev_nc_u32_e32 v116, 28, v115
	v_sub_nc_u32_e32 v115, 29, v115
	v_lshlrev_b32_e32 v116, v116, v15
	v_cndmask_b32_e32 v115, v117, v115, vcc_lo
	v_and_b32_e32 v116, 7, v116
	v_lshl_add_u32 v115, v115, 23, 0x3b800000
	v_cndmask_b32_e32 v14, v14, v116, vcc_lo
	v_and_b32_e32 v116, 0x80000000, v118
	v_lshlrev_b32_e32 v14, 20, v14
	v_or3_b32 v14, v116, v115, v14
.LBB2_1765:                             ;   in Loop: Header=BB2_1679 Depth=2
	s_or_b32 exec_lo, exec_lo, s27
	v_cmp_gt_i16_sdwa s27, v11, v85 src0_sel:BYTE_0 src1_sel:DWORD
	s_mov_b32 s12, 0
	s_and_saveexec_b32 s28, s27
	s_xor_b32 s27, exec_lo, s28
	s_cbranch_execz .LBB2_2015
; %bb.1766:                             ;   in Loop: Header=BB2_1679 Depth=2
	v_cmp_eq_u16_sdwa s29, v11, v86 src0_sel:BYTE_0 src1_sel:DWORD
	s_mov_b32 s12, -1
	s_and_saveexec_b32 s28, s29
; %bb.1767:                             ;   in Loop: Header=BB2_1679 Depth=2
	s_xor_b32 s12, exec_lo, -1
; %bb.1768:                             ;   in Loop: Header=BB2_1679 Depth=2
	s_or_b32 exec_lo, exec_lo, s28
	s_and_b32 s12, s12, exec_lo
	s_or_saveexec_b32 s27, s27
	v_mov_b32_e32 v115, 0x7f800001
	s_xor_b32 exec_lo, exec_lo, s27
	s_cbranch_execnz .LBB2_2016
.LBB2_1769:                             ;   in Loop: Header=BB2_1679 Depth=2
	s_or_b32 exec_lo, exec_lo, s27
	s_and_saveexec_b32 s27, s12
	s_cbranch_execz .LBB2_1771
.LBB2_1770:                             ;   in Loop: Header=BB2_1679 Depth=2
	v_and_b32_e32 v115, 7, v11
	v_bfe_u32 v118, v11, 3, 4
	v_lshlrev_b32_e32 v119, 24, v11
	v_ffbh_u32_e32 v116, v115
	v_cmp_eq_u32_e32 vcc_lo, 0, v118
	v_min_u32_e32 v116, 32, v116
	v_subrev_nc_u32_e32 v117, 28, v116
	v_sub_nc_u32_e32 v116, 29, v116
	v_lshlrev_b32_e32 v117, v117, v11
	v_cndmask_b32_e32 v116, v118, v116, vcc_lo
	v_and_b32_e32 v117, 7, v117
	v_lshl_add_u32 v116, v116, 23, 0x3b800000
	v_cndmask_b32_e32 v115, v115, v117, vcc_lo
	v_and_b32_e32 v117, 0x80000000, v119
	v_lshlrev_b32_e32 v115, 20, v115
	v_or3_b32 v115, v117, v116, v115
.LBB2_1771:                             ;   in Loop: Header=BB2_1679 Depth=2
	s_or_b32 exec_lo, exec_lo, s27
	v_add_f32_e32 v115, v14, v115
	v_and_b32_e32 v14, 0x7f800000, v115
	v_cmp_ne_u32_e32 vcc_lo, 0x7f800000, v14
	v_mov_b32_e32 v14, 0x80
	s_and_saveexec_b32 s27, vcc_lo
	s_cbranch_execz .LBB2_1779
; %bb.1772:                             ;   in Loop: Header=BB2_1679 Depth=2
	v_mov_b32_e32 v14, 0
	s_mov_b32 s28, exec_lo
	v_cmpx_ne_u32_e32 0, v115
	s_cbranch_execz .LBB2_1778
; %bb.1773:                             ;   in Loop: Header=BB2_1679 Depth=2
	v_bfe_u32 v14, v115, 23, 8
	v_and_b32_e32 v116, 0x7fffff, v115
	v_sub_nc_u32_e32 v117, 0x78, v14
	v_cmp_gt_u32_e32 vcc_lo, 0x79, v14
	v_or_b32_e32 v118, 0x800000, v116
	v_cndmask_b32_e32 v117, 0, v117, vcc_lo
	v_cmp_eq_u32_e32 vcc_lo, 0, v14
	v_add_nc_u32_e32 v14, 0xffffff89, v14
	v_cndmask_b32_e64 v117, v117, 0x77, vcc_lo
	v_cndmask_b32_e32 v116, v118, v116, vcc_lo
	v_cndmask_b32_e64 v14, v14, 0xffffff8a, vcc_lo
	v_lshl_add_u32 v118, 0x100000, v117, -1
	v_lshrrev_b32_e32 v119, v117, v116
	v_lshlrev_b32_e64 v41, v117, 0x80000
	v_add_nc_u32_e32 v117, v117, v14
	v_and_b32_e32 v116, v118, v116
	v_bfe_u32 v40, v119, 20, 1
	v_cmp_eq_u32_e64 s12, v116, v41
	v_add_nc_u32_e32 v118, -1, v40
	v_cndmask_b32_e64 v116, 0, v118, s12
	v_lshrrev_b32_e32 v118, 23, v119
	s_mov_b32 s12, exec_lo
	v_add_nc_u32_e32 v116, v116, v119
	v_xor_b32_e32 v118, 1, v118
	v_and_b32_e32 v14, 0xfffff, v116
	v_add_nc_u32_e32 v116, v14, v119
                                        ; implicit-def: $vgpr14
	v_cmpx_ne_u32_e64 v117, v118
	s_xor_b32 s12, exec_lo, s12
; %bb.1774:                             ;   in Loop: Header=BB2_1679 Depth=2
	v_cmp_lt_u32_e32 vcc_lo, 0xffffff, v116
	v_sub_nc_u32_e32 v14, v117, v118
	v_cndmask_b32_e64 v117, 0, 1, vcc_lo
	v_add_co_ci_u32_e64 v14, null, 0, v14, vcc_lo
	v_lshrrev_b32_e32 v116, v117, v116
; %bb.1775:                             ;   in Loop: Header=BB2_1679 Depth=2
	s_andn2_saveexec_b32 s12, s12
; %bb.1776:                             ;   in Loop: Header=BB2_1679 Depth=2
	v_bfe_u32 v14, v116, 23, 1
; %bb.1777:                             ;   in Loop: Header=BB2_1679 Depth=2
	s_or_b32 exec_lo, exec_lo, s12
	v_lshrrev_b32_e32 v116, 20, v116
	v_min_i32_e32 v117, 15, v14
	v_cmp_gt_i32_e32 vcc_lo, 16, v14
	v_and_b32_sdwa v115, v115, v86 dst_sel:DWORD dst_unused:UNUSED_PAD src0_sel:BYTE_3 src1_sel:DWORD
	v_lshlrev_b32_e32 v117, 3, v117
	v_cndmask_b32_e32 v116, 7, v116, vcc_lo
	v_and_b32_e32 v117, 0xf8, v117
	v_and_b32_e32 v118, 7, v116
	v_or_b32_e32 v14, v14, v116
	v_or3_b32 v115, v117, v115, v118
	v_cmp_ne_u32_e32 vcc_lo, 0, v14
	v_cndmask_b32_e32 v14, 0, v115, vcc_lo
.LBB2_1778:                             ;   in Loop: Header=BB2_1679 Depth=2
	s_or_b32 exec_lo, exec_lo, s28
.LBB2_1779:                             ;   in Loop: Header=BB2_1679 Depth=2
	s_or_b32 exec_lo, exec_lo, s27
	v_cmp_gt_i16_sdwa s27, v15, v85 src0_sel:BYTE_1 src1_sel:DWORD
	s_mov_b32 s12, 0
	s_and_saveexec_b32 s28, s27
	s_xor_b32 s27, exec_lo, s28
	s_cbranch_execz .LBB2_2017
; %bb.1780:                             ;   in Loop: Header=BB2_1679 Depth=2
	v_cmp_eq_u16_sdwa s29, v15, v86 src0_sel:BYTE_1 src1_sel:DWORD
	s_mov_b32 s12, -1
	s_and_saveexec_b32 s28, s29
; %bb.1781:                             ;   in Loop: Header=BB2_1679 Depth=2
	s_xor_b32 s12, exec_lo, -1
; %bb.1782:                             ;   in Loop: Header=BB2_1679 Depth=2
	s_or_b32 exec_lo, exec_lo, s28
	s_and_b32 s12, s12, exec_lo
	s_or_saveexec_b32 s27, s27
	v_mov_b32_e32 v115, 0x7f800001
	s_xor_b32 exec_lo, exec_lo, s27
	s_cbranch_execnz .LBB2_2018
.LBB2_1783:                             ;   in Loop: Header=BB2_1679 Depth=2
	s_or_b32 exec_lo, exec_lo, s27
	s_and_saveexec_b32 s27, s12
	s_cbranch_execz .LBB2_1785
.LBB2_1784:                             ;   in Loop: Header=BB2_1679 Depth=2
	v_and_b32_sdwa v115, v87, v15 dst_sel:DWORD dst_unused:UNUSED_PAD src0_sel:DWORD src1_sel:BYTE_1
	v_and_b32_e32 v116, 7, v115
	v_bfe_u32 v119, v115, 3, 4
	v_ffbh_u32_e32 v117, v116
	v_cmp_eq_u32_e32 vcc_lo, 0, v119
	v_min_u32_e32 v117, 32, v117
	v_subrev_nc_u32_e32 v118, 28, v117
	v_sub_nc_u32_e32 v117, 29, v117
	v_lshlrev_b32_e32 v115, v118, v115
	v_lshlrev_b32_sdwa v118, v96, v15 dst_sel:DWORD dst_unused:UNUSED_PAD src0_sel:DWORD src1_sel:BYTE_1
	v_cndmask_b32_e32 v117, v119, v117, vcc_lo
	v_and_b32_e32 v115, 7, v115
	v_lshl_add_u32 v117, v117, 23, 0x3b800000
	v_cndmask_b32_e32 v115, v116, v115, vcc_lo
	v_and_b32_e32 v116, 0x80000000, v118
	v_lshlrev_b32_e32 v115, 20, v115
	v_or3_b32 v115, v116, v117, v115
.LBB2_1785:                             ;   in Loop: Header=BB2_1679 Depth=2
	s_or_b32 exec_lo, exec_lo, s27
	v_cmp_gt_i16_sdwa s27, v11, v85 src0_sel:BYTE_1 src1_sel:DWORD
	s_mov_b32 s12, 0
	s_and_saveexec_b32 s28, s27
	s_xor_b32 s27, exec_lo, s28
	s_cbranch_execz .LBB2_2019
; %bb.1786:                             ;   in Loop: Header=BB2_1679 Depth=2
	v_cmp_eq_u16_sdwa s29, v11, v86 src0_sel:BYTE_1 src1_sel:DWORD
	s_mov_b32 s12, -1
	s_and_saveexec_b32 s28, s29
; %bb.1787:                             ;   in Loop: Header=BB2_1679 Depth=2
	s_xor_b32 s12, exec_lo, -1
; %bb.1788:                             ;   in Loop: Header=BB2_1679 Depth=2
	s_or_b32 exec_lo, exec_lo, s28
	s_and_b32 s12, s12, exec_lo
	s_or_saveexec_b32 s27, s27
	v_mov_b32_e32 v116, 0x7f800001
	s_xor_b32 exec_lo, exec_lo, s27
	s_cbranch_execnz .LBB2_2020
.LBB2_1789:                             ;   in Loop: Header=BB2_1679 Depth=2
	s_or_b32 exec_lo, exec_lo, s27
	s_and_saveexec_b32 s27, s12
	s_cbranch_execz .LBB2_1791
.LBB2_1790:                             ;   in Loop: Header=BB2_1679 Depth=2
	v_and_b32_sdwa v116, v87, v11 dst_sel:DWORD dst_unused:UNUSED_PAD src0_sel:DWORD src1_sel:BYTE_1
	v_and_b32_e32 v117, 7, v116
	v_bfe_u32 v40, v116, 3, 4
	v_ffbh_u32_e32 v118, v117
	v_cmp_eq_u32_e32 vcc_lo, 0, v40
	v_min_u32_e32 v118, 32, v118
	v_subrev_nc_u32_e32 v119, 28, v118
	v_sub_nc_u32_e32 v118, 29, v118
	v_lshlrev_b32_e32 v116, v119, v116
	v_lshlrev_b32_sdwa v119, v96, v11 dst_sel:DWORD dst_unused:UNUSED_PAD src0_sel:DWORD src1_sel:BYTE_1
	v_cndmask_b32_e32 v118, v40, v118, vcc_lo
	v_and_b32_e32 v116, 7, v116
	v_lshl_add_u32 v118, v118, 23, 0x3b800000
	v_cndmask_b32_e32 v116, v117, v116, vcc_lo
	v_and_b32_e32 v117, 0x80000000, v119
	v_lshlrev_b32_e32 v116, 20, v116
	v_or3_b32 v116, v117, v118, v116
.LBB2_1791:                             ;   in Loop: Header=BB2_1679 Depth=2
	s_or_b32 exec_lo, exec_lo, s27
	v_add_f32_e32 v116, v115, v116
	v_and_b32_e32 v115, 0x7f800000, v116
	v_cmp_ne_u32_e32 vcc_lo, 0x7f800000, v115
	v_mov_b32_e32 v115, 0x8000
	s_and_saveexec_b32 s27, vcc_lo
	s_cbranch_execz .LBB2_1799
; %bb.1792:                             ;   in Loop: Header=BB2_1679 Depth=2
	v_mov_b32_e32 v115, 0
	s_mov_b32 s28, exec_lo
	v_cmpx_ne_u32_e32 0, v116
	s_cbranch_execz .LBB2_1798
; %bb.1793:                             ;   in Loop: Header=BB2_1679 Depth=2
	v_bfe_u32 v115, v116, 23, 8
	v_and_b32_e32 v117, 0x7fffff, v116
	v_sub_nc_u32_e32 v118, 0x78, v115
	v_cmp_gt_u32_e32 vcc_lo, 0x79, v115
	v_or_b32_e32 v119, 0x800000, v117
	v_cndmask_b32_e32 v118, 0, v118, vcc_lo
	v_cmp_eq_u32_e32 vcc_lo, 0, v115
	v_add_nc_u32_e32 v115, 0xffffff89, v115
	v_cndmask_b32_e64 v118, v118, 0x77, vcc_lo
	v_cndmask_b32_e32 v117, v119, v117, vcc_lo
	v_cndmask_b32_e64 v115, v115, 0xffffff8a, vcc_lo
	v_lshl_add_u32 v119, 0x100000, v118, -1
	v_lshrrev_b32_e32 v40, v118, v117
	v_lshlrev_b32_e64 v42, v118, 0x80000
	v_add_nc_u32_e32 v118, v118, v115
	v_and_b32_e32 v117, v119, v117
	v_bfe_u32 v41, v40, 20, 1
	v_cmp_eq_u32_e64 s12, v117, v42
	v_add_nc_u32_e32 v119, -1, v41
	v_cndmask_b32_e64 v117, 0, v119, s12
	v_lshrrev_b32_e32 v119, 23, v40
	s_mov_b32 s12, exec_lo
	v_add_nc_u32_e32 v117, v117, v40
	v_xor_b32_e32 v119, 1, v119
	v_and_b32_e32 v115, 0xfffff, v117
	v_add_nc_u32_e32 v117, v115, v40
                                        ; implicit-def: $vgpr115
	v_cmpx_ne_u32_e64 v118, v119
	s_xor_b32 s12, exec_lo, s12
; %bb.1794:                             ;   in Loop: Header=BB2_1679 Depth=2
	v_cmp_lt_u32_e32 vcc_lo, 0xffffff, v117
	v_sub_nc_u32_e32 v115, v118, v119
	v_cndmask_b32_e64 v118, 0, 1, vcc_lo
	v_add_co_ci_u32_e64 v115, null, 0, v115, vcc_lo
	v_lshrrev_b32_e32 v117, v118, v117
; %bb.1795:                             ;   in Loop: Header=BB2_1679 Depth=2
	s_andn2_saveexec_b32 s12, s12
; %bb.1796:                             ;   in Loop: Header=BB2_1679 Depth=2
	v_bfe_u32 v115, v117, 23, 1
; %bb.1797:                             ;   in Loop: Header=BB2_1679 Depth=2
	s_or_b32 exec_lo, exec_lo, s12
	v_lshrrev_b32_e32 v117, 20, v117
	v_min_i32_e32 v118, 15, v115
	v_cmp_gt_i32_e32 vcc_lo, 16, v115
	v_and_b32_sdwa v116, v116, v86 dst_sel:DWORD dst_unused:UNUSED_PAD src0_sel:BYTE_3 src1_sel:DWORD
	v_lshlrev_b32_e32 v118, 3, v118
	v_cndmask_b32_e32 v117, 7, v117, vcc_lo
	v_and_b32_e32 v118, 0xf8, v118
	v_and_b32_e32 v119, 7, v117
	v_or_b32_e32 v115, v115, v117
	v_or3_b32 v116, v116, v118, v119
	v_cmp_ne_u32_e32 vcc_lo, 0, v115
	v_lshlrev_b32_e32 v116, 8, v116
	v_cndmask_b32_e32 v115, 0, v116, vcc_lo
.LBB2_1798:                             ;   in Loop: Header=BB2_1679 Depth=2
	s_or_b32 exec_lo, exec_lo, s28
.LBB2_1799:                             ;   in Loop: Header=BB2_1679 Depth=2
	s_or_b32 exec_lo, exec_lo, s27
	v_and_b32_sdwa v117, v15, v97 dst_sel:DWORD dst_unused:UNUSED_PAD src0_sel:WORD_1 src1_sel:DWORD
	s_mov_b32 s12, 0
	s_mov_b32 s27, exec_lo
	v_cmpx_lt_i16_e32 0x7f, v117
	s_xor_b32 s27, exec_lo, s27
	s_cbranch_execz .LBB2_2021
; %bb.1800:                             ;   in Loop: Header=BB2_1679 Depth=2
	s_mov_b32 s12, -1
	s_mov_b32 s28, exec_lo
	v_cmpx_eq_u16_e32 0x80, v117
; %bb.1801:                             ;   in Loop: Header=BB2_1679 Depth=2
	s_xor_b32 s12, exec_lo, -1
; %bb.1802:                             ;   in Loop: Header=BB2_1679 Depth=2
	s_or_b32 exec_lo, exec_lo, s28
	s_and_b32 s12, s12, exec_lo
                                        ; implicit-def: $vgpr117
	s_or_saveexec_b32 s27, s27
	v_mov_b32_e32 v116, 0x7f800001
	s_xor_b32 exec_lo, exec_lo, s27
	s_cbranch_execnz .LBB2_2022
.LBB2_1803:                             ;   in Loop: Header=BB2_1679 Depth=2
	s_or_b32 exec_lo, exec_lo, s27
	s_and_saveexec_b32 s27, s12
	s_cbranch_execz .LBB2_1805
.LBB2_1804:                             ;   in Loop: Header=BB2_1679 Depth=2
	v_bfe_u32 v116, v15, 16, 3
	v_bfe_u32 v119, v15, 19, 4
	v_lshlrev_b32_e32 v40, 8, v15
	v_ffbh_u32_e32 v117, v116
	v_cmp_eq_u32_e32 vcc_lo, 0, v119
	v_min_u32_e32 v117, 32, v117
	v_subrev_nc_u32_e32 v118, 28, v117
	v_sub_nc_u32_e32 v117, 29, v117
	v_lshlrev_b32_sdwa v118, v118, v15 dst_sel:DWORD dst_unused:UNUSED_PAD src0_sel:DWORD src1_sel:WORD_1
	v_cndmask_b32_e32 v117, v119, v117, vcc_lo
	v_and_b32_e32 v118, 7, v118
	v_lshl_add_u32 v117, v117, 23, 0x3b800000
	v_cndmask_b32_e32 v116, v116, v118, vcc_lo
	v_and_b32_e32 v118, 0x80000000, v40
	v_lshlrev_b32_e32 v116, 20, v116
	v_or3_b32 v116, v118, v117, v116
.LBB2_1805:                             ;   in Loop: Header=BB2_1679 Depth=2
	s_or_b32 exec_lo, exec_lo, s27
	v_and_b32_sdwa v118, v11, v97 dst_sel:DWORD dst_unused:UNUSED_PAD src0_sel:WORD_1 src1_sel:DWORD
	s_mov_b32 s12, 0
	s_mov_b32 s27, exec_lo
	v_cmpx_lt_i16_e32 0x7f, v118
	s_xor_b32 s27, exec_lo, s27
	s_cbranch_execz .LBB2_2023
; %bb.1806:                             ;   in Loop: Header=BB2_1679 Depth=2
	s_mov_b32 s12, -1
	s_mov_b32 s28, exec_lo
	v_cmpx_eq_u16_e32 0x80, v118
; %bb.1807:                             ;   in Loop: Header=BB2_1679 Depth=2
	s_xor_b32 s12, exec_lo, -1
; %bb.1808:                             ;   in Loop: Header=BB2_1679 Depth=2
	s_or_b32 exec_lo, exec_lo, s28
	s_and_b32 s12, s12, exec_lo
                                        ; implicit-def: $vgpr118
	s_or_saveexec_b32 s27, s27
	v_mov_b32_e32 v117, 0x7f800001
	s_xor_b32 exec_lo, exec_lo, s27
	s_cbranch_execnz .LBB2_2024
.LBB2_1809:                             ;   in Loop: Header=BB2_1679 Depth=2
	s_or_b32 exec_lo, exec_lo, s27
	s_and_saveexec_b32 s27, s12
	s_cbranch_execz .LBB2_1811
.LBB2_1810:                             ;   in Loop: Header=BB2_1679 Depth=2
	v_and_b32_sdwa v117, v11, v98 dst_sel:DWORD dst_unused:UNUSED_PAD src0_sel:WORD_1 src1_sel:DWORD
	v_bfe_u32 v40, v11, 19, 4
	v_lshlrev_b32_sdwa v41, v96, v11 dst_sel:DWORD dst_unused:UNUSED_PAD src0_sel:DWORD src1_sel:WORD_1
	v_ffbh_u32_e32 v118, v117
	v_cmp_eq_u32_e32 vcc_lo, 0, v40
	v_min_u32_e32 v118, 32, v118
	v_subrev_nc_u32_e32 v119, 28, v118
	v_sub_nc_u32_e32 v118, 29, v118
	v_lshlrev_b32_sdwa v119, v119, v11 dst_sel:DWORD dst_unused:UNUSED_PAD src0_sel:DWORD src1_sel:WORD_1
	v_cndmask_b32_e32 v118, v40, v118, vcc_lo
	v_and_b32_e32 v119, 7, v119
	v_lshl_add_u32 v118, v118, 23, 0x3b800000
	v_cndmask_b32_e32 v117, v117, v119, vcc_lo
	v_and_b32_e32 v119, 0x80000000, v41
	v_lshlrev_b32_e32 v117, 20, v117
	v_or3_b32 v117, v119, v118, v117
.LBB2_1811:                             ;   in Loop: Header=BB2_1679 Depth=2
	s_or_b32 exec_lo, exec_lo, s27
	v_add_f32_e32 v117, v116, v117
	v_and_b32_e32 v116, 0x7f800000, v117
	v_cmp_ne_u32_e32 vcc_lo, 0x7f800000, v116
	v_mov_b32_e32 v116, 0x80
	s_and_saveexec_b32 s27, vcc_lo
	s_cbranch_execz .LBB2_1819
; %bb.1812:                             ;   in Loop: Header=BB2_1679 Depth=2
	v_mov_b32_e32 v116, 0
	s_mov_b32 s28, exec_lo
	v_cmpx_ne_u32_e32 0, v117
	s_cbranch_execz .LBB2_1818
; %bb.1813:                             ;   in Loop: Header=BB2_1679 Depth=2
	v_bfe_u32 v116, v117, 23, 8
	v_and_b32_e32 v118, 0x7fffff, v117
	v_sub_nc_u32_e32 v119, 0x78, v116
	v_cmp_gt_u32_e32 vcc_lo, 0x79, v116
	v_or_b32_e32 v40, 0x800000, v118
	v_cndmask_b32_e32 v119, 0, v119, vcc_lo
	v_cmp_eq_u32_e32 vcc_lo, 0, v116
	v_add_nc_u32_e32 v116, 0xffffff89, v116
	v_cndmask_b32_e64 v119, v119, 0x77, vcc_lo
	v_cndmask_b32_e32 v118, v40, v118, vcc_lo
	v_cndmask_b32_e64 v116, v116, 0xffffff8a, vcc_lo
	v_lshl_add_u32 v40, 0x100000, v119, -1
	v_lshrrev_b32_e32 v41, v119, v118
	v_lshlrev_b32_e64 v43, v119, 0x80000
	v_add_nc_u32_e32 v119, v119, v116
	v_and_b32_e32 v118, v40, v118
	v_bfe_u32 v42, v41, 20, 1
	v_cmp_eq_u32_e64 s12, v118, v43
	v_add_nc_u32_e32 v40, -1, v42
	v_cndmask_b32_e64 v118, 0, v40, s12
	v_lshrrev_b32_e32 v40, 23, v41
	s_mov_b32 s12, exec_lo
	v_add_nc_u32_e32 v118, v118, v41
	v_xor_b32_e32 v40, 1, v40
	v_and_b32_e32 v116, 0xfffff, v118
	v_add_nc_u32_e32 v118, v116, v41
                                        ; implicit-def: $vgpr116
	v_cmpx_ne_u32_e64 v119, v40
	s_xor_b32 s12, exec_lo, s12
; %bb.1814:                             ;   in Loop: Header=BB2_1679 Depth=2
	v_cmp_lt_u32_e32 vcc_lo, 0xffffff, v118
	v_sub_nc_u32_e32 v116, v119, v40
	v_cndmask_b32_e64 v119, 0, 1, vcc_lo
	v_add_co_ci_u32_e64 v116, null, 0, v116, vcc_lo
	v_lshrrev_b32_e32 v118, v119, v118
; %bb.1815:                             ;   in Loop: Header=BB2_1679 Depth=2
	s_andn2_saveexec_b32 s12, s12
; %bb.1816:                             ;   in Loop: Header=BB2_1679 Depth=2
	v_bfe_u32 v116, v118, 23, 1
; %bb.1817:                             ;   in Loop: Header=BB2_1679 Depth=2
	s_or_b32 exec_lo, exec_lo, s12
	v_lshrrev_b32_e32 v118, 20, v118
	v_min_i32_e32 v119, 15, v116
	v_cmp_gt_i32_e32 vcc_lo, 16, v116
	v_and_b32_sdwa v117, v117, v86 dst_sel:DWORD dst_unused:UNUSED_PAD src0_sel:BYTE_3 src1_sel:DWORD
	v_lshlrev_b32_e32 v119, 3, v119
	v_cndmask_b32_e32 v118, 7, v118, vcc_lo
	v_and_b32_e32 v119, 0xf8, v119
	v_and_b32_e32 v40, 7, v118
	v_or_b32_e32 v116, v116, v118
	v_or3_b32 v117, v119, v117, v40
	v_cmp_ne_u32_e32 vcc_lo, 0, v116
	v_cndmask_b32_e32 v116, 0, v117, vcc_lo
.LBB2_1818:                             ;   in Loop: Header=BB2_1679 Depth=2
	s_or_b32 exec_lo, exec_lo, s28
.LBB2_1819:                             ;   in Loop: Header=BB2_1679 Depth=2
	s_or_b32 exec_lo, exec_lo, s27
	v_cmp_gt_i16_sdwa s27, v15, v85 src0_sel:BYTE_3 src1_sel:DWORD
	s_mov_b32 s12, 0
	s_and_saveexec_b32 s28, s27
	s_xor_b32 s27, exec_lo, s28
	s_cbranch_execz .LBB2_2025
; %bb.1820:                             ;   in Loop: Header=BB2_1679 Depth=2
	v_cmp_eq_u16_sdwa s29, v15, v86 src0_sel:BYTE_3 src1_sel:DWORD
	s_mov_b32 s12, -1
	s_and_saveexec_b32 s28, s29
; %bb.1821:                             ;   in Loop: Header=BB2_1679 Depth=2
	s_xor_b32 s12, exec_lo, -1
; %bb.1822:                             ;   in Loop: Header=BB2_1679 Depth=2
	s_or_b32 exec_lo, exec_lo, s28
	s_and_b32 s12, s12, exec_lo
	s_or_saveexec_b32 s27, s27
	v_mov_b32_e32 v117, 0x7f800001
	s_xor_b32 exec_lo, exec_lo, s27
	s_cbranch_execnz .LBB2_2026
.LBB2_1823:                             ;   in Loop: Header=BB2_1679 Depth=2
	s_or_b32 exec_lo, exec_lo, s27
	s_and_saveexec_b32 s27, s12
	s_cbranch_execz .LBB2_1825
.LBB2_1824:                             ;   in Loop: Header=BB2_1679 Depth=2
	v_bfe_u32 v117, v15, 24, 3
	v_bfe_u32 v40, v15, 27, 4
	v_ffbh_u32_e32 v118, v117
	v_cmp_eq_u32_e32 vcc_lo, 0, v40
	v_min_u32_e32 v118, 32, v118
	v_subrev_nc_u32_e32 v119, 28, v118
	v_sub_nc_u32_e32 v118, 29, v118
	v_lshlrev_b32_sdwa v119, v119, v15 dst_sel:DWORD dst_unused:UNUSED_PAD src0_sel:DWORD src1_sel:BYTE_3
	v_cndmask_b32_e32 v118, v40, v118, vcc_lo
	v_and_b32_e32 v15, 0x80000000, v15
	v_and_b32_e32 v119, 7, v119
	v_lshl_add_u32 v118, v118, 23, 0x3b800000
	v_cndmask_b32_e32 v117, v117, v119, vcc_lo
	v_lshlrev_b32_e32 v117, 20, v117
	v_or3_b32 v117, v15, v118, v117
.LBB2_1825:                             ;   in Loop: Header=BB2_1679 Depth=2
	s_or_b32 exec_lo, exec_lo, s27
	v_cmp_gt_i16_sdwa s27, v11, v85 src0_sel:BYTE_3 src1_sel:DWORD
	s_mov_b32 s12, 0
	s_and_saveexec_b32 s28, s27
	s_xor_b32 s27, exec_lo, s28
	s_cbranch_execz .LBB2_2027
; %bb.1826:                             ;   in Loop: Header=BB2_1679 Depth=2
	v_cmp_eq_u16_sdwa s29, v11, v86 src0_sel:BYTE_3 src1_sel:DWORD
	s_mov_b32 s12, -1
	s_and_saveexec_b32 s28, s29
; %bb.1827:                             ;   in Loop: Header=BB2_1679 Depth=2
	s_xor_b32 s12, exec_lo, -1
; %bb.1828:                             ;   in Loop: Header=BB2_1679 Depth=2
	s_or_b32 exec_lo, exec_lo, s28
	s_and_b32 s12, s12, exec_lo
	s_or_saveexec_b32 s27, s27
	v_mov_b32_e32 v15, 0x7f800001
	s_xor_b32 exec_lo, exec_lo, s27
	s_cbranch_execnz .LBB2_2028
.LBB2_1829:                             ;   in Loop: Header=BB2_1679 Depth=2
	s_or_b32 exec_lo, exec_lo, s27
	s_and_saveexec_b32 s27, s12
	s_cbranch_execz .LBB2_1831
.LBB2_1830:                             ;   in Loop: Header=BB2_1679 Depth=2
	v_and_b32_sdwa v15, v11, v98 dst_sel:DWORD dst_unused:UNUSED_PAD src0_sel:BYTE_3 src1_sel:DWORD
	v_bfe_u32 v40, v11, 27, 4
	v_ffbh_u32_e32 v118, v15
	v_cmp_eq_u32_e32 vcc_lo, 0, v40
	v_min_u32_e32 v118, 32, v118
	v_subrev_nc_u32_e32 v119, 28, v118
	v_sub_nc_u32_e32 v118, 29, v118
	v_lshlrev_b32_sdwa v119, v119, v11 dst_sel:DWORD dst_unused:UNUSED_PAD src0_sel:DWORD src1_sel:BYTE_3
	v_cndmask_b32_e32 v118, v40, v118, vcc_lo
	v_and_b32_e32 v11, 0x80000000, v11
	v_and_b32_e32 v119, 7, v119
	v_lshl_add_u32 v118, v118, 23, 0x3b800000
	v_cndmask_b32_e32 v15, v15, v119, vcc_lo
	v_lshlrev_b32_e32 v15, 20, v15
	v_or3_b32 v15, v11, v118, v15
.LBB2_1831:                             ;   in Loop: Header=BB2_1679 Depth=2
	s_or_b32 exec_lo, exec_lo, s27
	v_add_f32_e32 v15, v117, v15
	v_and_b32_e32 v11, 0x7f800000, v15
	v_cmp_ne_u32_e32 vcc_lo, 0x7f800000, v11
	v_mov_b32_e32 v11, 0x8000
	s_and_saveexec_b32 s27, vcc_lo
	s_cbranch_execz .LBB2_1839
; %bb.1832:                             ;   in Loop: Header=BB2_1679 Depth=2
	v_mov_b32_e32 v11, 0
	s_mov_b32 s28, exec_lo
	v_cmpx_ne_u32_e32 0, v15
	s_cbranch_execz .LBB2_1838
; %bb.1833:                             ;   in Loop: Header=BB2_1679 Depth=2
	v_bfe_u32 v11, v15, 23, 8
	v_and_b32_e32 v117, 0x7fffff, v15
	v_sub_nc_u32_e32 v118, 0x78, v11
	v_cmp_gt_u32_e32 vcc_lo, 0x79, v11
	v_or_b32_e32 v119, 0x800000, v117
	v_cndmask_b32_e32 v118, 0, v118, vcc_lo
	v_cmp_eq_u32_e32 vcc_lo, 0, v11
	v_add_nc_u32_e32 v11, 0xffffff89, v11
	v_cndmask_b32_e64 v118, v118, 0x77, vcc_lo
	v_cndmask_b32_e32 v117, v119, v117, vcc_lo
	v_cndmask_b32_e64 v11, v11, 0xffffff8a, vcc_lo
	v_lshl_add_u32 v119, 0x100000, v118, -1
	v_lshrrev_b32_e32 v40, v118, v117
	v_lshlrev_b32_e64 v42, v118, 0x80000
	v_add_nc_u32_e32 v118, v118, v11
	v_and_b32_e32 v117, v119, v117
	v_bfe_u32 v41, v40, 20, 1
	v_cmp_eq_u32_e64 s12, v117, v42
	v_add_nc_u32_e32 v119, -1, v41
	v_cndmask_b32_e64 v117, 0, v119, s12
	v_lshrrev_b32_e32 v119, 23, v40
	s_mov_b32 s12, exec_lo
	v_add_nc_u32_e32 v117, v117, v40
	v_xor_b32_e32 v119, 1, v119
	v_and_b32_e32 v11, 0xfffff, v117
	v_add_nc_u32_e32 v117, v11, v40
                                        ; implicit-def: $vgpr11
	v_cmpx_ne_u32_e64 v118, v119
	s_xor_b32 s12, exec_lo, s12
; %bb.1834:                             ;   in Loop: Header=BB2_1679 Depth=2
	v_cmp_lt_u32_e32 vcc_lo, 0xffffff, v117
	v_sub_nc_u32_e32 v11, v118, v119
	v_cndmask_b32_e64 v118, 0, 1, vcc_lo
	v_add_co_ci_u32_e64 v11, null, 0, v11, vcc_lo
	v_lshrrev_b32_e32 v117, v118, v117
; %bb.1835:                             ;   in Loop: Header=BB2_1679 Depth=2
	s_andn2_saveexec_b32 s12, s12
; %bb.1836:                             ;   in Loop: Header=BB2_1679 Depth=2
	v_bfe_u32 v11, v117, 23, 1
; %bb.1837:                             ;   in Loop: Header=BB2_1679 Depth=2
	s_or_b32 exec_lo, exec_lo, s12
	v_lshrrev_b32_e32 v117, 20, v117
	v_min_i32_e32 v118, 15, v11
	v_cmp_gt_i32_e32 vcc_lo, 16, v11
	v_and_b32_sdwa v15, v15, v86 dst_sel:DWORD dst_unused:UNUSED_PAD src0_sel:BYTE_3 src1_sel:DWORD
	v_lshlrev_b32_e32 v118, 3, v118
	v_cndmask_b32_e32 v117, 7, v117, vcc_lo
	v_and_b32_e32 v118, 0xf8, v118
	v_and_b32_e32 v119, 7, v117
	v_or_b32_e32 v11, v11, v117
	v_or3_b32 v15, v15, v118, v119
	v_cmp_ne_u32_e32 vcc_lo, 0, v11
	v_lshlrev_b32_e32 v15, 8, v15
	v_cndmask_b32_e32 v11, 0, v15, vcc_lo
.LBB2_1838:                             ;   in Loop: Header=BB2_1679 Depth=2
	s_or_b32 exec_lo, exec_lo, s28
.LBB2_1839:                             ;   in Loop: Header=BB2_1679 Depth=2
	s_or_b32 exec_lo, exec_lo, s27
	v_cmp_gt_i16_sdwa s27, v16, v85 src0_sel:BYTE_0 src1_sel:DWORD
	s_mov_b32 s12, 0
	s_and_saveexec_b32 s28, s27
	s_xor_b32 s27, exec_lo, s28
	s_cbranch_execz .LBB2_2029
; %bb.1840:                             ;   in Loop: Header=BB2_1679 Depth=2
	v_cmp_eq_u16_sdwa s29, v16, v86 src0_sel:BYTE_0 src1_sel:DWORD
	s_mov_b32 s12, -1
	s_and_saveexec_b32 s28, s29
; %bb.1841:                             ;   in Loop: Header=BB2_1679 Depth=2
	s_xor_b32 s12, exec_lo, -1
; %bb.1842:                             ;   in Loop: Header=BB2_1679 Depth=2
	s_or_b32 exec_lo, exec_lo, s28
	s_and_b32 s12, s12, exec_lo
	s_or_saveexec_b32 s27, s27
	v_mov_b32_e32 v15, 0x7f800001
	s_xor_b32 exec_lo, exec_lo, s27
	s_cbranch_execnz .LBB2_2030
.LBB2_1843:                             ;   in Loop: Header=BB2_1679 Depth=2
	s_or_b32 exec_lo, exec_lo, s27
	s_and_saveexec_b32 s27, s12
	s_cbranch_execz .LBB2_1845
.LBB2_1844:                             ;   in Loop: Header=BB2_1679 Depth=2
	v_and_b32_e32 v15, 7, v16
	v_bfe_u32 v119, v16, 3, 4
	v_lshlrev_b32_e32 v40, 24, v16
	v_ffbh_u32_e32 v117, v15
	v_cmp_eq_u32_e32 vcc_lo, 0, v119
	v_min_u32_e32 v117, 32, v117
	v_subrev_nc_u32_e32 v118, 28, v117
	v_sub_nc_u32_e32 v117, 29, v117
	v_lshlrev_b32_e32 v118, v118, v16
	v_cndmask_b32_e32 v117, v119, v117, vcc_lo
	v_and_b32_e32 v118, 7, v118
	v_lshl_add_u32 v117, v117, 23, 0x3b800000
	v_cndmask_b32_e32 v15, v15, v118, vcc_lo
	v_and_b32_e32 v118, 0x80000000, v40
	v_lshlrev_b32_e32 v15, 20, v15
	v_or3_b32 v15, v118, v117, v15
.LBB2_1845:                             ;   in Loop: Header=BB2_1679 Depth=2
	s_or_b32 exec_lo, exec_lo, s27
	v_cmp_gt_i16_sdwa s27, v12, v85 src0_sel:BYTE_0 src1_sel:DWORD
	s_mov_b32 s12, 0
	s_and_saveexec_b32 s28, s27
	s_xor_b32 s27, exec_lo, s28
	s_cbranch_execz .LBB2_2031
; %bb.1846:                             ;   in Loop: Header=BB2_1679 Depth=2
	v_cmp_eq_u16_sdwa s29, v12, v86 src0_sel:BYTE_0 src1_sel:DWORD
	s_mov_b32 s12, -1
	s_and_saveexec_b32 s28, s29
; %bb.1847:                             ;   in Loop: Header=BB2_1679 Depth=2
	s_xor_b32 s12, exec_lo, -1
; %bb.1848:                             ;   in Loop: Header=BB2_1679 Depth=2
	s_or_b32 exec_lo, exec_lo, s28
	s_and_b32 s12, s12, exec_lo
	s_or_saveexec_b32 s27, s27
	v_mov_b32_e32 v117, 0x7f800001
	s_xor_b32 exec_lo, exec_lo, s27
	s_cbranch_execnz .LBB2_2032
.LBB2_1849:                             ;   in Loop: Header=BB2_1679 Depth=2
	s_or_b32 exec_lo, exec_lo, s27
	s_and_saveexec_b32 s27, s12
	s_cbranch_execz .LBB2_1851
.LBB2_1850:                             ;   in Loop: Header=BB2_1679 Depth=2
	v_and_b32_e32 v117, 7, v12
	v_bfe_u32 v40, v12, 3, 4
	v_lshlrev_b32_e32 v41, 24, v12
	v_ffbh_u32_e32 v118, v117
	v_cmp_eq_u32_e32 vcc_lo, 0, v40
	v_min_u32_e32 v118, 32, v118
	v_subrev_nc_u32_e32 v119, 28, v118
	v_sub_nc_u32_e32 v118, 29, v118
	v_lshlrev_b32_e32 v119, v119, v12
	v_cndmask_b32_e32 v118, v40, v118, vcc_lo
	v_and_b32_e32 v119, 7, v119
	v_lshl_add_u32 v118, v118, 23, 0x3b800000
	v_cndmask_b32_e32 v117, v117, v119, vcc_lo
	v_and_b32_e32 v119, 0x80000000, v41
	v_lshlrev_b32_e32 v117, 20, v117
	v_or3_b32 v117, v119, v118, v117
.LBB2_1851:                             ;   in Loop: Header=BB2_1679 Depth=2
	s_or_b32 exec_lo, exec_lo, s27
	v_add_f32_e32 v117, v15, v117
	v_and_b32_e32 v15, 0x7f800000, v117
	v_cmp_ne_u32_e32 vcc_lo, 0x7f800000, v15
	v_mov_b32_e32 v15, 0x80
	s_and_saveexec_b32 s27, vcc_lo
	s_cbranch_execz .LBB2_1859
; %bb.1852:                             ;   in Loop: Header=BB2_1679 Depth=2
	v_mov_b32_e32 v15, 0
	s_mov_b32 s28, exec_lo
	v_cmpx_ne_u32_e32 0, v117
	s_cbranch_execz .LBB2_1858
; %bb.1853:                             ;   in Loop: Header=BB2_1679 Depth=2
	v_bfe_u32 v15, v117, 23, 8
	v_and_b32_e32 v118, 0x7fffff, v117
	v_sub_nc_u32_e32 v119, 0x78, v15
	v_cmp_gt_u32_e32 vcc_lo, 0x79, v15
	v_or_b32_e32 v40, 0x800000, v118
	v_cndmask_b32_e32 v119, 0, v119, vcc_lo
	v_cmp_eq_u32_e32 vcc_lo, 0, v15
	v_add_nc_u32_e32 v15, 0xffffff89, v15
	v_cndmask_b32_e64 v119, v119, 0x77, vcc_lo
	v_cndmask_b32_e32 v118, v40, v118, vcc_lo
	v_cndmask_b32_e64 v15, v15, 0xffffff8a, vcc_lo
	v_lshl_add_u32 v40, 0x100000, v119, -1
	v_lshrrev_b32_e32 v41, v119, v118
	v_lshlrev_b32_e64 v43, v119, 0x80000
	v_add_nc_u32_e32 v119, v119, v15
	v_and_b32_e32 v118, v40, v118
	v_bfe_u32 v42, v41, 20, 1
	v_cmp_eq_u32_e64 s12, v118, v43
	v_add_nc_u32_e32 v40, -1, v42
	v_cndmask_b32_e64 v118, 0, v40, s12
	v_lshrrev_b32_e32 v40, 23, v41
	s_mov_b32 s12, exec_lo
	v_add_nc_u32_e32 v118, v118, v41
	v_xor_b32_e32 v40, 1, v40
	v_and_b32_e32 v15, 0xfffff, v118
	v_add_nc_u32_e32 v118, v15, v41
                                        ; implicit-def: $vgpr15
	v_cmpx_ne_u32_e64 v119, v40
	s_xor_b32 s12, exec_lo, s12
; %bb.1854:                             ;   in Loop: Header=BB2_1679 Depth=2
	v_cmp_lt_u32_e32 vcc_lo, 0xffffff, v118
	v_sub_nc_u32_e32 v15, v119, v40
	v_cndmask_b32_e64 v119, 0, 1, vcc_lo
	v_add_co_ci_u32_e64 v15, null, 0, v15, vcc_lo
	v_lshrrev_b32_e32 v118, v119, v118
; %bb.1855:                             ;   in Loop: Header=BB2_1679 Depth=2
	s_andn2_saveexec_b32 s12, s12
; %bb.1856:                             ;   in Loop: Header=BB2_1679 Depth=2
	v_bfe_u32 v15, v118, 23, 1
; %bb.1857:                             ;   in Loop: Header=BB2_1679 Depth=2
	s_or_b32 exec_lo, exec_lo, s12
	v_lshrrev_b32_e32 v118, 20, v118
	v_min_i32_e32 v119, 15, v15
	v_cmp_gt_i32_e32 vcc_lo, 16, v15
	v_and_b32_sdwa v117, v117, v86 dst_sel:DWORD dst_unused:UNUSED_PAD src0_sel:BYTE_3 src1_sel:DWORD
	v_lshlrev_b32_e32 v119, 3, v119
	v_cndmask_b32_e32 v118, 7, v118, vcc_lo
	v_and_b32_e32 v119, 0xf8, v119
	v_and_b32_e32 v40, 7, v118
	v_or_b32_e32 v15, v15, v118
	v_or3_b32 v117, v119, v117, v40
	v_cmp_ne_u32_e32 vcc_lo, 0, v15
	v_cndmask_b32_e32 v15, 0, v117, vcc_lo
.LBB2_1858:                             ;   in Loop: Header=BB2_1679 Depth=2
	s_or_b32 exec_lo, exec_lo, s28
.LBB2_1859:                             ;   in Loop: Header=BB2_1679 Depth=2
	s_or_b32 exec_lo, exec_lo, s27
	v_cmp_gt_i16_sdwa s27, v16, v85 src0_sel:BYTE_1 src1_sel:DWORD
	s_mov_b32 s12, 0
	s_and_saveexec_b32 s28, s27
	s_xor_b32 s27, exec_lo, s28
	s_cbranch_execz .LBB2_2033
; %bb.1860:                             ;   in Loop: Header=BB2_1679 Depth=2
	v_cmp_eq_u16_sdwa s29, v16, v86 src0_sel:BYTE_1 src1_sel:DWORD
	s_mov_b32 s12, -1
	s_and_saveexec_b32 s28, s29
; %bb.1861:                             ;   in Loop: Header=BB2_1679 Depth=2
	s_xor_b32 s12, exec_lo, -1
; %bb.1862:                             ;   in Loop: Header=BB2_1679 Depth=2
	s_or_b32 exec_lo, exec_lo, s28
	s_and_b32 s12, s12, exec_lo
	s_or_saveexec_b32 s27, s27
	v_mov_b32_e32 v117, 0x7f800001
	s_xor_b32 exec_lo, exec_lo, s27
	s_cbranch_execnz .LBB2_2034
.LBB2_1863:                             ;   in Loop: Header=BB2_1679 Depth=2
	s_or_b32 exec_lo, exec_lo, s27
	s_and_saveexec_b32 s27, s12
	s_cbranch_execz .LBB2_1865
.LBB2_1864:                             ;   in Loop: Header=BB2_1679 Depth=2
	v_and_b32_sdwa v117, v87, v16 dst_sel:DWORD dst_unused:UNUSED_PAD src0_sel:DWORD src1_sel:BYTE_1
	v_and_b32_e32 v118, 7, v117
	v_bfe_u32 v41, v117, 3, 4
	v_ffbh_u32_e32 v119, v118
	v_cmp_eq_u32_e32 vcc_lo, 0, v41
	v_min_u32_e32 v119, 32, v119
	v_subrev_nc_u32_e32 v40, 28, v119
	v_sub_nc_u32_e32 v119, 29, v119
	v_lshlrev_b32_e32 v117, v40, v117
	v_lshlrev_b32_sdwa v40, v96, v16 dst_sel:DWORD dst_unused:UNUSED_PAD src0_sel:DWORD src1_sel:BYTE_1
	v_cndmask_b32_e32 v119, v41, v119, vcc_lo
	v_and_b32_e32 v117, 7, v117
	v_lshl_add_u32 v119, v119, 23, 0x3b800000
	v_cndmask_b32_e32 v117, v118, v117, vcc_lo
	v_and_b32_e32 v118, 0x80000000, v40
	v_lshlrev_b32_e32 v117, 20, v117
	v_or3_b32 v117, v118, v119, v117
.LBB2_1865:                             ;   in Loop: Header=BB2_1679 Depth=2
	s_or_b32 exec_lo, exec_lo, s27
	v_cmp_gt_i16_sdwa s27, v12, v85 src0_sel:BYTE_1 src1_sel:DWORD
	s_mov_b32 s12, 0
	s_and_saveexec_b32 s28, s27
	s_xor_b32 s27, exec_lo, s28
	s_cbranch_execz .LBB2_2035
; %bb.1866:                             ;   in Loop: Header=BB2_1679 Depth=2
	v_cmp_eq_u16_sdwa s29, v12, v86 src0_sel:BYTE_1 src1_sel:DWORD
	s_mov_b32 s12, -1
	s_and_saveexec_b32 s28, s29
; %bb.1867:                             ;   in Loop: Header=BB2_1679 Depth=2
	s_xor_b32 s12, exec_lo, -1
; %bb.1868:                             ;   in Loop: Header=BB2_1679 Depth=2
	s_or_b32 exec_lo, exec_lo, s28
	s_and_b32 s12, s12, exec_lo
	s_or_saveexec_b32 s27, s27
	v_mov_b32_e32 v118, 0x7f800001
	s_xor_b32 exec_lo, exec_lo, s27
	s_cbranch_execnz .LBB2_2036
.LBB2_1869:                             ;   in Loop: Header=BB2_1679 Depth=2
	s_or_b32 exec_lo, exec_lo, s27
	s_and_saveexec_b32 s27, s12
	s_cbranch_execz .LBB2_1871
.LBB2_1870:                             ;   in Loop: Header=BB2_1679 Depth=2
	v_and_b32_sdwa v118, v87, v12 dst_sel:DWORD dst_unused:UNUSED_PAD src0_sel:DWORD src1_sel:BYTE_1
	v_and_b32_e32 v119, 7, v118
	v_bfe_u32 v42, v118, 3, 4
	v_ffbh_u32_e32 v40, v119
	v_cmp_eq_u32_e32 vcc_lo, 0, v42
	v_min_u32_e32 v40, 32, v40
	v_subrev_nc_u32_e32 v41, 28, v40
	v_sub_nc_u32_e32 v40, 29, v40
	v_lshlrev_b32_e32 v118, v41, v118
	v_lshlrev_b32_sdwa v41, v96, v12 dst_sel:DWORD dst_unused:UNUSED_PAD src0_sel:DWORD src1_sel:BYTE_1
	v_cndmask_b32_e32 v40, v42, v40, vcc_lo
	v_and_b32_e32 v118, 7, v118
	v_lshl_add_u32 v40, v40, 23, 0x3b800000
	v_cndmask_b32_e32 v118, v119, v118, vcc_lo
	v_and_b32_e32 v119, 0x80000000, v41
	v_lshlrev_b32_e32 v118, 20, v118
	v_or3_b32 v118, v119, v40, v118
.LBB2_1871:                             ;   in Loop: Header=BB2_1679 Depth=2
	s_or_b32 exec_lo, exec_lo, s27
	v_add_f32_e32 v118, v117, v118
	v_and_b32_e32 v117, 0x7f800000, v118
	v_cmp_ne_u32_e32 vcc_lo, 0x7f800000, v117
	v_mov_b32_e32 v117, 0x8000
	s_and_saveexec_b32 s27, vcc_lo
	s_cbranch_execz .LBB2_1879
; %bb.1872:                             ;   in Loop: Header=BB2_1679 Depth=2
	v_mov_b32_e32 v117, 0
	s_mov_b32 s28, exec_lo
	v_cmpx_ne_u32_e32 0, v118
	s_cbranch_execz .LBB2_1878
; %bb.1873:                             ;   in Loop: Header=BB2_1679 Depth=2
	v_bfe_u32 v117, v118, 23, 8
	v_and_b32_e32 v119, 0x7fffff, v118
	v_sub_nc_u32_e32 v40, 0x78, v117
	v_cmp_gt_u32_e32 vcc_lo, 0x79, v117
	v_or_b32_e32 v41, 0x800000, v119
	v_cndmask_b32_e32 v40, 0, v40, vcc_lo
	v_cmp_eq_u32_e32 vcc_lo, 0, v117
	v_add_nc_u32_e32 v117, 0xffffff89, v117
	v_cndmask_b32_e64 v40, v40, 0x77, vcc_lo
	v_cndmask_b32_e32 v119, v41, v119, vcc_lo
	v_cndmask_b32_e64 v117, v117, 0xffffff8a, vcc_lo
	v_lshl_add_u32 v41, 0x100000, v40, -1
	v_lshrrev_b32_e32 v42, v40, v119
	v_lshlrev_b32_e64 v44, v40, 0x80000
	v_add_nc_u32_e32 v40, v40, v117
	v_and_b32_e32 v119, v41, v119
	v_bfe_u32 v43, v42, 20, 1
	v_cmp_eq_u32_e64 s12, v119, v44
	v_add_nc_u32_e32 v41, -1, v43
	v_cndmask_b32_e64 v119, 0, v41, s12
	v_lshrrev_b32_e32 v41, 23, v42
	s_mov_b32 s12, exec_lo
	v_add_nc_u32_e32 v119, v119, v42
	v_xor_b32_e32 v41, 1, v41
	v_and_b32_e32 v117, 0xfffff, v119
	v_add_nc_u32_e32 v119, v117, v42
                                        ; implicit-def: $vgpr117
	v_cmpx_ne_u32_e64 v40, v41
	s_xor_b32 s12, exec_lo, s12
; %bb.1874:                             ;   in Loop: Header=BB2_1679 Depth=2
	v_cmp_lt_u32_e32 vcc_lo, 0xffffff, v119
	v_sub_nc_u32_e32 v117, v40, v41
	v_cndmask_b32_e64 v40, 0, 1, vcc_lo
	v_add_co_ci_u32_e64 v117, null, 0, v117, vcc_lo
	v_lshrrev_b32_e32 v119, v40, v119
; %bb.1875:                             ;   in Loop: Header=BB2_1679 Depth=2
	s_andn2_saveexec_b32 s12, s12
; %bb.1876:                             ;   in Loop: Header=BB2_1679 Depth=2
	v_bfe_u32 v117, v119, 23, 1
; %bb.1877:                             ;   in Loop: Header=BB2_1679 Depth=2
	s_or_b32 exec_lo, exec_lo, s12
	v_lshrrev_b32_e32 v119, 20, v119
	v_min_i32_e32 v40, 15, v117
	v_cmp_gt_i32_e32 vcc_lo, 16, v117
	v_and_b32_sdwa v118, v118, v86 dst_sel:DWORD dst_unused:UNUSED_PAD src0_sel:BYTE_3 src1_sel:DWORD
	v_lshlrev_b32_e32 v40, 3, v40
	v_cndmask_b32_e32 v119, 7, v119, vcc_lo
	v_and_b32_e32 v40, 0xf8, v40
	v_and_b32_e32 v41, 7, v119
	v_or_b32_e32 v117, v117, v119
	v_or3_b32 v118, v118, v40, v41
	v_cmp_ne_u32_e32 vcc_lo, 0, v117
	v_lshlrev_b32_e32 v118, 8, v118
	v_cndmask_b32_e32 v117, 0, v118, vcc_lo
.LBB2_1878:                             ;   in Loop: Header=BB2_1679 Depth=2
	s_or_b32 exec_lo, exec_lo, s28
.LBB2_1879:                             ;   in Loop: Header=BB2_1679 Depth=2
	s_or_b32 exec_lo, exec_lo, s27
	v_and_b32_sdwa v119, v16, v97 dst_sel:DWORD dst_unused:UNUSED_PAD src0_sel:WORD_1 src1_sel:DWORD
	s_mov_b32 s12, 0
	s_mov_b32 s27, exec_lo
	v_cmpx_lt_i16_e32 0x7f, v119
	s_xor_b32 s27, exec_lo, s27
	s_cbranch_execz .LBB2_2037
; %bb.1880:                             ;   in Loop: Header=BB2_1679 Depth=2
	s_mov_b32 s12, -1
	s_mov_b32 s28, exec_lo
	v_cmpx_eq_u16_e32 0x80, v119
; %bb.1881:                             ;   in Loop: Header=BB2_1679 Depth=2
	s_xor_b32 s12, exec_lo, -1
; %bb.1882:                             ;   in Loop: Header=BB2_1679 Depth=2
	s_or_b32 exec_lo, exec_lo, s28
	s_and_b32 s12, s12, exec_lo
                                        ; implicit-def: $vgpr119
	s_or_saveexec_b32 s27, s27
	v_mov_b32_e32 v118, 0x7f800001
	s_xor_b32 exec_lo, exec_lo, s27
	s_cbranch_execnz .LBB2_2038
.LBB2_1883:                             ;   in Loop: Header=BB2_1679 Depth=2
	s_or_b32 exec_lo, exec_lo, s27
	s_and_saveexec_b32 s27, s12
	s_cbranch_execz .LBB2_1885
.LBB2_1884:                             ;   in Loop: Header=BB2_1679 Depth=2
	v_bfe_u32 v118, v16, 16, 3
	v_bfe_u32 v41, v16, 19, 4
	v_lshlrev_b32_e32 v42, 8, v16
	v_ffbh_u32_e32 v119, v118
	v_cmp_eq_u32_e32 vcc_lo, 0, v41
	v_min_u32_e32 v119, 32, v119
	v_subrev_nc_u32_e32 v40, 28, v119
	v_sub_nc_u32_e32 v119, 29, v119
	v_lshlrev_b32_sdwa v40, v40, v16 dst_sel:DWORD dst_unused:UNUSED_PAD src0_sel:DWORD src1_sel:WORD_1
	v_cndmask_b32_e32 v119, v41, v119, vcc_lo
	v_and_b32_e32 v40, 7, v40
	v_lshl_add_u32 v119, v119, 23, 0x3b800000
	v_cndmask_b32_e32 v118, v118, v40, vcc_lo
	v_and_b32_e32 v40, 0x80000000, v42
	v_lshlrev_b32_e32 v118, 20, v118
	v_or3_b32 v118, v40, v119, v118
.LBB2_1885:                             ;   in Loop: Header=BB2_1679 Depth=2
	s_or_b32 exec_lo, exec_lo, s27
	v_and_b32_sdwa v40, v12, v97 dst_sel:DWORD dst_unused:UNUSED_PAD src0_sel:WORD_1 src1_sel:DWORD
	s_mov_b32 s12, 0
	s_mov_b32 s27, exec_lo
	v_cmpx_lt_i16_e32 0x7f, v40
	s_xor_b32 s27, exec_lo, s27
	s_cbranch_execz .LBB2_2039
; %bb.1886:                             ;   in Loop: Header=BB2_1679 Depth=2
	s_mov_b32 s12, -1
	s_mov_b32 s28, exec_lo
	v_cmpx_eq_u16_e32 0x80, v40
; %bb.1887:                             ;   in Loop: Header=BB2_1679 Depth=2
	s_xor_b32 s12, exec_lo, -1
; %bb.1888:                             ;   in Loop: Header=BB2_1679 Depth=2
	s_or_b32 exec_lo, exec_lo, s28
	s_and_b32 s12, s12, exec_lo
                                        ; implicit-def: $vgpr40
	s_or_saveexec_b32 s27, s27
	v_mov_b32_e32 v119, 0x7f800001
	s_xor_b32 exec_lo, exec_lo, s27
	s_cbranch_execnz .LBB2_2040
.LBB2_1889:                             ;   in Loop: Header=BB2_1679 Depth=2
	s_or_b32 exec_lo, exec_lo, s27
	s_and_saveexec_b32 s27, s12
	s_cbranch_execz .LBB2_1891
.LBB2_1890:                             ;   in Loop: Header=BB2_1679 Depth=2
	v_and_b32_sdwa v119, v12, v98 dst_sel:DWORD dst_unused:UNUSED_PAD src0_sel:WORD_1 src1_sel:DWORD
	v_bfe_u32 v42, v12, 19, 4
	v_lshlrev_b32_sdwa v43, v96, v12 dst_sel:DWORD dst_unused:UNUSED_PAD src0_sel:DWORD src1_sel:WORD_1
	v_ffbh_u32_e32 v40, v119
	v_cmp_eq_u32_e32 vcc_lo, 0, v42
	v_min_u32_e32 v40, 32, v40
	v_subrev_nc_u32_e32 v41, 28, v40
	v_sub_nc_u32_e32 v40, 29, v40
	v_lshlrev_b32_sdwa v41, v41, v12 dst_sel:DWORD dst_unused:UNUSED_PAD src0_sel:DWORD src1_sel:WORD_1
	v_cndmask_b32_e32 v40, v42, v40, vcc_lo
	v_and_b32_e32 v41, 7, v41
	v_lshl_add_u32 v40, v40, 23, 0x3b800000
	v_cndmask_b32_e32 v119, v119, v41, vcc_lo
	v_and_b32_e32 v41, 0x80000000, v43
	v_lshlrev_b32_e32 v119, 20, v119
	v_or3_b32 v119, v41, v40, v119
.LBB2_1891:                             ;   in Loop: Header=BB2_1679 Depth=2
	s_or_b32 exec_lo, exec_lo, s27
	v_add_f32_e32 v119, v118, v119
	v_and_b32_e32 v118, 0x7f800000, v119
	v_cmp_ne_u32_e32 vcc_lo, 0x7f800000, v118
	v_mov_b32_e32 v118, 0x80
	s_and_saveexec_b32 s27, vcc_lo
	s_cbranch_execz .LBB2_1899
; %bb.1892:                             ;   in Loop: Header=BB2_1679 Depth=2
	v_mov_b32_e32 v118, 0
	s_mov_b32 s28, exec_lo
	v_cmpx_ne_u32_e32 0, v119
	s_cbranch_execz .LBB2_1898
; %bb.1893:                             ;   in Loop: Header=BB2_1679 Depth=2
	v_bfe_u32 v118, v119, 23, 8
	v_and_b32_e32 v40, 0x7fffff, v119
	v_sub_nc_u32_e32 v41, 0x78, v118
	v_cmp_gt_u32_e32 vcc_lo, 0x79, v118
	v_or_b32_e32 v42, 0x800000, v40
	v_cndmask_b32_e32 v41, 0, v41, vcc_lo
	v_cmp_eq_u32_e32 vcc_lo, 0, v118
	v_add_nc_u32_e32 v118, 0xffffff89, v118
	v_cndmask_b32_e64 v41, v41, 0x77, vcc_lo
	v_cndmask_b32_e32 v40, v42, v40, vcc_lo
	v_cndmask_b32_e64 v118, v118, 0xffffff8a, vcc_lo
	v_lshl_add_u32 v42, 0x100000, v41, -1
	v_lshrrev_b32_e32 v43, v41, v40
	v_lshlrev_b32_e64 v45, v41, 0x80000
	v_add_nc_u32_e32 v41, v41, v118
	v_and_b32_e32 v40, v42, v40
	v_bfe_u32 v44, v43, 20, 1
	v_cmp_eq_u32_e64 s12, v40, v45
	v_add_nc_u32_e32 v42, -1, v44
	v_cndmask_b32_e64 v40, 0, v42, s12
	v_lshrrev_b32_e32 v42, 23, v43
	s_mov_b32 s12, exec_lo
	v_add_nc_u32_e32 v40, v40, v43
	v_xor_b32_e32 v42, 1, v42
	v_and_b32_e32 v118, 0xfffff, v40
	v_add_nc_u32_e32 v40, v118, v43
                                        ; implicit-def: $vgpr118
	v_cmpx_ne_u32_e64 v41, v42
	s_xor_b32 s12, exec_lo, s12
; %bb.1894:                             ;   in Loop: Header=BB2_1679 Depth=2
	v_cmp_lt_u32_e32 vcc_lo, 0xffffff, v40
	v_sub_nc_u32_e32 v118, v41, v42
	v_cndmask_b32_e64 v41, 0, 1, vcc_lo
	v_add_co_ci_u32_e64 v118, null, 0, v118, vcc_lo
	v_lshrrev_b32_e32 v40, v41, v40
; %bb.1895:                             ;   in Loop: Header=BB2_1679 Depth=2
	s_andn2_saveexec_b32 s12, s12
; %bb.1896:                             ;   in Loop: Header=BB2_1679 Depth=2
	v_bfe_u32 v118, v40, 23, 1
; %bb.1897:                             ;   in Loop: Header=BB2_1679 Depth=2
	s_or_b32 exec_lo, exec_lo, s12
	v_lshrrev_b32_e32 v40, 20, v40
	v_min_i32_e32 v41, 15, v118
	v_cmp_gt_i32_e32 vcc_lo, 16, v118
	v_and_b32_sdwa v119, v119, v86 dst_sel:DWORD dst_unused:UNUSED_PAD src0_sel:BYTE_3 src1_sel:DWORD
	v_lshlrev_b32_e32 v41, 3, v41
	v_cndmask_b32_e32 v40, 7, v40, vcc_lo
	v_and_b32_e32 v41, 0xf8, v41
	v_and_b32_e32 v42, 7, v40
	v_or_b32_e32 v118, v118, v40
	v_or3_b32 v119, v41, v119, v42
	v_cmp_ne_u32_e32 vcc_lo, 0, v118
	v_cndmask_b32_e32 v118, 0, v119, vcc_lo
.LBB2_1898:                             ;   in Loop: Header=BB2_1679 Depth=2
	s_or_b32 exec_lo, exec_lo, s28
.LBB2_1899:                             ;   in Loop: Header=BB2_1679 Depth=2
	s_or_b32 exec_lo, exec_lo, s27
	v_cmp_gt_i16_sdwa s27, v16, v85 src0_sel:BYTE_3 src1_sel:DWORD
	s_mov_b32 s12, 0
	s_and_saveexec_b32 s28, s27
	s_xor_b32 s27, exec_lo, s28
	s_cbranch_execz .LBB2_2041
; %bb.1900:                             ;   in Loop: Header=BB2_1679 Depth=2
	v_cmp_eq_u16_sdwa s29, v16, v86 src0_sel:BYTE_3 src1_sel:DWORD
	s_mov_b32 s12, -1
	s_and_saveexec_b32 s28, s29
; %bb.1901:                             ;   in Loop: Header=BB2_1679 Depth=2
	s_xor_b32 s12, exec_lo, -1
; %bb.1902:                             ;   in Loop: Header=BB2_1679 Depth=2
	s_or_b32 exec_lo, exec_lo, s28
	s_and_b32 s12, s12, exec_lo
	s_or_saveexec_b32 s27, s27
	v_mov_b32_e32 v119, 0x7f800001
	s_xor_b32 exec_lo, exec_lo, s27
	s_cbranch_execnz .LBB2_2042
.LBB2_1903:                             ;   in Loop: Header=BB2_1679 Depth=2
	s_or_b32 exec_lo, exec_lo, s27
	s_and_saveexec_b32 s27, s12
	s_cbranch_execz .LBB2_1905
.LBB2_1904:                             ;   in Loop: Header=BB2_1679 Depth=2
	v_bfe_u32 v119, v16, 24, 3
	v_bfe_u32 v42, v16, 27, 4
	v_ffbh_u32_e32 v40, v119
	v_cmp_eq_u32_e32 vcc_lo, 0, v42
	v_min_u32_e32 v40, 32, v40
	v_subrev_nc_u32_e32 v41, 28, v40
	v_sub_nc_u32_e32 v40, 29, v40
	v_lshlrev_b32_sdwa v41, v41, v16 dst_sel:DWORD dst_unused:UNUSED_PAD src0_sel:DWORD src1_sel:BYTE_3
	v_cndmask_b32_e32 v40, v42, v40, vcc_lo
	v_and_b32_e32 v16, 0x80000000, v16
	v_and_b32_e32 v41, 7, v41
	v_lshl_add_u32 v40, v40, 23, 0x3b800000
	v_cndmask_b32_e32 v119, v119, v41, vcc_lo
	v_lshlrev_b32_e32 v119, 20, v119
	v_or3_b32 v119, v16, v40, v119
.LBB2_1905:                             ;   in Loop: Header=BB2_1679 Depth=2
	s_or_b32 exec_lo, exec_lo, s27
	v_cmp_gt_i16_sdwa s27, v12, v85 src0_sel:BYTE_3 src1_sel:DWORD
	s_mov_b32 s12, 0
	s_and_saveexec_b32 s28, s27
	s_xor_b32 s27, exec_lo, s28
	s_cbranch_execz .LBB2_2043
; %bb.1906:                             ;   in Loop: Header=BB2_1679 Depth=2
	v_cmp_eq_u16_sdwa s29, v12, v86 src0_sel:BYTE_3 src1_sel:DWORD
	s_mov_b32 s12, -1
	s_and_saveexec_b32 s28, s29
; %bb.1907:                             ;   in Loop: Header=BB2_1679 Depth=2
	s_xor_b32 s12, exec_lo, -1
; %bb.1908:                             ;   in Loop: Header=BB2_1679 Depth=2
	s_or_b32 exec_lo, exec_lo, s28
	s_and_b32 s12, s12, exec_lo
	s_or_saveexec_b32 s27, s27
	v_mov_b32_e32 v16, 0x7f800001
	s_xor_b32 exec_lo, exec_lo, s27
	s_cbranch_execnz .LBB2_2044
.LBB2_1909:                             ;   in Loop: Header=BB2_1679 Depth=2
	s_or_b32 exec_lo, exec_lo, s27
	s_and_saveexec_b32 s27, s12
	s_cbranch_execz .LBB2_1911
.LBB2_1910:                             ;   in Loop: Header=BB2_1679 Depth=2
	v_and_b32_sdwa v16, v12, v98 dst_sel:DWORD dst_unused:UNUSED_PAD src0_sel:BYTE_3 src1_sel:DWORD
	v_bfe_u32 v42, v12, 27, 4
	v_ffbh_u32_e32 v40, v16
	v_cmp_eq_u32_e32 vcc_lo, 0, v42
	v_min_u32_e32 v40, 32, v40
	v_subrev_nc_u32_e32 v41, 28, v40
	v_sub_nc_u32_e32 v40, 29, v40
	v_lshlrev_b32_sdwa v41, v41, v12 dst_sel:DWORD dst_unused:UNUSED_PAD src0_sel:DWORD src1_sel:BYTE_3
	v_cndmask_b32_e32 v40, v42, v40, vcc_lo
	v_and_b32_e32 v12, 0x80000000, v12
	v_and_b32_e32 v41, 7, v41
	v_lshl_add_u32 v40, v40, 23, 0x3b800000
	v_cndmask_b32_e32 v16, v16, v41, vcc_lo
	v_lshlrev_b32_e32 v16, 20, v16
	v_or3_b32 v16, v12, v40, v16
.LBB2_1911:                             ;   in Loop: Header=BB2_1679 Depth=2
	s_or_b32 exec_lo, exec_lo, s27
	v_add_f32_e32 v16, v119, v16
	v_and_b32_e32 v12, 0x7f800000, v16
	v_cmp_ne_u32_e32 vcc_lo, 0x7f800000, v12
	v_mov_b32_e32 v12, 0x8000
	s_and_saveexec_b32 s27, vcc_lo
	s_cbranch_execz .LBB2_1919
; %bb.1912:                             ;   in Loop: Header=BB2_1679 Depth=2
	v_mov_b32_e32 v12, 0
	s_mov_b32 s28, exec_lo
	v_cmpx_ne_u32_e32 0, v16
	s_cbranch_execz .LBB2_1918
; %bb.1913:                             ;   in Loop: Header=BB2_1679 Depth=2
	v_bfe_u32 v12, v16, 23, 8
	v_and_b32_e32 v119, 0x7fffff, v16
	v_sub_nc_u32_e32 v40, 0x78, v12
	v_cmp_gt_u32_e32 vcc_lo, 0x79, v12
	v_or_b32_e32 v41, 0x800000, v119
	v_cndmask_b32_e32 v40, 0, v40, vcc_lo
	v_cmp_eq_u32_e32 vcc_lo, 0, v12
	v_add_nc_u32_e32 v12, 0xffffff89, v12
	v_cndmask_b32_e64 v40, v40, 0x77, vcc_lo
	v_cndmask_b32_e32 v119, v41, v119, vcc_lo
	v_cndmask_b32_e64 v12, v12, 0xffffff8a, vcc_lo
	v_lshl_add_u32 v41, 0x100000, v40, -1
	v_lshrrev_b32_e32 v42, v40, v119
	v_lshlrev_b32_e64 v44, v40, 0x80000
	v_add_nc_u32_e32 v40, v40, v12
	v_and_b32_e32 v119, v41, v119
	v_bfe_u32 v43, v42, 20, 1
	v_cmp_eq_u32_e64 s12, v119, v44
	v_add_nc_u32_e32 v41, -1, v43
	v_cndmask_b32_e64 v119, 0, v41, s12
	v_lshrrev_b32_e32 v41, 23, v42
	s_mov_b32 s12, exec_lo
	v_add_nc_u32_e32 v119, v119, v42
	v_xor_b32_e32 v41, 1, v41
	v_and_b32_e32 v12, 0xfffff, v119
	v_add_nc_u32_e32 v119, v12, v42
                                        ; implicit-def: $vgpr12
	v_cmpx_ne_u32_e64 v40, v41
	s_xor_b32 s12, exec_lo, s12
; %bb.1914:                             ;   in Loop: Header=BB2_1679 Depth=2
	v_cmp_lt_u32_e32 vcc_lo, 0xffffff, v119
	v_sub_nc_u32_e32 v12, v40, v41
	v_cndmask_b32_e64 v40, 0, 1, vcc_lo
	v_add_co_ci_u32_e64 v12, null, 0, v12, vcc_lo
	v_lshrrev_b32_e32 v119, v40, v119
; %bb.1915:                             ;   in Loop: Header=BB2_1679 Depth=2
	s_andn2_saveexec_b32 s12, s12
; %bb.1916:                             ;   in Loop: Header=BB2_1679 Depth=2
	v_bfe_u32 v12, v119, 23, 1
; %bb.1917:                             ;   in Loop: Header=BB2_1679 Depth=2
	s_or_b32 exec_lo, exec_lo, s12
	v_lshrrev_b32_e32 v119, 20, v119
	v_min_i32_e32 v40, 15, v12
	v_cmp_gt_i32_e32 vcc_lo, 16, v12
	v_and_b32_sdwa v16, v16, v86 dst_sel:DWORD dst_unused:UNUSED_PAD src0_sel:BYTE_3 src1_sel:DWORD
	v_lshlrev_b32_e32 v40, 3, v40
	v_cndmask_b32_e32 v119, 7, v119, vcc_lo
	v_and_b32_e32 v40, 0xf8, v40
	v_and_b32_e32 v41, 7, v119
	v_or_b32_e32 v12, v12, v119
	v_or3_b32 v16, v16, v40, v41
	v_cmp_ne_u32_e32 vcc_lo, 0, v12
	v_lshlrev_b32_e32 v16, 8, v16
	v_cndmask_b32_e32 v12, 0, v16, vcc_lo
.LBB2_1918:                             ;   in Loop: Header=BB2_1679 Depth=2
	s_or_b32 exec_lo, exec_lo, s28
.LBB2_1919:                             ;   in Loop: Header=BB2_1679 Depth=2
	s_or_b32 exec_lo, exec_lo, s27
	v_cmp_gt_i16_sdwa s27, v17, v85 src0_sel:BYTE_0 src1_sel:DWORD
	s_mov_b32 s12, 0
	s_and_saveexec_b32 s28, s27
	s_xor_b32 s27, exec_lo, s28
	s_cbranch_execz .LBB2_2045
; %bb.1920:                             ;   in Loop: Header=BB2_1679 Depth=2
	v_cmp_eq_u16_sdwa s29, v17, v86 src0_sel:BYTE_0 src1_sel:DWORD
	s_mov_b32 s12, -1
	s_and_saveexec_b32 s28, s29
; %bb.1921:                             ;   in Loop: Header=BB2_1679 Depth=2
	s_xor_b32 s12, exec_lo, -1
; %bb.1922:                             ;   in Loop: Header=BB2_1679 Depth=2
	s_or_b32 exec_lo, exec_lo, s28
	s_and_b32 s12, s12, exec_lo
	s_or_saveexec_b32 s27, s27
	v_mov_b32_e32 v16, 0x7f800001
	s_xor_b32 exec_lo, exec_lo, s27
	s_cbranch_execnz .LBB2_2046
.LBB2_1923:                             ;   in Loop: Header=BB2_1679 Depth=2
	s_or_b32 exec_lo, exec_lo, s27
	s_and_saveexec_b32 s27, s12
	s_cbranch_execz .LBB2_1925
.LBB2_1924:                             ;   in Loop: Header=BB2_1679 Depth=2
	v_and_b32_e32 v16, 7, v17
	v_bfe_u32 v41, v17, 3, 4
	v_lshlrev_b32_e32 v42, 24, v17
	v_ffbh_u32_e32 v119, v16
	v_cmp_eq_u32_e32 vcc_lo, 0, v41
	v_min_u32_e32 v119, 32, v119
	v_subrev_nc_u32_e32 v40, 28, v119
	v_sub_nc_u32_e32 v119, 29, v119
	v_lshlrev_b32_e32 v40, v40, v17
	v_cndmask_b32_e32 v119, v41, v119, vcc_lo
	v_and_b32_e32 v40, 7, v40
	v_lshl_add_u32 v119, v119, 23, 0x3b800000
	v_cndmask_b32_e32 v16, v16, v40, vcc_lo
	v_and_b32_e32 v40, 0x80000000, v42
	v_lshlrev_b32_e32 v16, 20, v16
	v_or3_b32 v16, v40, v119, v16
.LBB2_1925:                             ;   in Loop: Header=BB2_1679 Depth=2
	s_or_b32 exec_lo, exec_lo, s27
	v_cmp_gt_i16_sdwa s27, v13, v85 src0_sel:BYTE_0 src1_sel:DWORD
	s_mov_b32 s12, 0
	s_and_saveexec_b32 s28, s27
	s_xor_b32 s27, exec_lo, s28
	s_cbranch_execz .LBB2_2047
; %bb.1926:                             ;   in Loop: Header=BB2_1679 Depth=2
	v_cmp_eq_u16_sdwa s29, v13, v86 src0_sel:BYTE_0 src1_sel:DWORD
	s_mov_b32 s12, -1
	s_and_saveexec_b32 s28, s29
; %bb.1927:                             ;   in Loop: Header=BB2_1679 Depth=2
	s_xor_b32 s12, exec_lo, -1
; %bb.1928:                             ;   in Loop: Header=BB2_1679 Depth=2
	s_or_b32 exec_lo, exec_lo, s28
	s_and_b32 s12, s12, exec_lo
	s_or_saveexec_b32 s27, s27
	v_mov_b32_e32 v119, 0x7f800001
	s_xor_b32 exec_lo, exec_lo, s27
	s_cbranch_execnz .LBB2_2048
.LBB2_1929:                             ;   in Loop: Header=BB2_1679 Depth=2
	s_or_b32 exec_lo, exec_lo, s27
	s_and_saveexec_b32 s27, s12
	s_cbranch_execz .LBB2_1931
.LBB2_1930:                             ;   in Loop: Header=BB2_1679 Depth=2
	v_and_b32_e32 v119, 7, v13
	v_bfe_u32 v42, v13, 3, 4
	v_lshlrev_b32_e32 v43, 24, v13
	v_ffbh_u32_e32 v40, v119
	v_cmp_eq_u32_e32 vcc_lo, 0, v42
	v_min_u32_e32 v40, 32, v40
	v_subrev_nc_u32_e32 v41, 28, v40
	v_sub_nc_u32_e32 v40, 29, v40
	v_lshlrev_b32_e32 v41, v41, v13
	v_cndmask_b32_e32 v40, v42, v40, vcc_lo
	v_and_b32_e32 v41, 7, v41
	v_lshl_add_u32 v40, v40, 23, 0x3b800000
	v_cndmask_b32_e32 v119, v119, v41, vcc_lo
	v_and_b32_e32 v41, 0x80000000, v43
	v_lshlrev_b32_e32 v119, 20, v119
	v_or3_b32 v119, v41, v40, v119
.LBB2_1931:                             ;   in Loop: Header=BB2_1679 Depth=2
	s_or_b32 exec_lo, exec_lo, s27
	v_add_f32_e32 v119, v16, v119
	v_and_b32_e32 v16, 0x7f800000, v119
	v_cmp_ne_u32_e32 vcc_lo, 0x7f800000, v16
	v_mov_b32_e32 v16, 0x80
	s_and_saveexec_b32 s27, vcc_lo
	s_cbranch_execz .LBB2_1939
; %bb.1932:                             ;   in Loop: Header=BB2_1679 Depth=2
	v_mov_b32_e32 v16, 0
	s_mov_b32 s28, exec_lo
	v_cmpx_ne_u32_e32 0, v119
	s_cbranch_execz .LBB2_1938
; %bb.1933:                             ;   in Loop: Header=BB2_1679 Depth=2
	v_bfe_u32 v16, v119, 23, 8
	v_and_b32_e32 v40, 0x7fffff, v119
	v_sub_nc_u32_e32 v41, 0x78, v16
	v_cmp_gt_u32_e32 vcc_lo, 0x79, v16
	v_or_b32_e32 v42, 0x800000, v40
	v_cndmask_b32_e32 v41, 0, v41, vcc_lo
	v_cmp_eq_u32_e32 vcc_lo, 0, v16
	v_add_nc_u32_e32 v16, 0xffffff89, v16
	v_cndmask_b32_e64 v41, v41, 0x77, vcc_lo
	v_cndmask_b32_e32 v40, v42, v40, vcc_lo
	v_cndmask_b32_e64 v16, v16, 0xffffff8a, vcc_lo
	v_lshl_add_u32 v42, 0x100000, v41, -1
	v_lshrrev_b32_e32 v43, v41, v40
	v_lshlrev_b32_e64 v45, v41, 0x80000
	v_add_nc_u32_e32 v41, v41, v16
	v_and_b32_e32 v40, v42, v40
	v_bfe_u32 v44, v43, 20, 1
	v_cmp_eq_u32_e64 s12, v40, v45
	v_add_nc_u32_e32 v42, -1, v44
	v_cndmask_b32_e64 v40, 0, v42, s12
	v_lshrrev_b32_e32 v42, 23, v43
	s_mov_b32 s12, exec_lo
	v_add_nc_u32_e32 v40, v40, v43
	v_xor_b32_e32 v42, 1, v42
	v_and_b32_e32 v16, 0xfffff, v40
	v_add_nc_u32_e32 v40, v16, v43
                                        ; implicit-def: $vgpr16
	v_cmpx_ne_u32_e64 v41, v42
	s_xor_b32 s12, exec_lo, s12
; %bb.1934:                             ;   in Loop: Header=BB2_1679 Depth=2
	v_cmp_lt_u32_e32 vcc_lo, 0xffffff, v40
	v_sub_nc_u32_e32 v16, v41, v42
	v_cndmask_b32_e64 v41, 0, 1, vcc_lo
	v_add_co_ci_u32_e64 v16, null, 0, v16, vcc_lo
	v_lshrrev_b32_e32 v40, v41, v40
; %bb.1935:                             ;   in Loop: Header=BB2_1679 Depth=2
	s_andn2_saveexec_b32 s12, s12
; %bb.1936:                             ;   in Loop: Header=BB2_1679 Depth=2
	v_bfe_u32 v16, v40, 23, 1
; %bb.1937:                             ;   in Loop: Header=BB2_1679 Depth=2
	s_or_b32 exec_lo, exec_lo, s12
	v_lshrrev_b32_e32 v40, 20, v40
	v_min_i32_e32 v41, 15, v16
	v_cmp_gt_i32_e32 vcc_lo, 16, v16
	v_and_b32_sdwa v119, v119, v86 dst_sel:DWORD dst_unused:UNUSED_PAD src0_sel:BYTE_3 src1_sel:DWORD
	v_lshlrev_b32_e32 v41, 3, v41
	v_cndmask_b32_e32 v40, 7, v40, vcc_lo
	v_and_b32_e32 v41, 0xf8, v41
	v_and_b32_e32 v42, 7, v40
	v_or_b32_e32 v16, v16, v40
	v_or3_b32 v119, v41, v119, v42
	v_cmp_ne_u32_e32 vcc_lo, 0, v16
	v_cndmask_b32_e32 v16, 0, v119, vcc_lo
.LBB2_1938:                             ;   in Loop: Header=BB2_1679 Depth=2
	s_or_b32 exec_lo, exec_lo, s28
.LBB2_1939:                             ;   in Loop: Header=BB2_1679 Depth=2
	s_or_b32 exec_lo, exec_lo, s27
	v_cmp_gt_i16_sdwa s27, v17, v85 src0_sel:BYTE_1 src1_sel:DWORD
	s_mov_b32 s12, 0
	s_and_saveexec_b32 s28, s27
	s_xor_b32 s27, exec_lo, s28
	s_cbranch_execz .LBB2_2049
; %bb.1940:                             ;   in Loop: Header=BB2_1679 Depth=2
	v_cmp_eq_u16_sdwa s29, v17, v86 src0_sel:BYTE_1 src1_sel:DWORD
	s_mov_b32 s12, -1
	s_and_saveexec_b32 s28, s29
; %bb.1941:                             ;   in Loop: Header=BB2_1679 Depth=2
	s_xor_b32 s12, exec_lo, -1
; %bb.1942:                             ;   in Loop: Header=BB2_1679 Depth=2
	s_or_b32 exec_lo, exec_lo, s28
	s_and_b32 s12, s12, exec_lo
	s_or_saveexec_b32 s27, s27
	v_mov_b32_e32 v119, 0x7f800001
	s_xor_b32 exec_lo, exec_lo, s27
	s_cbranch_execnz .LBB2_2050
.LBB2_1943:                             ;   in Loop: Header=BB2_1679 Depth=2
	s_or_b32 exec_lo, exec_lo, s27
	s_and_saveexec_b32 s27, s12
	s_cbranch_execz .LBB2_1945
.LBB2_1944:                             ;   in Loop: Header=BB2_1679 Depth=2
	v_and_b32_sdwa v119, v87, v17 dst_sel:DWORD dst_unused:UNUSED_PAD src0_sel:DWORD src1_sel:BYTE_1
	v_and_b32_e32 v40, 7, v119
	v_bfe_u32 v43, v119, 3, 4
	v_ffbh_u32_e32 v41, v40
	v_cmp_eq_u32_e32 vcc_lo, 0, v43
	v_min_u32_e32 v41, 32, v41
	v_subrev_nc_u32_e32 v42, 28, v41
	v_sub_nc_u32_e32 v41, 29, v41
	v_lshlrev_b32_e32 v119, v42, v119
	v_lshlrev_b32_sdwa v42, v96, v17 dst_sel:DWORD dst_unused:UNUSED_PAD src0_sel:DWORD src1_sel:BYTE_1
	v_cndmask_b32_e32 v41, v43, v41, vcc_lo
	v_and_b32_e32 v119, 7, v119
	v_lshl_add_u32 v41, v41, 23, 0x3b800000
	v_cndmask_b32_e32 v119, v40, v119, vcc_lo
	v_and_b32_e32 v40, 0x80000000, v42
	v_lshlrev_b32_e32 v119, 20, v119
	v_or3_b32 v119, v40, v41, v119
.LBB2_1945:                             ;   in Loop: Header=BB2_1679 Depth=2
	s_or_b32 exec_lo, exec_lo, s27
	v_cmp_gt_i16_sdwa s27, v13, v85 src0_sel:BYTE_1 src1_sel:DWORD
	s_mov_b32 s12, 0
	s_and_saveexec_b32 s28, s27
	s_xor_b32 s27, exec_lo, s28
	s_cbranch_execz .LBB2_2051
; %bb.1946:                             ;   in Loop: Header=BB2_1679 Depth=2
	v_cmp_eq_u16_sdwa s29, v13, v86 src0_sel:BYTE_1 src1_sel:DWORD
	s_mov_b32 s12, -1
	s_and_saveexec_b32 s28, s29
; %bb.1947:                             ;   in Loop: Header=BB2_1679 Depth=2
	s_xor_b32 s12, exec_lo, -1
; %bb.1948:                             ;   in Loop: Header=BB2_1679 Depth=2
	s_or_b32 exec_lo, exec_lo, s28
	s_and_b32 s12, s12, exec_lo
	s_or_saveexec_b32 s27, s27
	v_mov_b32_e32 v40, 0x7f800001
	s_xor_b32 exec_lo, exec_lo, s27
	s_cbranch_execnz .LBB2_2052
.LBB2_1949:                             ;   in Loop: Header=BB2_1679 Depth=2
	s_or_b32 exec_lo, exec_lo, s27
	s_and_saveexec_b32 s27, s12
	s_cbranch_execz .LBB2_1951
.LBB2_1950:                             ;   in Loop: Header=BB2_1679 Depth=2
	v_and_b32_sdwa v40, v87, v13 dst_sel:DWORD dst_unused:UNUSED_PAD src0_sel:DWORD src1_sel:BYTE_1
	v_and_b32_e32 v41, 7, v40
	v_bfe_u32 v44, v40, 3, 4
	v_ffbh_u32_e32 v42, v41
	v_cmp_eq_u32_e32 vcc_lo, 0, v44
	v_min_u32_e32 v42, 32, v42
	v_subrev_nc_u32_e32 v43, 28, v42
	v_sub_nc_u32_e32 v42, 29, v42
	v_lshlrev_b32_e32 v40, v43, v40
	v_lshlrev_b32_sdwa v43, v96, v13 dst_sel:DWORD dst_unused:UNUSED_PAD src0_sel:DWORD src1_sel:BYTE_1
	v_cndmask_b32_e32 v42, v44, v42, vcc_lo
	v_and_b32_e32 v40, 7, v40
	v_lshl_add_u32 v42, v42, 23, 0x3b800000
	v_cndmask_b32_e32 v40, v41, v40, vcc_lo
	v_and_b32_e32 v41, 0x80000000, v43
	v_lshlrev_b32_e32 v40, 20, v40
	v_or3_b32 v40, v41, v42, v40
.LBB2_1951:                             ;   in Loop: Header=BB2_1679 Depth=2
	s_or_b32 exec_lo, exec_lo, s27
	v_add_f32_e32 v40, v119, v40
	v_and_b32_e32 v119, 0x7f800000, v40
	v_cmp_ne_u32_e32 vcc_lo, 0x7f800000, v119
	v_mov_b32_e32 v119, 0x8000
	s_and_saveexec_b32 s27, vcc_lo
	s_cbranch_execz .LBB2_1959
; %bb.1952:                             ;   in Loop: Header=BB2_1679 Depth=2
	v_mov_b32_e32 v119, 0
	s_mov_b32 s28, exec_lo
	v_cmpx_ne_u32_e32 0, v40
	s_cbranch_execz .LBB2_1958
; %bb.1953:                             ;   in Loop: Header=BB2_1679 Depth=2
	v_bfe_u32 v119, v40, 23, 8
	v_and_b32_e32 v41, 0x7fffff, v40
	v_sub_nc_u32_e32 v42, 0x78, v119
	v_cmp_gt_u32_e32 vcc_lo, 0x79, v119
	v_or_b32_e32 v43, 0x800000, v41
	v_cndmask_b32_e32 v42, 0, v42, vcc_lo
	v_cmp_eq_u32_e32 vcc_lo, 0, v119
	v_add_nc_u32_e32 v119, 0xffffff89, v119
	v_cndmask_b32_e64 v42, v42, 0x77, vcc_lo
	v_cndmask_b32_e32 v41, v43, v41, vcc_lo
	v_cndmask_b32_e64 v119, v119, 0xffffff8a, vcc_lo
	v_lshl_add_u32 v43, 0x100000, v42, -1
	v_lshrrev_b32_e32 v44, v42, v41
	v_lshlrev_b32_e64 v46, v42, 0x80000
	v_add_nc_u32_e32 v42, v42, v119
	v_and_b32_e32 v41, v43, v41
	v_bfe_u32 v45, v44, 20, 1
	v_cmp_eq_u32_e64 s12, v41, v46
	v_add_nc_u32_e32 v43, -1, v45
	v_cndmask_b32_e64 v41, 0, v43, s12
	v_lshrrev_b32_e32 v43, 23, v44
	s_mov_b32 s12, exec_lo
	v_add_nc_u32_e32 v41, v41, v44
	v_xor_b32_e32 v43, 1, v43
	v_and_b32_e32 v119, 0xfffff, v41
	v_add_nc_u32_e32 v41, v119, v44
                                        ; implicit-def: $vgpr119
	v_cmpx_ne_u32_e64 v42, v43
	s_xor_b32 s12, exec_lo, s12
; %bb.1954:                             ;   in Loop: Header=BB2_1679 Depth=2
	v_cmp_lt_u32_e32 vcc_lo, 0xffffff, v41
	v_sub_nc_u32_e32 v119, v42, v43
	v_cndmask_b32_e64 v42, 0, 1, vcc_lo
	v_add_co_ci_u32_e64 v119, null, 0, v119, vcc_lo
	v_lshrrev_b32_e32 v41, v42, v41
; %bb.1955:                             ;   in Loop: Header=BB2_1679 Depth=2
	s_andn2_saveexec_b32 s12, s12
; %bb.1956:                             ;   in Loop: Header=BB2_1679 Depth=2
	v_bfe_u32 v119, v41, 23, 1
; %bb.1957:                             ;   in Loop: Header=BB2_1679 Depth=2
	s_or_b32 exec_lo, exec_lo, s12
	v_lshrrev_b32_e32 v41, 20, v41
	v_min_i32_e32 v42, 15, v119
	v_cmp_gt_i32_e32 vcc_lo, 16, v119
	v_and_b32_sdwa v40, v40, v86 dst_sel:DWORD dst_unused:UNUSED_PAD src0_sel:BYTE_3 src1_sel:DWORD
	v_lshlrev_b32_e32 v42, 3, v42
	v_cndmask_b32_e32 v41, 7, v41, vcc_lo
	v_and_b32_e32 v42, 0xf8, v42
	v_and_b32_e32 v43, 7, v41
	v_or_b32_e32 v119, v119, v41
	v_or3_b32 v40, v40, v42, v43
	v_cmp_ne_u32_e32 vcc_lo, 0, v119
	v_lshlrev_b32_e32 v40, 8, v40
	v_cndmask_b32_e32 v119, 0, v40, vcc_lo
.LBB2_1958:                             ;   in Loop: Header=BB2_1679 Depth=2
	s_or_b32 exec_lo, exec_lo, s28
.LBB2_1959:                             ;   in Loop: Header=BB2_1679 Depth=2
	s_or_b32 exec_lo, exec_lo, s27
	v_and_b32_sdwa v41, v17, v97 dst_sel:DWORD dst_unused:UNUSED_PAD src0_sel:WORD_1 src1_sel:DWORD
	s_mov_b32 s12, 0
	s_mov_b32 s27, exec_lo
	v_cmpx_lt_i16_e32 0x7f, v41
	s_xor_b32 s27, exec_lo, s27
	s_cbranch_execz .LBB2_2053
; %bb.1960:                             ;   in Loop: Header=BB2_1679 Depth=2
	s_mov_b32 s12, -1
	s_mov_b32 s28, exec_lo
	v_cmpx_eq_u16_e32 0x80, v41
; %bb.1961:                             ;   in Loop: Header=BB2_1679 Depth=2
	s_xor_b32 s12, exec_lo, -1
; %bb.1962:                             ;   in Loop: Header=BB2_1679 Depth=2
	s_or_b32 exec_lo, exec_lo, s28
	s_and_b32 s12, s12, exec_lo
                                        ; implicit-def: $vgpr41
	s_or_saveexec_b32 s27, s27
	v_mov_b32_e32 v40, 0x7f800001
	s_xor_b32 exec_lo, exec_lo, s27
	s_cbranch_execnz .LBB2_2054
.LBB2_1963:                             ;   in Loop: Header=BB2_1679 Depth=2
	s_or_b32 exec_lo, exec_lo, s27
	s_and_saveexec_b32 s27, s12
	s_cbranch_execz .LBB2_1965
.LBB2_1964:                             ;   in Loop: Header=BB2_1679 Depth=2
	v_bfe_u32 v40, v17, 16, 3
	v_bfe_u32 v43, v17, 19, 4
	v_lshlrev_b32_e32 v44, 8, v17
	v_ffbh_u32_e32 v41, v40
	v_cmp_eq_u32_e32 vcc_lo, 0, v43
	v_min_u32_e32 v41, 32, v41
	v_subrev_nc_u32_e32 v42, 28, v41
	v_sub_nc_u32_e32 v41, 29, v41
	v_lshlrev_b32_sdwa v42, v42, v17 dst_sel:DWORD dst_unused:UNUSED_PAD src0_sel:DWORD src1_sel:WORD_1
	v_cndmask_b32_e32 v41, v43, v41, vcc_lo
	v_and_b32_e32 v42, 7, v42
	v_lshl_add_u32 v41, v41, 23, 0x3b800000
	v_cndmask_b32_e32 v40, v40, v42, vcc_lo
	v_and_b32_e32 v42, 0x80000000, v44
	v_lshlrev_b32_e32 v40, 20, v40
	v_or3_b32 v40, v42, v41, v40
.LBB2_1965:                             ;   in Loop: Header=BB2_1679 Depth=2
	s_or_b32 exec_lo, exec_lo, s27
	v_and_b32_sdwa v42, v13, v97 dst_sel:DWORD dst_unused:UNUSED_PAD src0_sel:WORD_1 src1_sel:DWORD
	s_mov_b32 s12, 0
	s_mov_b32 s27, exec_lo
	v_cmpx_lt_i16_e32 0x7f, v42
	s_xor_b32 s27, exec_lo, s27
	s_cbranch_execz .LBB2_2055
; %bb.1966:                             ;   in Loop: Header=BB2_1679 Depth=2
	s_mov_b32 s12, -1
	s_mov_b32 s28, exec_lo
	v_cmpx_eq_u16_e32 0x80, v42
; %bb.1967:                             ;   in Loop: Header=BB2_1679 Depth=2
	s_xor_b32 s12, exec_lo, -1
; %bb.1968:                             ;   in Loop: Header=BB2_1679 Depth=2
	s_or_b32 exec_lo, exec_lo, s28
	s_and_b32 s12, s12, exec_lo
                                        ; implicit-def: $vgpr42
	s_or_saveexec_b32 s27, s27
	v_mov_b32_e32 v41, 0x7f800001
	s_xor_b32 exec_lo, exec_lo, s27
	s_cbranch_execnz .LBB2_2056
.LBB2_1969:                             ;   in Loop: Header=BB2_1679 Depth=2
	s_or_b32 exec_lo, exec_lo, s27
	s_and_saveexec_b32 s27, s12
	s_cbranch_execz .LBB2_1971
.LBB2_1970:                             ;   in Loop: Header=BB2_1679 Depth=2
	v_and_b32_sdwa v41, v13, v98 dst_sel:DWORD dst_unused:UNUSED_PAD src0_sel:WORD_1 src1_sel:DWORD
	v_bfe_u32 v44, v13, 19, 4
	v_lshlrev_b32_sdwa v45, v96, v13 dst_sel:DWORD dst_unused:UNUSED_PAD src0_sel:DWORD src1_sel:WORD_1
	v_ffbh_u32_e32 v42, v41
	v_cmp_eq_u32_e32 vcc_lo, 0, v44
	v_min_u32_e32 v42, 32, v42
	v_subrev_nc_u32_e32 v43, 28, v42
	v_sub_nc_u32_e32 v42, 29, v42
	v_lshlrev_b32_sdwa v43, v43, v13 dst_sel:DWORD dst_unused:UNUSED_PAD src0_sel:DWORD src1_sel:WORD_1
	v_cndmask_b32_e32 v42, v44, v42, vcc_lo
	v_and_b32_e32 v43, 7, v43
	v_lshl_add_u32 v42, v42, 23, 0x3b800000
	v_cndmask_b32_e32 v41, v41, v43, vcc_lo
	v_and_b32_e32 v43, 0x80000000, v45
	v_lshlrev_b32_e32 v41, 20, v41
	v_or3_b32 v41, v43, v42, v41
.LBB2_1971:                             ;   in Loop: Header=BB2_1679 Depth=2
	s_or_b32 exec_lo, exec_lo, s27
	v_add_f32_e32 v41, v40, v41
	v_and_b32_e32 v40, 0x7f800000, v41
	v_cmp_ne_u32_e32 vcc_lo, 0x7f800000, v40
	v_mov_b32_e32 v40, 0x80
	s_and_saveexec_b32 s27, vcc_lo
	s_cbranch_execz .LBB2_1979
; %bb.1972:                             ;   in Loop: Header=BB2_1679 Depth=2
	v_mov_b32_e32 v40, 0
	s_mov_b32 s28, exec_lo
	v_cmpx_ne_u32_e32 0, v41
	s_cbranch_execz .LBB2_1978
; %bb.1973:                             ;   in Loop: Header=BB2_1679 Depth=2
	v_bfe_u32 v40, v41, 23, 8
	v_and_b32_e32 v42, 0x7fffff, v41
	v_sub_nc_u32_e32 v43, 0x78, v40
	v_cmp_gt_u32_e32 vcc_lo, 0x79, v40
	v_or_b32_e32 v44, 0x800000, v42
	v_cndmask_b32_e32 v43, 0, v43, vcc_lo
	v_cmp_eq_u32_e32 vcc_lo, 0, v40
	v_add_nc_u32_e32 v40, 0xffffff89, v40
	v_cndmask_b32_e64 v43, v43, 0x77, vcc_lo
	v_cndmask_b32_e32 v42, v44, v42, vcc_lo
	v_cndmask_b32_e64 v40, v40, 0xffffff8a, vcc_lo
	v_lshl_add_u32 v44, 0x100000, v43, -1
	v_lshrrev_b32_e32 v45, v43, v42
	v_lshlrev_b32_e64 v47, v43, 0x80000
	v_add_nc_u32_e32 v43, v43, v40
	v_and_b32_e32 v42, v44, v42
	v_bfe_u32 v46, v45, 20, 1
	v_cmp_eq_u32_e64 s12, v42, v47
	v_add_nc_u32_e32 v44, -1, v46
	v_cndmask_b32_e64 v42, 0, v44, s12
	v_lshrrev_b32_e32 v44, 23, v45
	s_mov_b32 s12, exec_lo
	v_add_nc_u32_e32 v42, v42, v45
	v_xor_b32_e32 v44, 1, v44
	v_and_b32_e32 v40, 0xfffff, v42
	v_add_nc_u32_e32 v42, v40, v45
                                        ; implicit-def: $vgpr40
	v_cmpx_ne_u32_e64 v43, v44
	s_xor_b32 s12, exec_lo, s12
; %bb.1974:                             ;   in Loop: Header=BB2_1679 Depth=2
	v_cmp_lt_u32_e32 vcc_lo, 0xffffff, v42
	v_sub_nc_u32_e32 v40, v43, v44
	v_cndmask_b32_e64 v43, 0, 1, vcc_lo
	v_add_co_ci_u32_e64 v40, null, 0, v40, vcc_lo
	v_lshrrev_b32_e32 v42, v43, v42
; %bb.1975:                             ;   in Loop: Header=BB2_1679 Depth=2
	s_andn2_saveexec_b32 s12, s12
; %bb.1976:                             ;   in Loop: Header=BB2_1679 Depth=2
	v_bfe_u32 v40, v42, 23, 1
; %bb.1977:                             ;   in Loop: Header=BB2_1679 Depth=2
	s_or_b32 exec_lo, exec_lo, s12
	v_lshrrev_b32_e32 v42, 20, v42
	v_min_i32_e32 v43, 15, v40
	v_cmp_gt_i32_e32 vcc_lo, 16, v40
	v_and_b32_sdwa v41, v41, v86 dst_sel:DWORD dst_unused:UNUSED_PAD src0_sel:BYTE_3 src1_sel:DWORD
	v_lshlrev_b32_e32 v43, 3, v43
	v_cndmask_b32_e32 v42, 7, v42, vcc_lo
	v_and_b32_e32 v43, 0xf8, v43
	v_and_b32_e32 v44, 7, v42
	v_or_b32_e32 v40, v40, v42
	v_or3_b32 v41, v43, v41, v44
	v_cmp_ne_u32_e32 vcc_lo, 0, v40
	v_cndmask_b32_e32 v40, 0, v41, vcc_lo
.LBB2_1978:                             ;   in Loop: Header=BB2_1679 Depth=2
	s_or_b32 exec_lo, exec_lo, s28
.LBB2_1979:                             ;   in Loop: Header=BB2_1679 Depth=2
	s_or_b32 exec_lo, exec_lo, s27
	v_cmp_gt_i16_sdwa s27, v17, v85 src0_sel:BYTE_3 src1_sel:DWORD
	s_mov_b32 s12, 0
	s_and_saveexec_b32 s28, s27
	s_xor_b32 s27, exec_lo, s28
	s_cbranch_execz .LBB2_2057
; %bb.1980:                             ;   in Loop: Header=BB2_1679 Depth=2
	v_cmp_eq_u16_sdwa s29, v17, v86 src0_sel:BYTE_3 src1_sel:DWORD
	s_mov_b32 s12, -1
	s_and_saveexec_b32 s28, s29
; %bb.1981:                             ;   in Loop: Header=BB2_1679 Depth=2
	s_xor_b32 s12, exec_lo, -1
; %bb.1982:                             ;   in Loop: Header=BB2_1679 Depth=2
	s_or_b32 exec_lo, exec_lo, s28
	s_and_b32 s12, s12, exec_lo
	s_or_saveexec_b32 s27, s27
	v_mov_b32_e32 v41, 0x7f800001
	s_xor_b32 exec_lo, exec_lo, s27
	s_cbranch_execnz .LBB2_2058
.LBB2_1983:                             ;   in Loop: Header=BB2_1679 Depth=2
	s_or_b32 exec_lo, exec_lo, s27
	s_and_saveexec_b32 s27, s12
	s_cbranch_execz .LBB2_1985
.LBB2_1984:                             ;   in Loop: Header=BB2_1679 Depth=2
	v_bfe_u32 v41, v17, 24, 3
	v_bfe_u32 v44, v17, 27, 4
	v_ffbh_u32_e32 v42, v41
	v_cmp_eq_u32_e32 vcc_lo, 0, v44
	v_min_u32_e32 v42, 32, v42
	v_subrev_nc_u32_e32 v43, 28, v42
	v_sub_nc_u32_e32 v42, 29, v42
	v_lshlrev_b32_sdwa v43, v43, v17 dst_sel:DWORD dst_unused:UNUSED_PAD src0_sel:DWORD src1_sel:BYTE_3
	v_cndmask_b32_e32 v42, v44, v42, vcc_lo
	v_and_b32_e32 v17, 0x80000000, v17
	v_and_b32_e32 v43, 7, v43
	v_lshl_add_u32 v42, v42, 23, 0x3b800000
	v_cndmask_b32_e32 v41, v41, v43, vcc_lo
	v_lshlrev_b32_e32 v41, 20, v41
	v_or3_b32 v41, v17, v42, v41
.LBB2_1985:                             ;   in Loop: Header=BB2_1679 Depth=2
	s_or_b32 exec_lo, exec_lo, s27
	v_cmp_gt_i16_sdwa s27, v13, v85 src0_sel:BYTE_3 src1_sel:DWORD
	s_mov_b32 s12, 0
	s_and_saveexec_b32 s28, s27
	s_xor_b32 s27, exec_lo, s28
	s_cbranch_execz .LBB2_2059
; %bb.1986:                             ;   in Loop: Header=BB2_1679 Depth=2
	v_cmp_eq_u16_sdwa s29, v13, v86 src0_sel:BYTE_3 src1_sel:DWORD
	s_mov_b32 s12, -1
	s_and_saveexec_b32 s28, s29
; %bb.1987:                             ;   in Loop: Header=BB2_1679 Depth=2
	s_xor_b32 s12, exec_lo, -1
; %bb.1988:                             ;   in Loop: Header=BB2_1679 Depth=2
	s_or_b32 exec_lo, exec_lo, s28
	s_and_b32 s12, s12, exec_lo
	s_or_saveexec_b32 s27, s27
	v_mov_b32_e32 v17, 0x7f800001
	s_xor_b32 exec_lo, exec_lo, s27
	s_cbranch_execnz .LBB2_2060
.LBB2_1989:                             ;   in Loop: Header=BB2_1679 Depth=2
	s_or_b32 exec_lo, exec_lo, s27
	s_and_saveexec_b32 s27, s12
	s_cbranch_execz .LBB2_1991
.LBB2_1990:                             ;   in Loop: Header=BB2_1679 Depth=2
	v_and_b32_sdwa v17, v13, v98 dst_sel:DWORD dst_unused:UNUSED_PAD src0_sel:BYTE_3 src1_sel:DWORD
	v_bfe_u32 v44, v13, 27, 4
	v_ffbh_u32_e32 v42, v17
	v_cmp_eq_u32_e32 vcc_lo, 0, v44
	v_min_u32_e32 v42, 32, v42
	v_subrev_nc_u32_e32 v43, 28, v42
	v_sub_nc_u32_e32 v42, 29, v42
	v_lshlrev_b32_sdwa v43, v43, v13 dst_sel:DWORD dst_unused:UNUSED_PAD src0_sel:DWORD src1_sel:BYTE_3
	v_cndmask_b32_e32 v42, v44, v42, vcc_lo
	v_and_b32_e32 v13, 0x80000000, v13
	v_and_b32_e32 v43, 7, v43
	v_lshl_add_u32 v42, v42, 23, 0x3b800000
	v_cndmask_b32_e32 v17, v17, v43, vcc_lo
	v_lshlrev_b32_e32 v17, 20, v17
	v_or3_b32 v17, v13, v42, v17
.LBB2_1991:                             ;   in Loop: Header=BB2_1679 Depth=2
	s_or_b32 exec_lo, exec_lo, s27
	v_add_f32_e32 v13, v41, v17
	v_and_b32_e32 v17, 0x7f800000, v13
	v_cmp_ne_u32_e32 vcc_lo, 0x7f800000, v17
	v_mov_b32_e32 v17, 0x8000
	s_and_saveexec_b32 s27, vcc_lo
	s_cbranch_execz .LBB2_1678
; %bb.1992:                             ;   in Loop: Header=BB2_1679 Depth=2
	v_mov_b32_e32 v17, 0
	s_mov_b32 s28, exec_lo
	v_cmpx_ne_u32_e32 0, v13
	s_cbranch_execz .LBB2_1677
; %bb.1993:                             ;   in Loop: Header=BB2_1679 Depth=2
	v_bfe_u32 v17, v13, 23, 8
	v_and_b32_e32 v41, 0x7fffff, v13
	v_sub_nc_u32_e32 v42, 0x78, v17
	v_cmp_gt_u32_e32 vcc_lo, 0x79, v17
	v_or_b32_e32 v43, 0x800000, v41
	v_cndmask_b32_e32 v42, 0, v42, vcc_lo
	v_cmp_eq_u32_e32 vcc_lo, 0, v17
	v_add_nc_u32_e32 v17, 0xffffff89, v17
	v_cndmask_b32_e64 v42, v42, 0x77, vcc_lo
	v_cndmask_b32_e32 v41, v43, v41, vcc_lo
	v_cndmask_b32_e64 v17, v17, 0xffffff8a, vcc_lo
	v_lshl_add_u32 v43, 0x100000, v42, -1
	v_lshrrev_b32_e32 v44, v42, v41
	v_lshlrev_b32_e64 v46, v42, 0x80000
	v_add_nc_u32_e32 v42, v42, v17
	v_and_b32_e32 v41, v43, v41
	v_bfe_u32 v45, v44, 20, 1
	v_cmp_eq_u32_e64 s12, v41, v46
	v_add_nc_u32_e32 v43, -1, v45
	v_cndmask_b32_e64 v41, 0, v43, s12
	v_lshrrev_b32_e32 v43, 23, v44
	s_mov_b32 s12, exec_lo
	v_add_nc_u32_e32 v41, v41, v44
	v_xor_b32_e32 v43, 1, v43
	v_and_b32_e32 v17, 0xfffff, v41
	v_add_nc_u32_e32 v41, v17, v44
                                        ; implicit-def: $vgpr17
	v_cmpx_ne_u32_e64 v42, v43
	s_xor_b32 s12, exec_lo, s12
; %bb.1994:                             ;   in Loop: Header=BB2_1679 Depth=2
	v_cmp_lt_u32_e32 vcc_lo, 0xffffff, v41
	v_sub_nc_u32_e32 v17, v42, v43
	v_cndmask_b32_e64 v42, 0, 1, vcc_lo
	v_add_co_ci_u32_e64 v17, null, 0, v17, vcc_lo
	v_lshrrev_b32_e32 v41, v42, v41
; %bb.1995:                             ;   in Loop: Header=BB2_1679 Depth=2
	s_andn2_saveexec_b32 s12, s12
	s_cbranch_execz .LBB2_1676
; %bb.1996:                             ;   in Loop: Header=BB2_1679 Depth=2
	v_bfe_u32 v17, v41, 23, 1
	s_branch .LBB2_1676
.LBB2_1997:                             ;   in Loop: Header=BB2_1679 Depth=2
	s_or_saveexec_b32 s27, s27
	v_mov_b32_e32 v112, 0x7f800001
	s_xor_b32 exec_lo, exec_lo, s27
	s_cbranch_execz .LBB2_1683
.LBB2_1998:                             ;   in Loop: Header=BB2_1679 Depth=2
	v_cmp_ne_u16_sdwa s28, v14, v35 src0_sel:BYTE_0 src1_sel:DWORD
	v_mov_b32_e32 v112, 0
	s_andn2_b32 s12, s12, exec_lo
	s_and_b32 s28, s28, exec_lo
	s_or_b32 s12, s12, s28
	s_or_b32 exec_lo, exec_lo, s27
	s_and_saveexec_b32 s27, s12
	s_cbranch_execnz .LBB2_1684
	s_branch .LBB2_1685
.LBB2_1999:                             ;   in Loop: Header=BB2_1679 Depth=2
	s_or_saveexec_b32 s27, s27
	v_mov_b32_e32 v113, 0x7f800001
	s_xor_b32 exec_lo, exec_lo, s27
	s_cbranch_execz .LBB2_1689
.LBB2_2000:                             ;   in Loop: Header=BB2_1679 Depth=2
	v_cmp_ne_u16_sdwa s28, v10, v35 src0_sel:BYTE_0 src1_sel:DWORD
	v_mov_b32_e32 v113, 0
	s_andn2_b32 s12, s12, exec_lo
	s_and_b32 s28, s28, exec_lo
	s_or_b32 s12, s12, s28
	s_or_b32 exec_lo, exec_lo, s27
	s_and_saveexec_b32 s27, s12
	s_cbranch_execnz .LBB2_1690
	s_branch .LBB2_1691
.LBB2_2001:                             ;   in Loop: Header=BB2_1679 Depth=2
	s_or_saveexec_b32 s27, s27
	v_mov_b32_e32 v113, 0x7f800001
	s_xor_b32 exec_lo, exec_lo, s27
	s_cbranch_execz .LBB2_1703
.LBB2_2002:                             ;   in Loop: Header=BB2_1679 Depth=2
	v_cmp_ne_u16_sdwa s28, v14, v35 src0_sel:BYTE_1 src1_sel:DWORD
	v_mov_b32_e32 v113, 0
	s_andn2_b32 s12, s12, exec_lo
	s_and_b32 s28, s28, exec_lo
	s_or_b32 s12, s12, s28
	s_or_b32 exec_lo, exec_lo, s27
	s_and_saveexec_b32 s27, s12
	s_cbranch_execnz .LBB2_1704
	s_branch .LBB2_1705
.LBB2_2003:                             ;   in Loop: Header=BB2_1679 Depth=2
	s_or_saveexec_b32 s27, s27
	v_mov_b32_e32 v114, 0x7f800001
	s_xor_b32 exec_lo, exec_lo, s27
	s_cbranch_execz .LBB2_1709
.LBB2_2004:                             ;   in Loop: Header=BB2_1679 Depth=2
	v_cmp_ne_u16_sdwa s28, v10, v35 src0_sel:BYTE_1 src1_sel:DWORD
	v_mov_b32_e32 v114, 0
	s_andn2_b32 s12, s12, exec_lo
	s_and_b32 s28, s28, exec_lo
	s_or_b32 s12, s12, s28
	s_or_b32 exec_lo, exec_lo, s27
	s_and_saveexec_b32 s27, s12
	s_cbranch_execnz .LBB2_1710
	s_branch .LBB2_1711
.LBB2_2005:                             ;   in Loop: Header=BB2_1679 Depth=2
	s_or_saveexec_b32 s27, s27
	v_mov_b32_e32 v114, 0x7f800001
	s_xor_b32 exec_lo, exec_lo, s27
	s_cbranch_execz .LBB2_1723
.LBB2_2006:                             ;   in Loop: Header=BB2_1679 Depth=2
	v_cmp_ne_u16_e32 vcc_lo, 0, v115
	v_mov_b32_e32 v114, 0
	s_andn2_b32 s12, s12, exec_lo
	s_and_b32 s28, vcc_lo, exec_lo
	s_or_b32 s12, s12, s28
	s_or_b32 exec_lo, exec_lo, s27
	s_and_saveexec_b32 s27, s12
	s_cbranch_execnz .LBB2_1724
	s_branch .LBB2_1725
.LBB2_2007:                             ;   in Loop: Header=BB2_1679 Depth=2
	s_or_saveexec_b32 s27, s27
	v_mov_b32_e32 v115, 0x7f800001
	s_xor_b32 exec_lo, exec_lo, s27
	s_cbranch_execz .LBB2_1729
.LBB2_2008:                             ;   in Loop: Header=BB2_1679 Depth=2
	v_cmp_ne_u16_e32 vcc_lo, 0, v116
	v_mov_b32_e32 v115, 0
	s_andn2_b32 s12, s12, exec_lo
	s_and_b32 s28, vcc_lo, exec_lo
	s_or_b32 s12, s12, s28
	s_or_b32 exec_lo, exec_lo, s27
	s_and_saveexec_b32 s27, s12
	s_cbranch_execnz .LBB2_1730
	s_branch .LBB2_1731
.LBB2_2009:                             ;   in Loop: Header=BB2_1679 Depth=2
	s_or_saveexec_b32 s27, s27
	v_mov_b32_e32 v115, 0x7f800001
	s_xor_b32 exec_lo, exec_lo, s27
	s_cbranch_execz .LBB2_1743
.LBB2_2010:                             ;   in Loop: Header=BB2_1679 Depth=2
	v_cmp_ne_u16_sdwa s28, v14, v35 src0_sel:BYTE_3 src1_sel:DWORD
	v_mov_b32_e32 v115, 0
	s_andn2_b32 s12, s12, exec_lo
	s_and_b32 s28, s28, exec_lo
	s_or_b32 s12, s12, s28
	s_or_b32 exec_lo, exec_lo, s27
	s_and_saveexec_b32 s27, s12
	s_cbranch_execnz .LBB2_1744
	s_branch .LBB2_1745
.LBB2_2011:                             ;   in Loop: Header=BB2_1679 Depth=2
	s_or_saveexec_b32 s27, s27
	v_mov_b32_e32 v14, 0x7f800001
	s_xor_b32 exec_lo, exec_lo, s27
	s_cbranch_execz .LBB2_1749
.LBB2_2012:                             ;   in Loop: Header=BB2_1679 Depth=2
	v_cmp_ne_u16_sdwa s28, v10, v35 src0_sel:BYTE_3 src1_sel:DWORD
	v_mov_b32_e32 v14, 0
	s_andn2_b32 s12, s12, exec_lo
	s_and_b32 s28, s28, exec_lo
	s_or_b32 s12, s12, s28
	s_or_b32 exec_lo, exec_lo, s27
	s_and_saveexec_b32 s27, s12
	s_cbranch_execnz .LBB2_1750
	s_branch .LBB2_1751
.LBB2_2013:                             ;   in Loop: Header=BB2_1679 Depth=2
	s_or_saveexec_b32 s27, s27
	v_mov_b32_e32 v14, 0x7f800001
	s_xor_b32 exec_lo, exec_lo, s27
	s_cbranch_execz .LBB2_1763
.LBB2_2014:                             ;   in Loop: Header=BB2_1679 Depth=2
	v_cmp_ne_u16_sdwa s28, v15, v35 src0_sel:BYTE_0 src1_sel:DWORD
	v_mov_b32_e32 v14, 0
	s_andn2_b32 s12, s12, exec_lo
	s_and_b32 s28, s28, exec_lo
	s_or_b32 s12, s12, s28
	s_or_b32 exec_lo, exec_lo, s27
	s_and_saveexec_b32 s27, s12
	s_cbranch_execnz .LBB2_1764
	s_branch .LBB2_1765
.LBB2_2015:                             ;   in Loop: Header=BB2_1679 Depth=2
	s_or_saveexec_b32 s27, s27
	v_mov_b32_e32 v115, 0x7f800001
	s_xor_b32 exec_lo, exec_lo, s27
	s_cbranch_execz .LBB2_1769
.LBB2_2016:                             ;   in Loop: Header=BB2_1679 Depth=2
	v_cmp_ne_u16_sdwa s28, v11, v35 src0_sel:BYTE_0 src1_sel:DWORD
	v_mov_b32_e32 v115, 0
	s_andn2_b32 s12, s12, exec_lo
	s_and_b32 s28, s28, exec_lo
	s_or_b32 s12, s12, s28
	s_or_b32 exec_lo, exec_lo, s27
	s_and_saveexec_b32 s27, s12
	s_cbranch_execnz .LBB2_1770
	s_branch .LBB2_1771
.LBB2_2017:                             ;   in Loop: Header=BB2_1679 Depth=2
	s_or_saveexec_b32 s27, s27
	v_mov_b32_e32 v115, 0x7f800001
	s_xor_b32 exec_lo, exec_lo, s27
	s_cbranch_execz .LBB2_1783
.LBB2_2018:                             ;   in Loop: Header=BB2_1679 Depth=2
	v_cmp_ne_u16_sdwa s28, v15, v35 src0_sel:BYTE_1 src1_sel:DWORD
	v_mov_b32_e32 v115, 0
	s_andn2_b32 s12, s12, exec_lo
	s_and_b32 s28, s28, exec_lo
	s_or_b32 s12, s12, s28
	s_or_b32 exec_lo, exec_lo, s27
	s_and_saveexec_b32 s27, s12
	s_cbranch_execnz .LBB2_1784
	s_branch .LBB2_1785
.LBB2_2019:                             ;   in Loop: Header=BB2_1679 Depth=2
	s_or_saveexec_b32 s27, s27
	v_mov_b32_e32 v116, 0x7f800001
	s_xor_b32 exec_lo, exec_lo, s27
	s_cbranch_execz .LBB2_1789
.LBB2_2020:                             ;   in Loop: Header=BB2_1679 Depth=2
	v_cmp_ne_u16_sdwa s28, v11, v35 src0_sel:BYTE_1 src1_sel:DWORD
	v_mov_b32_e32 v116, 0
	s_andn2_b32 s12, s12, exec_lo
	s_and_b32 s28, s28, exec_lo
	s_or_b32 s12, s12, s28
	s_or_b32 exec_lo, exec_lo, s27
	s_and_saveexec_b32 s27, s12
	s_cbranch_execnz .LBB2_1790
	s_branch .LBB2_1791
.LBB2_2021:                             ;   in Loop: Header=BB2_1679 Depth=2
	s_or_saveexec_b32 s27, s27
	v_mov_b32_e32 v116, 0x7f800001
	s_xor_b32 exec_lo, exec_lo, s27
	s_cbranch_execz .LBB2_1803
.LBB2_2022:                             ;   in Loop: Header=BB2_1679 Depth=2
	v_cmp_ne_u16_e32 vcc_lo, 0, v117
	v_mov_b32_e32 v116, 0
	s_andn2_b32 s12, s12, exec_lo
	s_and_b32 s28, vcc_lo, exec_lo
	s_or_b32 s12, s12, s28
	s_or_b32 exec_lo, exec_lo, s27
	s_and_saveexec_b32 s27, s12
	s_cbranch_execnz .LBB2_1804
	s_branch .LBB2_1805
.LBB2_2023:                             ;   in Loop: Header=BB2_1679 Depth=2
	s_or_saveexec_b32 s27, s27
	v_mov_b32_e32 v117, 0x7f800001
	s_xor_b32 exec_lo, exec_lo, s27
	s_cbranch_execz .LBB2_1809
.LBB2_2024:                             ;   in Loop: Header=BB2_1679 Depth=2
	v_cmp_ne_u16_e32 vcc_lo, 0, v118
	v_mov_b32_e32 v117, 0
	s_andn2_b32 s12, s12, exec_lo
	s_and_b32 s28, vcc_lo, exec_lo
	s_or_b32 s12, s12, s28
	s_or_b32 exec_lo, exec_lo, s27
	s_and_saveexec_b32 s27, s12
	s_cbranch_execnz .LBB2_1810
	s_branch .LBB2_1811
.LBB2_2025:                             ;   in Loop: Header=BB2_1679 Depth=2
	s_or_saveexec_b32 s27, s27
	v_mov_b32_e32 v117, 0x7f800001
	s_xor_b32 exec_lo, exec_lo, s27
	s_cbranch_execz .LBB2_1823
.LBB2_2026:                             ;   in Loop: Header=BB2_1679 Depth=2
	v_cmp_ne_u16_sdwa s28, v15, v35 src0_sel:BYTE_3 src1_sel:DWORD
	v_mov_b32_e32 v117, 0
	s_andn2_b32 s12, s12, exec_lo
	s_and_b32 s28, s28, exec_lo
	s_or_b32 s12, s12, s28
	s_or_b32 exec_lo, exec_lo, s27
	s_and_saveexec_b32 s27, s12
	s_cbranch_execnz .LBB2_1824
	s_branch .LBB2_1825
.LBB2_2027:                             ;   in Loop: Header=BB2_1679 Depth=2
	s_or_saveexec_b32 s27, s27
	v_mov_b32_e32 v15, 0x7f800001
	s_xor_b32 exec_lo, exec_lo, s27
	s_cbranch_execz .LBB2_1829
.LBB2_2028:                             ;   in Loop: Header=BB2_1679 Depth=2
	v_cmp_ne_u16_sdwa s28, v11, v35 src0_sel:BYTE_3 src1_sel:DWORD
	v_mov_b32_e32 v15, 0
	s_andn2_b32 s12, s12, exec_lo
	s_and_b32 s28, s28, exec_lo
	s_or_b32 s12, s12, s28
	s_or_b32 exec_lo, exec_lo, s27
	s_and_saveexec_b32 s27, s12
	s_cbranch_execnz .LBB2_1830
	s_branch .LBB2_1831
.LBB2_2029:                             ;   in Loop: Header=BB2_1679 Depth=2
	s_or_saveexec_b32 s27, s27
	v_mov_b32_e32 v15, 0x7f800001
	s_xor_b32 exec_lo, exec_lo, s27
	s_cbranch_execz .LBB2_1843
.LBB2_2030:                             ;   in Loop: Header=BB2_1679 Depth=2
	v_cmp_ne_u16_sdwa s28, v16, v35 src0_sel:BYTE_0 src1_sel:DWORD
	v_mov_b32_e32 v15, 0
	s_andn2_b32 s12, s12, exec_lo
	s_and_b32 s28, s28, exec_lo
	s_or_b32 s12, s12, s28
	s_or_b32 exec_lo, exec_lo, s27
	s_and_saveexec_b32 s27, s12
	s_cbranch_execnz .LBB2_1844
	s_branch .LBB2_1845
.LBB2_2031:                             ;   in Loop: Header=BB2_1679 Depth=2
	s_or_saveexec_b32 s27, s27
	v_mov_b32_e32 v117, 0x7f800001
	s_xor_b32 exec_lo, exec_lo, s27
	s_cbranch_execz .LBB2_1849
.LBB2_2032:                             ;   in Loop: Header=BB2_1679 Depth=2
	v_cmp_ne_u16_sdwa s28, v12, v35 src0_sel:BYTE_0 src1_sel:DWORD
	v_mov_b32_e32 v117, 0
	s_andn2_b32 s12, s12, exec_lo
	s_and_b32 s28, s28, exec_lo
	s_or_b32 s12, s12, s28
	s_or_b32 exec_lo, exec_lo, s27
	s_and_saveexec_b32 s27, s12
	s_cbranch_execnz .LBB2_1850
	s_branch .LBB2_1851
.LBB2_2033:                             ;   in Loop: Header=BB2_1679 Depth=2
	s_or_saveexec_b32 s27, s27
	v_mov_b32_e32 v117, 0x7f800001
	s_xor_b32 exec_lo, exec_lo, s27
	s_cbranch_execz .LBB2_1863
.LBB2_2034:                             ;   in Loop: Header=BB2_1679 Depth=2
	v_cmp_ne_u16_sdwa s28, v16, v35 src0_sel:BYTE_1 src1_sel:DWORD
	v_mov_b32_e32 v117, 0
	s_andn2_b32 s12, s12, exec_lo
	s_and_b32 s28, s28, exec_lo
	s_or_b32 s12, s12, s28
	s_or_b32 exec_lo, exec_lo, s27
	s_and_saveexec_b32 s27, s12
	s_cbranch_execnz .LBB2_1864
	s_branch .LBB2_1865
.LBB2_2035:                             ;   in Loop: Header=BB2_1679 Depth=2
	s_or_saveexec_b32 s27, s27
	v_mov_b32_e32 v118, 0x7f800001
	s_xor_b32 exec_lo, exec_lo, s27
	s_cbranch_execz .LBB2_1869
.LBB2_2036:                             ;   in Loop: Header=BB2_1679 Depth=2
	v_cmp_ne_u16_sdwa s28, v12, v35 src0_sel:BYTE_1 src1_sel:DWORD
	v_mov_b32_e32 v118, 0
	s_andn2_b32 s12, s12, exec_lo
	s_and_b32 s28, s28, exec_lo
	s_or_b32 s12, s12, s28
	s_or_b32 exec_lo, exec_lo, s27
	s_and_saveexec_b32 s27, s12
	s_cbranch_execnz .LBB2_1870
	s_branch .LBB2_1871
.LBB2_2037:                             ;   in Loop: Header=BB2_1679 Depth=2
	s_or_saveexec_b32 s27, s27
	v_mov_b32_e32 v118, 0x7f800001
	s_xor_b32 exec_lo, exec_lo, s27
	s_cbranch_execz .LBB2_1883
.LBB2_2038:                             ;   in Loop: Header=BB2_1679 Depth=2
	v_cmp_ne_u16_e32 vcc_lo, 0, v119
	v_mov_b32_e32 v118, 0
	s_andn2_b32 s12, s12, exec_lo
	s_and_b32 s28, vcc_lo, exec_lo
	s_or_b32 s12, s12, s28
	s_or_b32 exec_lo, exec_lo, s27
	s_and_saveexec_b32 s27, s12
	s_cbranch_execnz .LBB2_1884
	s_branch .LBB2_1885
.LBB2_2039:                             ;   in Loop: Header=BB2_1679 Depth=2
	s_or_saveexec_b32 s27, s27
	v_mov_b32_e32 v119, 0x7f800001
	s_xor_b32 exec_lo, exec_lo, s27
	s_cbranch_execz .LBB2_1889
.LBB2_2040:                             ;   in Loop: Header=BB2_1679 Depth=2
	v_cmp_ne_u16_e32 vcc_lo, 0, v40
	v_mov_b32_e32 v119, 0
	s_andn2_b32 s12, s12, exec_lo
	s_and_b32 s28, vcc_lo, exec_lo
	s_or_b32 s12, s12, s28
	s_or_b32 exec_lo, exec_lo, s27
	s_and_saveexec_b32 s27, s12
	s_cbranch_execnz .LBB2_1890
	s_branch .LBB2_1891
.LBB2_2041:                             ;   in Loop: Header=BB2_1679 Depth=2
	s_or_saveexec_b32 s27, s27
	v_mov_b32_e32 v119, 0x7f800001
	s_xor_b32 exec_lo, exec_lo, s27
	s_cbranch_execz .LBB2_1903
.LBB2_2042:                             ;   in Loop: Header=BB2_1679 Depth=2
	v_cmp_ne_u16_sdwa s28, v16, v35 src0_sel:BYTE_3 src1_sel:DWORD
	v_mov_b32_e32 v119, 0
	s_andn2_b32 s12, s12, exec_lo
	s_and_b32 s28, s28, exec_lo
	s_or_b32 s12, s12, s28
	s_or_b32 exec_lo, exec_lo, s27
	s_and_saveexec_b32 s27, s12
	s_cbranch_execnz .LBB2_1904
	s_branch .LBB2_1905
.LBB2_2043:                             ;   in Loop: Header=BB2_1679 Depth=2
	s_or_saveexec_b32 s27, s27
	v_mov_b32_e32 v16, 0x7f800001
	s_xor_b32 exec_lo, exec_lo, s27
	s_cbranch_execz .LBB2_1909
.LBB2_2044:                             ;   in Loop: Header=BB2_1679 Depth=2
	v_cmp_ne_u16_sdwa s28, v12, v35 src0_sel:BYTE_3 src1_sel:DWORD
	v_mov_b32_e32 v16, 0
	s_andn2_b32 s12, s12, exec_lo
	s_and_b32 s28, s28, exec_lo
	s_or_b32 s12, s12, s28
	s_or_b32 exec_lo, exec_lo, s27
	s_and_saveexec_b32 s27, s12
	s_cbranch_execnz .LBB2_1910
	s_branch .LBB2_1911
.LBB2_2045:                             ;   in Loop: Header=BB2_1679 Depth=2
	s_or_saveexec_b32 s27, s27
	v_mov_b32_e32 v16, 0x7f800001
	s_xor_b32 exec_lo, exec_lo, s27
	s_cbranch_execz .LBB2_1923
.LBB2_2046:                             ;   in Loop: Header=BB2_1679 Depth=2
	v_cmp_ne_u16_sdwa s28, v17, v35 src0_sel:BYTE_0 src1_sel:DWORD
	v_mov_b32_e32 v16, 0
	s_andn2_b32 s12, s12, exec_lo
	s_and_b32 s28, s28, exec_lo
	s_or_b32 s12, s12, s28
	s_or_b32 exec_lo, exec_lo, s27
	s_and_saveexec_b32 s27, s12
	s_cbranch_execnz .LBB2_1924
	s_branch .LBB2_1925
.LBB2_2047:                             ;   in Loop: Header=BB2_1679 Depth=2
	s_or_saveexec_b32 s27, s27
	v_mov_b32_e32 v119, 0x7f800001
	s_xor_b32 exec_lo, exec_lo, s27
	s_cbranch_execz .LBB2_1929
.LBB2_2048:                             ;   in Loop: Header=BB2_1679 Depth=2
	v_cmp_ne_u16_sdwa s28, v13, v35 src0_sel:BYTE_0 src1_sel:DWORD
	v_mov_b32_e32 v119, 0
	s_andn2_b32 s12, s12, exec_lo
	s_and_b32 s28, s28, exec_lo
	s_or_b32 s12, s12, s28
	s_or_b32 exec_lo, exec_lo, s27
	s_and_saveexec_b32 s27, s12
	s_cbranch_execnz .LBB2_1930
	s_branch .LBB2_1931
.LBB2_2049:                             ;   in Loop: Header=BB2_1679 Depth=2
	s_or_saveexec_b32 s27, s27
	v_mov_b32_e32 v119, 0x7f800001
	s_xor_b32 exec_lo, exec_lo, s27
	s_cbranch_execz .LBB2_1943
.LBB2_2050:                             ;   in Loop: Header=BB2_1679 Depth=2
	v_cmp_ne_u16_sdwa s28, v17, v35 src0_sel:BYTE_1 src1_sel:DWORD
	v_mov_b32_e32 v119, 0
	s_andn2_b32 s12, s12, exec_lo
	s_and_b32 s28, s28, exec_lo
	s_or_b32 s12, s12, s28
	s_or_b32 exec_lo, exec_lo, s27
	s_and_saveexec_b32 s27, s12
	s_cbranch_execnz .LBB2_1944
	s_branch .LBB2_1945
.LBB2_2051:                             ;   in Loop: Header=BB2_1679 Depth=2
	s_or_saveexec_b32 s27, s27
	v_mov_b32_e32 v40, 0x7f800001
	s_xor_b32 exec_lo, exec_lo, s27
	s_cbranch_execz .LBB2_1949
.LBB2_2052:                             ;   in Loop: Header=BB2_1679 Depth=2
	v_cmp_ne_u16_sdwa s28, v13, v35 src0_sel:BYTE_1 src1_sel:DWORD
	v_mov_b32_e32 v40, 0
	s_andn2_b32 s12, s12, exec_lo
	s_and_b32 s28, s28, exec_lo
	s_or_b32 s12, s12, s28
	s_or_b32 exec_lo, exec_lo, s27
	s_and_saveexec_b32 s27, s12
	s_cbranch_execnz .LBB2_1950
	s_branch .LBB2_1951
.LBB2_2053:                             ;   in Loop: Header=BB2_1679 Depth=2
	s_or_saveexec_b32 s27, s27
	v_mov_b32_e32 v40, 0x7f800001
	s_xor_b32 exec_lo, exec_lo, s27
	s_cbranch_execz .LBB2_1963
.LBB2_2054:                             ;   in Loop: Header=BB2_1679 Depth=2
	v_cmp_ne_u16_e32 vcc_lo, 0, v41
	v_mov_b32_e32 v40, 0
	s_andn2_b32 s12, s12, exec_lo
	s_and_b32 s28, vcc_lo, exec_lo
	s_or_b32 s12, s12, s28
	s_or_b32 exec_lo, exec_lo, s27
	s_and_saveexec_b32 s27, s12
	s_cbranch_execnz .LBB2_1964
	s_branch .LBB2_1965
.LBB2_2055:                             ;   in Loop: Header=BB2_1679 Depth=2
	s_or_saveexec_b32 s27, s27
	v_mov_b32_e32 v41, 0x7f800001
	s_xor_b32 exec_lo, exec_lo, s27
	s_cbranch_execz .LBB2_1969
.LBB2_2056:                             ;   in Loop: Header=BB2_1679 Depth=2
	v_cmp_ne_u16_e32 vcc_lo, 0, v42
	v_mov_b32_e32 v41, 0
	s_andn2_b32 s12, s12, exec_lo
	s_and_b32 s28, vcc_lo, exec_lo
	s_or_b32 s12, s12, s28
	s_or_b32 exec_lo, exec_lo, s27
	s_and_saveexec_b32 s27, s12
	s_cbranch_execnz .LBB2_1970
	s_branch .LBB2_1971
.LBB2_2057:                             ;   in Loop: Header=BB2_1679 Depth=2
	s_or_saveexec_b32 s27, s27
	v_mov_b32_e32 v41, 0x7f800001
	s_xor_b32 exec_lo, exec_lo, s27
	s_cbranch_execz .LBB2_1983
.LBB2_2058:                             ;   in Loop: Header=BB2_1679 Depth=2
	v_cmp_ne_u16_sdwa s28, v17, v35 src0_sel:BYTE_3 src1_sel:DWORD
	v_mov_b32_e32 v41, 0
	s_andn2_b32 s12, s12, exec_lo
	s_and_b32 s28, s28, exec_lo
	s_or_b32 s12, s12, s28
	s_or_b32 exec_lo, exec_lo, s27
	s_and_saveexec_b32 s27, s12
	s_cbranch_execnz .LBB2_1984
	s_branch .LBB2_1985
.LBB2_2059:                             ;   in Loop: Header=BB2_1679 Depth=2
	s_or_saveexec_b32 s27, s27
	v_mov_b32_e32 v17, 0x7f800001
	s_xor_b32 exec_lo, exec_lo, s27
	s_cbranch_execz .LBB2_1989
.LBB2_2060:                             ;   in Loop: Header=BB2_1679 Depth=2
	v_cmp_ne_u16_sdwa s28, v13, v35 src0_sel:BYTE_3 src1_sel:DWORD
	v_mov_b32_e32 v17, 0
	s_andn2_b32 s12, s12, exec_lo
	s_and_b32 s28, s28, exec_lo
	s_or_b32 s12, s12, s28
	s_or_b32 exec_lo, exec_lo, s27
	s_and_saveexec_b32 s27, s12
	s_cbranch_execnz .LBB2_1990
	s_branch .LBB2_1991
.LBB2_2061:                             ;   in Loop: Header=BB2_1213 Depth=1
	s_or_b32 exec_lo, exec_lo, s26
.LBB2_2062:                             ;   in Loop: Header=BB2_1213 Depth=1
	s_or_b32 exec_lo, exec_lo, s25
	v_cmp_lt_i32_e32 vcc_lo, 0, v102
	s_mov_b32 s25, exec_lo
	v_cndmask_b32_e32 v10, 0, v30, vcc_lo
	v_sub_nc_u32_e32 v10, v10, v102
	v_lshl_add_u32 v16, v10, 5, v101
.LBB2_2063:                             ;   in Loop: Header=BB2_1213 Depth=1
	s_or_b32 exec_lo, exec_lo, s13
	s_and_saveexec_b32 s13, s25
	s_cbranch_execz .LBB2_2288
.LBB2_2064:                             ;   in Loop: Header=BB2_1213 Depth=1
	v_ashrrev_i32_e32 v10, 31, v16
	v_lshrrev_b32_e32 v11, 8, v100
	s_mov_b32 s25, exec_lo
	v_lshrrev_b32_e32 v10, 27, v10
	v_add_nc_u32_e32 v10, v16, v10
	v_ashrrev_i32_e32 v17, 5, v10
	v_sub_nc_u32_e32 v52, v11, v17
	v_cmpx_lt_i32_e32 0, v52
	s_cbranch_execz .LBB2_2260
; %bb.2065:                             ;   in Loop: Header=BB2_1213 Depth=1
	v_and_b32_e32 v10, 0xffffffe0, v10
	s_trap 2
	ds_read_b64 v[12:13], v0
	v_lshlrev_b32_e32 v11, 8, v17
	v_add_co_u32 v50, vcc_lo, 0xe0, v50
	v_sub_nc_u32_e32 v10, v16, v10
	v_add_co_ci_u32_e64 v51, null, 0, v51, vcc_lo
	s_mov_b32 s26, 0
	v_add3_u32 v14, v99, v10, v11
	v_ashrrev_i32_e32 v15, 31, v14
	v_add_co_u32 v10, vcc_lo, v14, v48
	v_add_co_ci_u32_e64 v11, null, v15, v49, vcc_lo
	s_waitcnt lgkmcnt(0)
	v_add_co_u32 v12, vcc_lo, v12, v14
	v_add_co_ci_u32_e64 v13, null, v13, v15, vcc_lo
	v_add_co_u32 v14, vcc_lo, v50, v14
	v_add_co_ci_u32_e64 v15, null, v51, v15, vcc_lo
	s_branch .LBB2_2069
.LBB2_2066:                             ;   in Loop: Header=BB2_2069 Depth=2
	s_or_b32 exec_lo, exec_lo, s12
	v_lshrrev_b32_e32 v53, 20, v53
	v_cmp_gt_i32_e32 vcc_lo, 16, v49
	v_min_i32_e32 v64, 15, v49
	v_and_b32_sdwa v48, v48, v86 dst_sel:DWORD dst_unused:UNUSED_PAD src0_sel:BYTE_3 src1_sel:DWORD
	v_cndmask_b32_e32 v53, 7, v53, vcc_lo
	v_lshlrev_b32_e32 v64, 3, v64
	v_and_b32_e32 v102, 7, v53
	v_or_b32_e32 v49, v49, v53
	v_or3_b32 v48, v64, v48, v102
	v_cmp_ne_u32_e32 vcc_lo, 0, v49
	v_cndmask_b32_e32 v49, 0, v48, vcc_lo
.LBB2_2067:                             ;   in Loop: Header=BB2_2069 Depth=2
	s_or_b32 exec_lo, exec_lo, s28
.LBB2_2068:                             ;   in Loop: Header=BB2_2069 Depth=2
	s_or_b32 exec_lo, exec_lo, s27
	v_add_co_u32 v112, vcc_lo, 0xffffff20, v14
	v_add_co_ci_u32_e64 v113, null, -1, v15, vcc_lo
	v_add_co_u32 v114, vcc_lo, 0xffffff40, v14
	v_add_co_ci_u32_e64 v115, null, -1, v15, vcc_lo
	v_add_co_u32 v53, vcc_lo, 0xffffff60, v14
	flat_store_byte v[112:113], v50 glc slc
	flat_store_byte v[114:115], v54 glc slc
	v_add_co_ci_u32_e64 v54, null, -1, v15, vcc_lo
	v_add_co_u32 v112, vcc_lo, 0xffffff80, v14
	v_add_co_ci_u32_e64 v113, null, -1, v15, vcc_lo
	v_add_co_u32 v114, vcc_lo, 0xffffffa0, v14
	;; [unrolled: 2-line block ×4, first 2 shown]
	v_sub_nc_u32_e32 v52, v52, v30
	v_add_co_ci_u32_e64 v119, null, -1, v15, vcc_lo
	v_add_co_u32 v10, vcc_lo, v10, v82
	v_add_co_ci_u32_e64 v11, null, 0, v11, vcc_lo
	v_add_co_u32 v12, vcc_lo, v12, v82
	flat_store_byte v[53:54], v65 glc slc
	flat_store_byte v[112:113], v103 glc slc
	flat_store_byte v[114:115], v101 glc slc
	flat_store_byte v[116:117], v55 glc slc
	flat_store_byte v[118:119], v51 glc slc
	flat_store_byte v[14:15], v49 glc slc
	v_add_co_ci_u32_e64 v13, null, 0, v13, vcc_lo
	v_cmp_gt_i32_e32 vcc_lo, 1, v52
	v_add_co_u32 v14, s12, v14, v82
	v_add_co_ci_u32_e64 v15, null, 0, v15, s12
	s_or_b32 s26, vcc_lo, s26
	s_andn2_b32 exec_lo, exec_lo, s26
	s_cbranch_execz .LBB2_2259
.LBB2_2069:                             ;   Parent Loop BB2_1213 Depth=1
                                        ; =>  This Inner Loop Header: Depth=2
	s_clause 0x7
	flat_load_ubyte v116, v[10:11] slc
	flat_load_ubyte v114, v[10:11] offset:32 slc
	flat_load_ubyte v113, v[10:11] offset:64 slc
	;; [unrolled: 1-line block ×7, first 2 shown]
	s_clause 0x7
	flat_load_ubyte v50, v[12:13] slc
	flat_load_ubyte v54, v[12:13] offset:32 slc
	flat_load_ubyte v65, v[12:13] offset:64 slc
	;; [unrolled: 1-line block ×7, first 2 shown]
	s_mov_b32 s12, 0
	s_mov_b32 s27, exec_lo
	s_waitcnt vmcnt(15) lgkmcnt(15)
	v_cmpx_lt_i16_e32 0x7f, v116
	s_xor_b32 s27, exec_lo, s27
	s_cbranch_execz .LBB2_2227
; %bb.2070:                             ;   in Loop: Header=BB2_2069 Depth=2
	s_mov_b32 s12, -1
	s_mov_b32 s28, exec_lo
	v_cmpx_eq_u16_e32 0x80, v116
; %bb.2071:                             ;   in Loop: Header=BB2_2069 Depth=2
	s_xor_b32 s12, exec_lo, -1
; %bb.2072:                             ;   in Loop: Header=BB2_2069 Depth=2
	s_or_b32 exec_lo, exec_lo, s28
	s_and_b32 s12, s12, exec_lo
	s_or_saveexec_b32 s27, s27
	v_mov_b32_e32 v115, 0x7f800001
	s_xor_b32 exec_lo, exec_lo, s27
	s_cbranch_execnz .LBB2_2228
.LBB2_2073:                             ;   in Loop: Header=BB2_2069 Depth=2
	s_or_b32 exec_lo, exec_lo, s27
	s_and_saveexec_b32 s27, s12
	s_cbranch_execz .LBB2_2075
.LBB2_2074:                             ;   in Loop: Header=BB2_2069 Depth=2
	v_and_b32_e32 v115, 0xffff, v116
	v_lshlrev_b32_e32 v116, 24, v116
	v_and_b32_e32 v117, 7, v115
	v_bfe_u32 v40, v115, 3, 4
	v_and_b32_e32 v116, 0x80000000, v116
	v_ffbh_u32_e32 v118, v117
	v_cmp_eq_u32_e32 vcc_lo, 0, v40
	v_min_u32_e32 v118, 32, v118
	v_subrev_nc_u32_e32 v119, 28, v118
	v_sub_nc_u32_e32 v118, 29, v118
	v_lshlrev_b32_e32 v115, v119, v115
	v_cndmask_b32_e32 v118, v40, v118, vcc_lo
	v_and_b32_e32 v115, 7, v115
	v_cndmask_b32_e32 v115, v117, v115, vcc_lo
	v_lshl_add_u32 v117, v118, 23, 0x3b800000
	v_lshlrev_b32_e32 v115, 20, v115
	v_or3_b32 v115, v116, v117, v115
.LBB2_2075:                             ;   in Loop: Header=BB2_2069 Depth=2
	s_or_b32 exec_lo, exec_lo, s27
	s_waitcnt vmcnt(7) lgkmcnt(7)
	v_cmp_gt_i16_sdwa s27, v50, v85 src0_sel:BYTE_0 src1_sel:DWORD
	s_mov_b32 s12, 0
	s_and_saveexec_b32 s28, s27
	s_xor_b32 s27, exec_lo, s28
	s_cbranch_execz .LBB2_2229
; %bb.2076:                             ;   in Loop: Header=BB2_2069 Depth=2
	v_cmp_eq_u16_sdwa s29, v50, v86 src0_sel:BYTE_0 src1_sel:DWORD
	s_mov_b32 s12, -1
	s_and_saveexec_b32 s28, s29
; %bb.2077:                             ;   in Loop: Header=BB2_2069 Depth=2
	s_xor_b32 s12, exec_lo, -1
; %bb.2078:                             ;   in Loop: Header=BB2_2069 Depth=2
	s_or_b32 exec_lo, exec_lo, s28
	s_and_b32 s12, s12, exec_lo
	s_or_saveexec_b32 s27, s27
	v_mov_b32_e32 v116, 0x7f800001
	s_xor_b32 exec_lo, exec_lo, s27
	s_cbranch_execnz .LBB2_2230
.LBB2_2079:                             ;   in Loop: Header=BB2_2069 Depth=2
	s_or_b32 exec_lo, exec_lo, s27
	s_and_saveexec_b32 s27, s12
	s_cbranch_execz .LBB2_2081
.LBB2_2080:                             ;   in Loop: Header=BB2_2069 Depth=2
	v_and_b32_e32 v116, 7, v50
	v_lshrrev_b16 v118, 3, v50
	v_ffbh_u32_e32 v117, v116
	v_and_b32_e32 v118, 15, v118
	v_min_u32_e32 v117, 32, v117
	v_cmp_eq_u32_e32 vcc_lo, 0, v118
	v_subrev_nc_u32_e32 v119, 28, v117
	v_sub_nc_u32_e32 v117, 29, v117
	v_lshlrev_b32_e32 v119, v119, v50
	v_lshlrev_b32_e32 v50, 24, v50
	v_cndmask_b32_e32 v117, v118, v117, vcc_lo
	v_and_b32_e32 v119, 7, v119
	v_and_b32_e32 v50, 0x80000000, v50
	v_lshl_add_u32 v117, v117, 23, 0x3b800000
	v_cndmask_b32_e32 v116, v116, v119, vcc_lo
	v_lshlrev_b32_e32 v116, 20, v116
	v_or3_b32 v116, v50, v117, v116
.LBB2_2081:                             ;   in Loop: Header=BB2_2069 Depth=2
	s_or_b32 exec_lo, exec_lo, s27
	v_add_f32_e32 v115, v115, v116
	v_and_b32_e32 v50, 0x7f800000, v115
	v_cmp_ne_u32_e32 vcc_lo, 0x7f800000, v50
	v_mov_b32_e32 v50, 0x80
	s_and_saveexec_b32 s27, vcc_lo
	s_cbranch_execz .LBB2_2089
; %bb.2082:                             ;   in Loop: Header=BB2_2069 Depth=2
	v_mov_b32_e32 v50, 0
	s_mov_b32 s28, exec_lo
	v_cmpx_ne_u32_e32 0, v115
	s_cbranch_execz .LBB2_2088
; %bb.2083:                             ;   in Loop: Header=BB2_2069 Depth=2
	v_bfe_u32 v50, v115, 23, 8
	v_and_b32_e32 v116, 0x7fffff, v115
	v_sub_nc_u32_e32 v117, 0x78, v50
	v_cmp_gt_u32_e32 vcc_lo, 0x79, v50
	v_or_b32_e32 v118, 0x800000, v116
	v_cndmask_b32_e32 v117, 0, v117, vcc_lo
	v_cmp_eq_u32_e32 vcc_lo, 0, v50
	v_add_nc_u32_e32 v50, 0xffffff89, v50
	v_cndmask_b32_e64 v117, v117, 0x77, vcc_lo
	v_cndmask_b32_e32 v116, v118, v116, vcc_lo
	v_cndmask_b32_e64 v50, v50, 0xffffff8a, vcc_lo
	v_lshl_add_u32 v118, 0x100000, v117, -1
	v_lshrrev_b32_e32 v119, v117, v116
	v_lshlrev_b32_e64 v41, v117, 0x80000
	v_add_nc_u32_e32 v117, v117, v50
	v_and_b32_e32 v116, v118, v116
	v_bfe_u32 v40, v119, 20, 1
	v_cmp_eq_u32_e64 s12, v116, v41
	v_add_nc_u32_e32 v118, -1, v40
	v_cndmask_b32_e64 v116, 0, v118, s12
	v_lshrrev_b32_e32 v118, 23, v119
	s_mov_b32 s12, exec_lo
	v_add_nc_u32_e32 v116, v116, v119
	v_xor_b32_e32 v118, 1, v118
	v_and_b32_e32 v50, 0xfffff, v116
	v_add_nc_u32_e32 v116, v50, v119
                                        ; implicit-def: $vgpr50
	v_cmpx_ne_u32_e64 v117, v118
	s_xor_b32 s12, exec_lo, s12
; %bb.2084:                             ;   in Loop: Header=BB2_2069 Depth=2
	v_cmp_lt_u32_e32 vcc_lo, 0xffffff, v116
	v_sub_nc_u32_e32 v50, v117, v118
	v_cndmask_b32_e64 v117, 0, 1, vcc_lo
	v_add_co_ci_u32_e64 v50, null, 0, v50, vcc_lo
	v_lshrrev_b32_e32 v116, v117, v116
; %bb.2085:                             ;   in Loop: Header=BB2_2069 Depth=2
	s_andn2_saveexec_b32 s12, s12
; %bb.2086:                             ;   in Loop: Header=BB2_2069 Depth=2
	v_bfe_u32 v50, v116, 23, 1
; %bb.2087:                             ;   in Loop: Header=BB2_2069 Depth=2
	s_or_b32 exec_lo, exec_lo, s12
	v_lshrrev_b32_e32 v116, 20, v116
	v_cmp_gt_i32_e32 vcc_lo, 16, v50
	v_min_i32_e32 v117, 15, v50
	v_and_b32_sdwa v115, v115, v86 dst_sel:DWORD dst_unused:UNUSED_PAD src0_sel:BYTE_3 src1_sel:DWORD
	v_cndmask_b32_e32 v116, 7, v116, vcc_lo
	v_lshlrev_b32_e32 v117, 3, v117
	v_and_b32_e32 v118, 7, v116
	v_or_b32_e32 v50, v50, v116
	v_or3_b32 v115, v117, v115, v118
	v_cmp_ne_u32_e32 vcc_lo, 0, v50
	v_cndmask_b32_e32 v50, 0, v115, vcc_lo
.LBB2_2088:                             ;   in Loop: Header=BB2_2069 Depth=2
	s_or_b32 exec_lo, exec_lo, s28
.LBB2_2089:                             ;   in Loop: Header=BB2_2069 Depth=2
	s_or_b32 exec_lo, exec_lo, s27
	v_cmp_gt_i16_sdwa s27, v114, v85 src0_sel:BYTE_0 src1_sel:DWORD
	s_mov_b32 s12, 0
	s_and_saveexec_b32 s28, s27
	s_xor_b32 s27, exec_lo, s28
	s_cbranch_execz .LBB2_2231
; %bb.2090:                             ;   in Loop: Header=BB2_2069 Depth=2
	v_cmp_eq_u16_sdwa s29, v114, v86 src0_sel:BYTE_0 src1_sel:DWORD
	s_mov_b32 s12, -1
	s_and_saveexec_b32 s28, s29
; %bb.2091:                             ;   in Loop: Header=BB2_2069 Depth=2
	s_xor_b32 s12, exec_lo, -1
; %bb.2092:                             ;   in Loop: Header=BB2_2069 Depth=2
	s_or_b32 exec_lo, exec_lo, s28
	s_and_b32 s12, s12, exec_lo
	s_or_saveexec_b32 s27, s27
	v_mov_b32_e32 v115, 0x7f800001
	s_xor_b32 exec_lo, exec_lo, s27
	s_cbranch_execnz .LBB2_2232
.LBB2_2093:                             ;   in Loop: Header=BB2_2069 Depth=2
	s_or_b32 exec_lo, exec_lo, s27
	s_and_saveexec_b32 s27, s12
	s_cbranch_execz .LBB2_2095
.LBB2_2094:                             ;   in Loop: Header=BB2_2069 Depth=2
	v_and_b32_e32 v115, 7, v114
	v_lshrrev_b16 v117, 3, v114
	v_ffbh_u32_e32 v116, v115
	v_and_b32_e32 v117, 15, v117
	v_min_u32_e32 v116, 32, v116
	v_cmp_eq_u32_e32 vcc_lo, 0, v117
	v_subrev_nc_u32_e32 v118, 28, v116
	v_sub_nc_u32_e32 v116, 29, v116
	v_lshlrev_b32_e32 v118, v118, v114
	v_lshlrev_b32_e32 v114, 24, v114
	v_cndmask_b32_e32 v116, v117, v116, vcc_lo
	v_and_b32_e32 v118, 7, v118
	v_and_b32_e32 v114, 0x80000000, v114
	v_lshl_add_u32 v116, v116, 23, 0x3b800000
	v_cndmask_b32_e32 v115, v115, v118, vcc_lo
	v_lshlrev_b32_e32 v115, 20, v115
	v_or3_b32 v115, v114, v116, v115
.LBB2_2095:                             ;   in Loop: Header=BB2_2069 Depth=2
	s_or_b32 exec_lo, exec_lo, s27
	s_waitcnt vmcnt(6) lgkmcnt(6)
	v_cmp_gt_i16_sdwa s27, v54, v85 src0_sel:BYTE_0 src1_sel:DWORD
	s_mov_b32 s12, 0
	s_and_saveexec_b32 s28, s27
	s_xor_b32 s27, exec_lo, s28
	s_cbranch_execz .LBB2_2233
; %bb.2096:                             ;   in Loop: Header=BB2_2069 Depth=2
	v_cmp_eq_u16_sdwa s29, v54, v86 src0_sel:BYTE_0 src1_sel:DWORD
	s_mov_b32 s12, -1
	s_and_saveexec_b32 s28, s29
; %bb.2097:                             ;   in Loop: Header=BB2_2069 Depth=2
	s_xor_b32 s12, exec_lo, -1
; %bb.2098:                             ;   in Loop: Header=BB2_2069 Depth=2
	s_or_b32 exec_lo, exec_lo, s28
	s_and_b32 s12, s12, exec_lo
	s_or_saveexec_b32 s27, s27
	v_mov_b32_e32 v114, 0x7f800001
	s_xor_b32 exec_lo, exec_lo, s27
	s_cbranch_execnz .LBB2_2234
.LBB2_2099:                             ;   in Loop: Header=BB2_2069 Depth=2
	s_or_b32 exec_lo, exec_lo, s27
	s_and_saveexec_b32 s27, s12
	s_cbranch_execz .LBB2_2101
.LBB2_2100:                             ;   in Loop: Header=BB2_2069 Depth=2
	v_and_b32_e32 v114, 7, v54
	v_lshrrev_b16 v117, 3, v54
	v_ffbh_u32_e32 v116, v114
	v_and_b32_e32 v117, 15, v117
	v_min_u32_e32 v116, 32, v116
	v_cmp_eq_u32_e32 vcc_lo, 0, v117
	v_subrev_nc_u32_e32 v118, 28, v116
	v_sub_nc_u32_e32 v116, 29, v116
	v_lshlrev_b32_e32 v118, v118, v54
	v_lshlrev_b32_e32 v54, 24, v54
	v_cndmask_b32_e32 v116, v117, v116, vcc_lo
	v_and_b32_e32 v118, 7, v118
	v_and_b32_e32 v54, 0x80000000, v54
	v_lshl_add_u32 v116, v116, 23, 0x3b800000
	v_cndmask_b32_e32 v114, v114, v118, vcc_lo
	v_lshlrev_b32_e32 v114, 20, v114
	v_or3_b32 v114, v54, v116, v114
.LBB2_2101:                             ;   in Loop: Header=BB2_2069 Depth=2
	s_or_b32 exec_lo, exec_lo, s27
	v_add_f32_e32 v114, v115, v114
	v_and_b32_e32 v54, 0x7f800000, v114
	v_cmp_ne_u32_e32 vcc_lo, 0x7f800000, v54
	v_mov_b32_e32 v54, 0x80
	s_and_saveexec_b32 s27, vcc_lo
	s_cbranch_execz .LBB2_2109
; %bb.2102:                             ;   in Loop: Header=BB2_2069 Depth=2
	v_mov_b32_e32 v54, 0
	s_mov_b32 s28, exec_lo
	v_cmpx_ne_u32_e32 0, v114
	s_cbranch_execz .LBB2_2108
; %bb.2103:                             ;   in Loop: Header=BB2_2069 Depth=2
	v_bfe_u32 v54, v114, 23, 8
	v_and_b32_e32 v115, 0x7fffff, v114
	v_sub_nc_u32_e32 v116, 0x78, v54
	v_cmp_gt_u32_e32 vcc_lo, 0x79, v54
	v_or_b32_e32 v117, 0x800000, v115
	v_cndmask_b32_e32 v116, 0, v116, vcc_lo
	v_cmp_eq_u32_e32 vcc_lo, 0, v54
	v_add_nc_u32_e32 v54, 0xffffff89, v54
	v_cndmask_b32_e64 v116, v116, 0x77, vcc_lo
	v_cndmask_b32_e32 v115, v117, v115, vcc_lo
	v_cndmask_b32_e64 v54, v54, 0xffffff8a, vcc_lo
	v_lshl_add_u32 v117, 0x100000, v116, -1
	v_lshrrev_b32_e32 v118, v116, v115
	v_lshlrev_b32_e64 v40, v116, 0x80000
	v_add_nc_u32_e32 v116, v116, v54
	v_and_b32_e32 v115, v117, v115
	v_bfe_u32 v119, v118, 20, 1
	v_cmp_eq_u32_e64 s12, v115, v40
	v_add_nc_u32_e32 v117, -1, v119
	v_cndmask_b32_e64 v115, 0, v117, s12
	v_lshrrev_b32_e32 v117, 23, v118
	s_mov_b32 s12, exec_lo
	v_add_nc_u32_e32 v115, v115, v118
	v_xor_b32_e32 v117, 1, v117
	v_and_b32_e32 v54, 0xfffff, v115
	v_add_nc_u32_e32 v115, v54, v118
                                        ; implicit-def: $vgpr54
	v_cmpx_ne_u32_e64 v116, v117
	s_xor_b32 s12, exec_lo, s12
; %bb.2104:                             ;   in Loop: Header=BB2_2069 Depth=2
	v_cmp_lt_u32_e32 vcc_lo, 0xffffff, v115
	v_sub_nc_u32_e32 v54, v116, v117
	v_cndmask_b32_e64 v116, 0, 1, vcc_lo
	v_add_co_ci_u32_e64 v54, null, 0, v54, vcc_lo
	v_lshrrev_b32_e32 v115, v116, v115
; %bb.2105:                             ;   in Loop: Header=BB2_2069 Depth=2
	s_andn2_saveexec_b32 s12, s12
; %bb.2106:                             ;   in Loop: Header=BB2_2069 Depth=2
	v_bfe_u32 v54, v115, 23, 1
; %bb.2107:                             ;   in Loop: Header=BB2_2069 Depth=2
	s_or_b32 exec_lo, exec_lo, s12
	v_lshrrev_b32_e32 v115, 20, v115
	v_cmp_gt_i32_e32 vcc_lo, 16, v54
	v_min_i32_e32 v116, 15, v54
	v_and_b32_sdwa v114, v114, v86 dst_sel:DWORD dst_unused:UNUSED_PAD src0_sel:BYTE_3 src1_sel:DWORD
	v_cndmask_b32_e32 v115, 7, v115, vcc_lo
	v_lshlrev_b32_e32 v116, 3, v116
	v_and_b32_e32 v117, 7, v115
	v_or_b32_e32 v54, v54, v115
	v_or3_b32 v114, v116, v114, v117
	v_cmp_ne_u32_e32 vcc_lo, 0, v54
	v_cndmask_b32_e32 v54, 0, v114, vcc_lo
.LBB2_2108:                             ;   in Loop: Header=BB2_2069 Depth=2
	s_or_b32 exec_lo, exec_lo, s28
.LBB2_2109:                             ;   in Loop: Header=BB2_2069 Depth=2
	s_or_b32 exec_lo, exec_lo, s27
	v_cmp_gt_i16_sdwa s27, v113, v85 src0_sel:BYTE_0 src1_sel:DWORD
	s_mov_b32 s12, 0
	s_and_saveexec_b32 s28, s27
	s_xor_b32 s27, exec_lo, s28
	s_cbranch_execz .LBB2_2235
; %bb.2110:                             ;   in Loop: Header=BB2_2069 Depth=2
	v_cmp_eq_u16_sdwa s29, v113, v86 src0_sel:BYTE_0 src1_sel:DWORD
	s_mov_b32 s12, -1
	s_and_saveexec_b32 s28, s29
; %bb.2111:                             ;   in Loop: Header=BB2_2069 Depth=2
	s_xor_b32 s12, exec_lo, -1
; %bb.2112:                             ;   in Loop: Header=BB2_2069 Depth=2
	s_or_b32 exec_lo, exec_lo, s28
	s_and_b32 s12, s12, exec_lo
	s_or_saveexec_b32 s27, s27
	v_mov_b32_e32 v114, 0x7f800001
	s_xor_b32 exec_lo, exec_lo, s27
	s_cbranch_execnz .LBB2_2236
.LBB2_2113:                             ;   in Loop: Header=BB2_2069 Depth=2
	s_or_b32 exec_lo, exec_lo, s27
	s_and_saveexec_b32 s27, s12
	s_cbranch_execz .LBB2_2115
.LBB2_2114:                             ;   in Loop: Header=BB2_2069 Depth=2
	v_and_b32_e32 v114, 7, v113
	v_lshrrev_b16 v116, 3, v113
	v_ffbh_u32_e32 v115, v114
	v_and_b32_e32 v116, 15, v116
	v_min_u32_e32 v115, 32, v115
	v_cmp_eq_u32_e32 vcc_lo, 0, v116
	v_subrev_nc_u32_e32 v117, 28, v115
	v_sub_nc_u32_e32 v115, 29, v115
	v_lshlrev_b32_e32 v117, v117, v113
	v_lshlrev_b32_e32 v113, 24, v113
	v_cndmask_b32_e32 v115, v116, v115, vcc_lo
	v_and_b32_e32 v117, 7, v117
	v_and_b32_e32 v113, 0x80000000, v113
	v_lshl_add_u32 v115, v115, 23, 0x3b800000
	v_cndmask_b32_e32 v114, v114, v117, vcc_lo
	v_lshlrev_b32_e32 v114, 20, v114
	v_or3_b32 v114, v113, v115, v114
.LBB2_2115:                             ;   in Loop: Header=BB2_2069 Depth=2
	s_or_b32 exec_lo, exec_lo, s27
	s_waitcnt vmcnt(5) lgkmcnt(5)
	v_cmp_gt_i16_sdwa s27, v65, v85 src0_sel:BYTE_0 src1_sel:DWORD
	s_mov_b32 s12, 0
	s_and_saveexec_b32 s28, s27
	s_xor_b32 s27, exec_lo, s28
	s_cbranch_execz .LBB2_2237
; %bb.2116:                             ;   in Loop: Header=BB2_2069 Depth=2
	v_cmp_eq_u16_sdwa s29, v65, v86 src0_sel:BYTE_0 src1_sel:DWORD
	s_mov_b32 s12, -1
	s_and_saveexec_b32 s28, s29
; %bb.2117:                             ;   in Loop: Header=BB2_2069 Depth=2
	s_xor_b32 s12, exec_lo, -1
; %bb.2118:                             ;   in Loop: Header=BB2_2069 Depth=2
	s_or_b32 exec_lo, exec_lo, s28
	s_and_b32 s12, s12, exec_lo
	s_or_saveexec_b32 s27, s27
	v_mov_b32_e32 v113, 0x7f800001
	s_xor_b32 exec_lo, exec_lo, s27
	s_cbranch_execnz .LBB2_2238
.LBB2_2119:                             ;   in Loop: Header=BB2_2069 Depth=2
	s_or_b32 exec_lo, exec_lo, s27
	s_and_saveexec_b32 s27, s12
	s_cbranch_execz .LBB2_2121
.LBB2_2120:                             ;   in Loop: Header=BB2_2069 Depth=2
	v_and_b32_e32 v113, 7, v65
	v_lshrrev_b16 v116, 3, v65
	v_ffbh_u32_e32 v115, v113
	v_and_b32_e32 v116, 15, v116
	v_min_u32_e32 v115, 32, v115
	v_cmp_eq_u32_e32 vcc_lo, 0, v116
	v_subrev_nc_u32_e32 v117, 28, v115
	v_sub_nc_u32_e32 v115, 29, v115
	v_lshlrev_b32_e32 v117, v117, v65
	v_lshlrev_b32_e32 v65, 24, v65
	v_cndmask_b32_e32 v115, v116, v115, vcc_lo
	v_and_b32_e32 v117, 7, v117
	v_and_b32_e32 v65, 0x80000000, v65
	v_lshl_add_u32 v115, v115, 23, 0x3b800000
	v_cndmask_b32_e32 v113, v113, v117, vcc_lo
	v_lshlrev_b32_e32 v113, 20, v113
	v_or3_b32 v113, v65, v115, v113
.LBB2_2121:                             ;   in Loop: Header=BB2_2069 Depth=2
	s_or_b32 exec_lo, exec_lo, s27
	v_add_f32_e32 v113, v114, v113
	v_and_b32_e32 v65, 0x7f800000, v113
	v_cmp_ne_u32_e32 vcc_lo, 0x7f800000, v65
	v_mov_b32_e32 v65, 0x80
	s_and_saveexec_b32 s27, vcc_lo
	s_cbranch_execz .LBB2_2129
; %bb.2122:                             ;   in Loop: Header=BB2_2069 Depth=2
	v_mov_b32_e32 v65, 0
	s_mov_b32 s28, exec_lo
	v_cmpx_ne_u32_e32 0, v113
	s_cbranch_execz .LBB2_2128
; %bb.2123:                             ;   in Loop: Header=BB2_2069 Depth=2
	v_bfe_u32 v65, v113, 23, 8
	v_and_b32_e32 v114, 0x7fffff, v113
	v_sub_nc_u32_e32 v115, 0x78, v65
	v_cmp_gt_u32_e32 vcc_lo, 0x79, v65
	v_or_b32_e32 v116, 0x800000, v114
	v_cndmask_b32_e32 v115, 0, v115, vcc_lo
	v_cmp_eq_u32_e32 vcc_lo, 0, v65
	v_add_nc_u32_e32 v65, 0xffffff89, v65
	v_cndmask_b32_e64 v115, v115, 0x77, vcc_lo
	v_cndmask_b32_e32 v114, v116, v114, vcc_lo
	v_cndmask_b32_e64 v65, v65, 0xffffff8a, vcc_lo
	v_lshl_add_u32 v116, 0x100000, v115, -1
	v_lshrrev_b32_e32 v117, v115, v114
	v_lshlrev_b32_e64 v119, v115, 0x80000
	v_add_nc_u32_e32 v115, v115, v65
	v_and_b32_e32 v114, v116, v114
	v_bfe_u32 v118, v117, 20, 1
	v_cmp_eq_u32_e64 s12, v114, v119
	v_add_nc_u32_e32 v116, -1, v118
	v_cndmask_b32_e64 v114, 0, v116, s12
	v_lshrrev_b32_e32 v116, 23, v117
	s_mov_b32 s12, exec_lo
	v_add_nc_u32_e32 v114, v114, v117
	v_xor_b32_e32 v116, 1, v116
	v_and_b32_e32 v65, 0xfffff, v114
	v_add_nc_u32_e32 v114, v65, v117
                                        ; implicit-def: $vgpr65
	v_cmpx_ne_u32_e64 v115, v116
	s_xor_b32 s12, exec_lo, s12
; %bb.2124:                             ;   in Loop: Header=BB2_2069 Depth=2
	v_cmp_lt_u32_e32 vcc_lo, 0xffffff, v114
	v_sub_nc_u32_e32 v65, v115, v116
	v_cndmask_b32_e64 v115, 0, 1, vcc_lo
	v_add_co_ci_u32_e64 v65, null, 0, v65, vcc_lo
	v_lshrrev_b32_e32 v114, v115, v114
; %bb.2125:                             ;   in Loop: Header=BB2_2069 Depth=2
	s_andn2_saveexec_b32 s12, s12
; %bb.2126:                             ;   in Loop: Header=BB2_2069 Depth=2
	v_bfe_u32 v65, v114, 23, 1
; %bb.2127:                             ;   in Loop: Header=BB2_2069 Depth=2
	s_or_b32 exec_lo, exec_lo, s12
	v_lshrrev_b32_e32 v114, 20, v114
	v_cmp_gt_i32_e32 vcc_lo, 16, v65
	v_min_i32_e32 v115, 15, v65
	v_and_b32_sdwa v113, v113, v86 dst_sel:DWORD dst_unused:UNUSED_PAD src0_sel:BYTE_3 src1_sel:DWORD
	v_cndmask_b32_e32 v114, 7, v114, vcc_lo
	v_lshlrev_b32_e32 v115, 3, v115
	v_and_b32_e32 v116, 7, v114
	v_or_b32_e32 v65, v65, v114
	v_or3_b32 v113, v115, v113, v116
	v_cmp_ne_u32_e32 vcc_lo, 0, v65
	v_cndmask_b32_e32 v65, 0, v113, vcc_lo
.LBB2_2128:                             ;   in Loop: Header=BB2_2069 Depth=2
	s_or_b32 exec_lo, exec_lo, s28
.LBB2_2129:                             ;   in Loop: Header=BB2_2069 Depth=2
	s_or_b32 exec_lo, exec_lo, s27
	v_cmp_gt_i16_sdwa s27, v112, v85 src0_sel:BYTE_0 src1_sel:DWORD
	s_mov_b32 s12, 0
	s_and_saveexec_b32 s28, s27
	s_xor_b32 s27, exec_lo, s28
	s_cbranch_execz .LBB2_2239
; %bb.2130:                             ;   in Loop: Header=BB2_2069 Depth=2
	v_cmp_eq_u16_sdwa s29, v112, v86 src0_sel:BYTE_0 src1_sel:DWORD
	s_mov_b32 s12, -1
	s_and_saveexec_b32 s28, s29
; %bb.2131:                             ;   in Loop: Header=BB2_2069 Depth=2
	s_xor_b32 s12, exec_lo, -1
; %bb.2132:                             ;   in Loop: Header=BB2_2069 Depth=2
	s_or_b32 exec_lo, exec_lo, s28
	s_and_b32 s12, s12, exec_lo
	s_or_saveexec_b32 s27, s27
	v_mov_b32_e32 v113, 0x7f800001
	s_xor_b32 exec_lo, exec_lo, s27
	s_cbranch_execnz .LBB2_2240
.LBB2_2133:                             ;   in Loop: Header=BB2_2069 Depth=2
	s_or_b32 exec_lo, exec_lo, s27
	s_and_saveexec_b32 s27, s12
	s_cbranch_execz .LBB2_2135
.LBB2_2134:                             ;   in Loop: Header=BB2_2069 Depth=2
	v_and_b32_e32 v113, 7, v112
	v_lshrrev_b16 v115, 3, v112
	v_ffbh_u32_e32 v114, v113
	v_and_b32_e32 v115, 15, v115
	v_min_u32_e32 v114, 32, v114
	v_cmp_eq_u32_e32 vcc_lo, 0, v115
	v_subrev_nc_u32_e32 v116, 28, v114
	v_sub_nc_u32_e32 v114, 29, v114
	v_lshlrev_b32_e32 v116, v116, v112
	v_lshlrev_b32_e32 v112, 24, v112
	v_cndmask_b32_e32 v114, v115, v114, vcc_lo
	v_and_b32_e32 v116, 7, v116
	v_and_b32_e32 v112, 0x80000000, v112
	v_lshl_add_u32 v114, v114, 23, 0x3b800000
	v_cndmask_b32_e32 v113, v113, v116, vcc_lo
	v_lshlrev_b32_e32 v113, 20, v113
	v_or3_b32 v113, v112, v114, v113
.LBB2_2135:                             ;   in Loop: Header=BB2_2069 Depth=2
	s_or_b32 exec_lo, exec_lo, s27
	s_waitcnt vmcnt(4) lgkmcnt(4)
	v_cmp_gt_i16_sdwa s27, v103, v85 src0_sel:BYTE_0 src1_sel:DWORD
	s_mov_b32 s12, 0
	s_and_saveexec_b32 s28, s27
	s_xor_b32 s27, exec_lo, s28
	s_cbranch_execz .LBB2_2241
; %bb.2136:                             ;   in Loop: Header=BB2_2069 Depth=2
	v_cmp_eq_u16_sdwa s29, v103, v86 src0_sel:BYTE_0 src1_sel:DWORD
	s_mov_b32 s12, -1
	s_and_saveexec_b32 s28, s29
; %bb.2137:                             ;   in Loop: Header=BB2_2069 Depth=2
	s_xor_b32 s12, exec_lo, -1
; %bb.2138:                             ;   in Loop: Header=BB2_2069 Depth=2
	s_or_b32 exec_lo, exec_lo, s28
	s_and_b32 s12, s12, exec_lo
	s_or_saveexec_b32 s27, s27
	v_mov_b32_e32 v112, 0x7f800001
	s_xor_b32 exec_lo, exec_lo, s27
	s_cbranch_execnz .LBB2_2242
.LBB2_2139:                             ;   in Loop: Header=BB2_2069 Depth=2
	s_or_b32 exec_lo, exec_lo, s27
	s_and_saveexec_b32 s27, s12
	s_cbranch_execz .LBB2_2141
.LBB2_2140:                             ;   in Loop: Header=BB2_2069 Depth=2
	v_and_b32_e32 v112, 7, v103
	v_lshrrev_b16 v115, 3, v103
	v_ffbh_u32_e32 v114, v112
	v_and_b32_e32 v115, 15, v115
	v_min_u32_e32 v114, 32, v114
	v_cmp_eq_u32_e32 vcc_lo, 0, v115
	v_subrev_nc_u32_e32 v116, 28, v114
	v_sub_nc_u32_e32 v114, 29, v114
	v_lshlrev_b32_e32 v116, v116, v103
	v_lshlrev_b32_e32 v103, 24, v103
	v_cndmask_b32_e32 v114, v115, v114, vcc_lo
	v_and_b32_e32 v116, 7, v116
	v_and_b32_e32 v103, 0x80000000, v103
	v_lshl_add_u32 v114, v114, 23, 0x3b800000
	v_cndmask_b32_e32 v112, v112, v116, vcc_lo
	v_lshlrev_b32_e32 v112, 20, v112
	v_or3_b32 v112, v103, v114, v112
.LBB2_2141:                             ;   in Loop: Header=BB2_2069 Depth=2
	s_or_b32 exec_lo, exec_lo, s27
	v_add_f32_e32 v112, v113, v112
	v_and_b32_e32 v103, 0x7f800000, v112
	v_cmp_ne_u32_e32 vcc_lo, 0x7f800000, v103
	v_mov_b32_e32 v103, 0x80
	s_and_saveexec_b32 s27, vcc_lo
	s_cbranch_execz .LBB2_2149
; %bb.2142:                             ;   in Loop: Header=BB2_2069 Depth=2
	v_mov_b32_e32 v103, 0
	s_mov_b32 s28, exec_lo
	v_cmpx_ne_u32_e32 0, v112
	s_cbranch_execz .LBB2_2148
; %bb.2143:                             ;   in Loop: Header=BB2_2069 Depth=2
	v_bfe_u32 v103, v112, 23, 8
	v_and_b32_e32 v113, 0x7fffff, v112
	v_sub_nc_u32_e32 v114, 0x78, v103
	v_cmp_gt_u32_e32 vcc_lo, 0x79, v103
	v_or_b32_e32 v115, 0x800000, v113
	v_cndmask_b32_e32 v114, 0, v114, vcc_lo
	v_cmp_eq_u32_e32 vcc_lo, 0, v103
	v_add_nc_u32_e32 v103, 0xffffff89, v103
	v_cndmask_b32_e64 v114, v114, 0x77, vcc_lo
	v_cndmask_b32_e32 v113, v115, v113, vcc_lo
	v_cndmask_b32_e64 v103, v103, 0xffffff8a, vcc_lo
	v_lshl_add_u32 v115, 0x100000, v114, -1
	v_lshrrev_b32_e32 v116, v114, v113
	v_lshlrev_b32_e64 v118, v114, 0x80000
	v_add_nc_u32_e32 v114, v114, v103
	v_and_b32_e32 v113, v115, v113
	v_bfe_u32 v117, v116, 20, 1
	v_cmp_eq_u32_e64 s12, v113, v118
	v_add_nc_u32_e32 v115, -1, v117
	v_cndmask_b32_e64 v113, 0, v115, s12
	v_lshrrev_b32_e32 v115, 23, v116
	s_mov_b32 s12, exec_lo
	v_add_nc_u32_e32 v113, v113, v116
	v_xor_b32_e32 v115, 1, v115
	v_and_b32_e32 v103, 0xfffff, v113
	v_add_nc_u32_e32 v113, v103, v116
                                        ; implicit-def: $vgpr103
	v_cmpx_ne_u32_e64 v114, v115
	s_xor_b32 s12, exec_lo, s12
; %bb.2144:                             ;   in Loop: Header=BB2_2069 Depth=2
	v_cmp_lt_u32_e32 vcc_lo, 0xffffff, v113
	v_sub_nc_u32_e32 v103, v114, v115
	v_cndmask_b32_e64 v114, 0, 1, vcc_lo
	v_add_co_ci_u32_e64 v103, null, 0, v103, vcc_lo
	v_lshrrev_b32_e32 v113, v114, v113
; %bb.2145:                             ;   in Loop: Header=BB2_2069 Depth=2
	s_andn2_saveexec_b32 s12, s12
; %bb.2146:                             ;   in Loop: Header=BB2_2069 Depth=2
	v_bfe_u32 v103, v113, 23, 1
; %bb.2147:                             ;   in Loop: Header=BB2_2069 Depth=2
	s_or_b32 exec_lo, exec_lo, s12
	v_lshrrev_b32_e32 v113, 20, v113
	v_cmp_gt_i32_e32 vcc_lo, 16, v103
	v_min_i32_e32 v114, 15, v103
	v_and_b32_sdwa v112, v112, v86 dst_sel:DWORD dst_unused:UNUSED_PAD src0_sel:BYTE_3 src1_sel:DWORD
	v_cndmask_b32_e32 v113, 7, v113, vcc_lo
	v_lshlrev_b32_e32 v114, 3, v114
	v_and_b32_e32 v115, 7, v113
	v_or_b32_e32 v103, v103, v113
	v_or3_b32 v112, v114, v112, v115
	v_cmp_ne_u32_e32 vcc_lo, 0, v103
	v_cndmask_b32_e32 v103, 0, v112, vcc_lo
.LBB2_2148:                             ;   in Loop: Header=BB2_2069 Depth=2
	s_or_b32 exec_lo, exec_lo, s28
.LBB2_2149:                             ;   in Loop: Header=BB2_2069 Depth=2
	s_or_b32 exec_lo, exec_lo, s27
	v_cmp_gt_i16_sdwa s27, v102, v85 src0_sel:BYTE_0 src1_sel:DWORD
	s_mov_b32 s12, 0
	s_and_saveexec_b32 s28, s27
	s_xor_b32 s27, exec_lo, s28
	s_cbranch_execz .LBB2_2243
; %bb.2150:                             ;   in Loop: Header=BB2_2069 Depth=2
	v_cmp_eq_u16_sdwa s29, v102, v86 src0_sel:BYTE_0 src1_sel:DWORD
	s_mov_b32 s12, -1
	s_and_saveexec_b32 s28, s29
; %bb.2151:                             ;   in Loop: Header=BB2_2069 Depth=2
	s_xor_b32 s12, exec_lo, -1
; %bb.2152:                             ;   in Loop: Header=BB2_2069 Depth=2
	s_or_b32 exec_lo, exec_lo, s28
	s_and_b32 s12, s12, exec_lo
	s_or_saveexec_b32 s27, s27
	v_mov_b32_e32 v112, 0x7f800001
	s_xor_b32 exec_lo, exec_lo, s27
	s_cbranch_execnz .LBB2_2244
.LBB2_2153:                             ;   in Loop: Header=BB2_2069 Depth=2
	s_or_b32 exec_lo, exec_lo, s27
	s_and_saveexec_b32 s27, s12
	s_cbranch_execz .LBB2_2155
.LBB2_2154:                             ;   in Loop: Header=BB2_2069 Depth=2
	v_and_b32_e32 v112, 7, v102
	v_lshrrev_b16 v114, 3, v102
	v_ffbh_u32_e32 v113, v112
	v_and_b32_e32 v114, 15, v114
	v_min_u32_e32 v113, 32, v113
	v_cmp_eq_u32_e32 vcc_lo, 0, v114
	v_subrev_nc_u32_e32 v115, 28, v113
	v_sub_nc_u32_e32 v113, 29, v113
	v_lshlrev_b32_e32 v115, v115, v102
	v_lshlrev_b32_e32 v102, 24, v102
	v_cndmask_b32_e32 v113, v114, v113, vcc_lo
	v_and_b32_e32 v115, 7, v115
	v_and_b32_e32 v102, 0x80000000, v102
	v_lshl_add_u32 v113, v113, 23, 0x3b800000
	v_cndmask_b32_e32 v112, v112, v115, vcc_lo
	v_lshlrev_b32_e32 v112, 20, v112
	v_or3_b32 v112, v102, v113, v112
.LBB2_2155:                             ;   in Loop: Header=BB2_2069 Depth=2
	s_or_b32 exec_lo, exec_lo, s27
	s_waitcnt vmcnt(3) lgkmcnt(3)
	v_cmp_gt_i16_sdwa s27, v101, v85 src0_sel:BYTE_0 src1_sel:DWORD
	s_mov_b32 s12, 0
	s_and_saveexec_b32 s28, s27
	s_xor_b32 s27, exec_lo, s28
	s_cbranch_execz .LBB2_2245
; %bb.2156:                             ;   in Loop: Header=BB2_2069 Depth=2
	v_cmp_eq_u16_sdwa s29, v101, v86 src0_sel:BYTE_0 src1_sel:DWORD
	s_mov_b32 s12, -1
	s_and_saveexec_b32 s28, s29
; %bb.2157:                             ;   in Loop: Header=BB2_2069 Depth=2
	s_xor_b32 s12, exec_lo, -1
; %bb.2158:                             ;   in Loop: Header=BB2_2069 Depth=2
	s_or_b32 exec_lo, exec_lo, s28
	s_and_b32 s12, s12, exec_lo
	s_or_saveexec_b32 s27, s27
	v_mov_b32_e32 v102, 0x7f800001
	s_xor_b32 exec_lo, exec_lo, s27
	s_cbranch_execnz .LBB2_2246
.LBB2_2159:                             ;   in Loop: Header=BB2_2069 Depth=2
	s_or_b32 exec_lo, exec_lo, s27
	s_and_saveexec_b32 s27, s12
	s_cbranch_execz .LBB2_2161
.LBB2_2160:                             ;   in Loop: Header=BB2_2069 Depth=2
	v_and_b32_e32 v102, 7, v101
	v_lshrrev_b16 v114, 3, v101
	v_ffbh_u32_e32 v113, v102
	v_and_b32_e32 v114, 15, v114
	v_min_u32_e32 v113, 32, v113
	v_cmp_eq_u32_e32 vcc_lo, 0, v114
	v_subrev_nc_u32_e32 v115, 28, v113
	v_sub_nc_u32_e32 v113, 29, v113
	v_lshlrev_b32_e32 v115, v115, v101
	v_lshlrev_b32_e32 v101, 24, v101
	v_cndmask_b32_e32 v113, v114, v113, vcc_lo
	v_and_b32_e32 v115, 7, v115
	v_and_b32_e32 v101, 0x80000000, v101
	v_lshl_add_u32 v113, v113, 23, 0x3b800000
	v_cndmask_b32_e32 v102, v102, v115, vcc_lo
	v_lshlrev_b32_e32 v102, 20, v102
	v_or3_b32 v102, v101, v113, v102
.LBB2_2161:                             ;   in Loop: Header=BB2_2069 Depth=2
	s_or_b32 exec_lo, exec_lo, s27
	v_add_f32_e32 v102, v112, v102
	v_and_b32_e32 v101, 0x7f800000, v102
	v_cmp_ne_u32_e32 vcc_lo, 0x7f800000, v101
	v_mov_b32_e32 v101, 0x80
	s_and_saveexec_b32 s27, vcc_lo
	s_cbranch_execz .LBB2_2169
; %bb.2162:                             ;   in Loop: Header=BB2_2069 Depth=2
	v_mov_b32_e32 v101, 0
	s_mov_b32 s28, exec_lo
	v_cmpx_ne_u32_e32 0, v102
	s_cbranch_execz .LBB2_2168
; %bb.2163:                             ;   in Loop: Header=BB2_2069 Depth=2
	v_bfe_u32 v101, v102, 23, 8
	v_and_b32_e32 v112, 0x7fffff, v102
	v_sub_nc_u32_e32 v113, 0x78, v101
	v_cmp_gt_u32_e32 vcc_lo, 0x79, v101
	v_or_b32_e32 v114, 0x800000, v112
	v_cndmask_b32_e32 v113, 0, v113, vcc_lo
	v_cmp_eq_u32_e32 vcc_lo, 0, v101
	v_add_nc_u32_e32 v101, 0xffffff89, v101
	v_cndmask_b32_e64 v113, v113, 0x77, vcc_lo
	v_cndmask_b32_e32 v112, v114, v112, vcc_lo
	v_cndmask_b32_e64 v101, v101, 0xffffff8a, vcc_lo
	v_lshl_add_u32 v114, 0x100000, v113, -1
	v_lshrrev_b32_e32 v115, v113, v112
	v_lshlrev_b32_e64 v117, v113, 0x80000
	v_add_nc_u32_e32 v113, v113, v101
	v_and_b32_e32 v112, v114, v112
	v_bfe_u32 v116, v115, 20, 1
	v_cmp_eq_u32_e64 s12, v112, v117
	v_add_nc_u32_e32 v114, -1, v116
	v_cndmask_b32_e64 v112, 0, v114, s12
	v_lshrrev_b32_e32 v114, 23, v115
	s_mov_b32 s12, exec_lo
	v_add_nc_u32_e32 v112, v112, v115
	v_xor_b32_e32 v114, 1, v114
	v_and_b32_e32 v101, 0xfffff, v112
	v_add_nc_u32_e32 v112, v101, v115
                                        ; implicit-def: $vgpr101
	v_cmpx_ne_u32_e64 v113, v114
	s_xor_b32 s12, exec_lo, s12
; %bb.2164:                             ;   in Loop: Header=BB2_2069 Depth=2
	v_cmp_lt_u32_e32 vcc_lo, 0xffffff, v112
	v_sub_nc_u32_e32 v101, v113, v114
	v_cndmask_b32_e64 v113, 0, 1, vcc_lo
	v_add_co_ci_u32_e64 v101, null, 0, v101, vcc_lo
	v_lshrrev_b32_e32 v112, v113, v112
; %bb.2165:                             ;   in Loop: Header=BB2_2069 Depth=2
	s_andn2_saveexec_b32 s12, s12
; %bb.2166:                             ;   in Loop: Header=BB2_2069 Depth=2
	v_bfe_u32 v101, v112, 23, 1
; %bb.2167:                             ;   in Loop: Header=BB2_2069 Depth=2
	s_or_b32 exec_lo, exec_lo, s12
	v_lshrrev_b32_e32 v112, 20, v112
	v_cmp_gt_i32_e32 vcc_lo, 16, v101
	v_min_i32_e32 v113, 15, v101
	v_and_b32_sdwa v102, v102, v86 dst_sel:DWORD dst_unused:UNUSED_PAD src0_sel:BYTE_3 src1_sel:DWORD
	v_cndmask_b32_e32 v112, 7, v112, vcc_lo
	v_lshlrev_b32_e32 v113, 3, v113
	v_and_b32_e32 v114, 7, v112
	v_or_b32_e32 v101, v101, v112
	v_or3_b32 v102, v113, v102, v114
	v_cmp_ne_u32_e32 vcc_lo, 0, v101
	v_cndmask_b32_e32 v101, 0, v102, vcc_lo
.LBB2_2168:                             ;   in Loop: Header=BB2_2069 Depth=2
	s_or_b32 exec_lo, exec_lo, s28
.LBB2_2169:                             ;   in Loop: Header=BB2_2069 Depth=2
	s_or_b32 exec_lo, exec_lo, s27
	v_cmp_gt_i16_sdwa s27, v64, v85 src0_sel:BYTE_0 src1_sel:DWORD
	s_mov_b32 s12, 0
	s_and_saveexec_b32 s28, s27
	s_xor_b32 s27, exec_lo, s28
	s_cbranch_execz .LBB2_2247
; %bb.2170:                             ;   in Loop: Header=BB2_2069 Depth=2
	v_cmp_eq_u16_sdwa s29, v64, v86 src0_sel:BYTE_0 src1_sel:DWORD
	s_mov_b32 s12, -1
	s_and_saveexec_b32 s28, s29
; %bb.2171:                             ;   in Loop: Header=BB2_2069 Depth=2
	s_xor_b32 s12, exec_lo, -1
; %bb.2172:                             ;   in Loop: Header=BB2_2069 Depth=2
	s_or_b32 exec_lo, exec_lo, s28
	s_and_b32 s12, s12, exec_lo
	s_or_saveexec_b32 s27, s27
	v_mov_b32_e32 v102, 0x7f800001
	s_xor_b32 exec_lo, exec_lo, s27
	s_cbranch_execnz .LBB2_2248
.LBB2_2173:                             ;   in Loop: Header=BB2_2069 Depth=2
	s_or_b32 exec_lo, exec_lo, s27
	s_and_saveexec_b32 s27, s12
	s_cbranch_execz .LBB2_2175
.LBB2_2174:                             ;   in Loop: Header=BB2_2069 Depth=2
	v_and_b32_e32 v102, 7, v64
	v_lshrrev_b16 v113, 3, v64
	v_ffbh_u32_e32 v112, v102
	v_and_b32_e32 v113, 15, v113
	v_min_u32_e32 v112, 32, v112
	v_cmp_eq_u32_e32 vcc_lo, 0, v113
	v_subrev_nc_u32_e32 v114, 28, v112
	v_sub_nc_u32_e32 v112, 29, v112
	v_lshlrev_b32_e32 v114, v114, v64
	v_lshlrev_b32_e32 v64, 24, v64
	v_cndmask_b32_e32 v112, v113, v112, vcc_lo
	v_and_b32_e32 v114, 7, v114
	v_and_b32_e32 v64, 0x80000000, v64
	v_lshl_add_u32 v112, v112, 23, 0x3b800000
	v_cndmask_b32_e32 v102, v102, v114, vcc_lo
	v_lshlrev_b32_e32 v102, 20, v102
	v_or3_b32 v102, v64, v112, v102
.LBB2_2175:                             ;   in Loop: Header=BB2_2069 Depth=2
	s_or_b32 exec_lo, exec_lo, s27
	s_waitcnt vmcnt(2) lgkmcnt(2)
	v_cmp_gt_i16_sdwa s27, v55, v85 src0_sel:BYTE_0 src1_sel:DWORD
	s_mov_b32 s12, 0
	s_and_saveexec_b32 s28, s27
	s_xor_b32 s27, exec_lo, s28
	s_cbranch_execz .LBB2_2249
; %bb.2176:                             ;   in Loop: Header=BB2_2069 Depth=2
	v_cmp_eq_u16_sdwa s29, v55, v86 src0_sel:BYTE_0 src1_sel:DWORD
	s_mov_b32 s12, -1
	s_and_saveexec_b32 s28, s29
; %bb.2177:                             ;   in Loop: Header=BB2_2069 Depth=2
	s_xor_b32 s12, exec_lo, -1
; %bb.2178:                             ;   in Loop: Header=BB2_2069 Depth=2
	s_or_b32 exec_lo, exec_lo, s28
	s_and_b32 s12, s12, exec_lo
	s_or_saveexec_b32 s27, s27
	v_mov_b32_e32 v64, 0x7f800001
	s_xor_b32 exec_lo, exec_lo, s27
	s_cbranch_execnz .LBB2_2250
.LBB2_2179:                             ;   in Loop: Header=BB2_2069 Depth=2
	s_or_b32 exec_lo, exec_lo, s27
	s_and_saveexec_b32 s27, s12
	s_cbranch_execz .LBB2_2181
.LBB2_2180:                             ;   in Loop: Header=BB2_2069 Depth=2
	v_and_b32_e32 v64, 7, v55
	v_lshrrev_b16 v113, 3, v55
	v_ffbh_u32_e32 v112, v64
	v_and_b32_e32 v113, 15, v113
	v_min_u32_e32 v112, 32, v112
	v_cmp_eq_u32_e32 vcc_lo, 0, v113
	v_subrev_nc_u32_e32 v114, 28, v112
	v_sub_nc_u32_e32 v112, 29, v112
	v_lshlrev_b32_e32 v114, v114, v55
	v_lshlrev_b32_e32 v55, 24, v55
	v_cndmask_b32_e32 v112, v113, v112, vcc_lo
	v_and_b32_e32 v114, 7, v114
	v_and_b32_e32 v55, 0x80000000, v55
	v_lshl_add_u32 v112, v112, 23, 0x3b800000
	v_cndmask_b32_e32 v64, v64, v114, vcc_lo
	v_lshlrev_b32_e32 v64, 20, v64
	v_or3_b32 v64, v55, v112, v64
.LBB2_2181:                             ;   in Loop: Header=BB2_2069 Depth=2
	s_or_b32 exec_lo, exec_lo, s27
	v_add_f32_e32 v64, v102, v64
	v_and_b32_e32 v55, 0x7f800000, v64
	v_cmp_ne_u32_e32 vcc_lo, 0x7f800000, v55
	v_mov_b32_e32 v55, 0x80
	s_and_saveexec_b32 s27, vcc_lo
	s_cbranch_execz .LBB2_2189
; %bb.2182:                             ;   in Loop: Header=BB2_2069 Depth=2
	v_mov_b32_e32 v55, 0
	s_mov_b32 s28, exec_lo
	v_cmpx_ne_u32_e32 0, v64
	s_cbranch_execz .LBB2_2188
; %bb.2183:                             ;   in Loop: Header=BB2_2069 Depth=2
	v_bfe_u32 v55, v64, 23, 8
	v_and_b32_e32 v102, 0x7fffff, v64
	v_sub_nc_u32_e32 v112, 0x78, v55
	v_cmp_gt_u32_e32 vcc_lo, 0x79, v55
	v_or_b32_e32 v113, 0x800000, v102
	v_cndmask_b32_e32 v112, 0, v112, vcc_lo
	v_cmp_eq_u32_e32 vcc_lo, 0, v55
	v_add_nc_u32_e32 v55, 0xffffff89, v55
	v_cndmask_b32_e64 v112, v112, 0x77, vcc_lo
	v_cndmask_b32_e32 v102, v113, v102, vcc_lo
	v_cndmask_b32_e64 v55, v55, 0xffffff8a, vcc_lo
	v_lshl_add_u32 v113, 0x100000, v112, -1
	v_lshrrev_b32_e32 v114, v112, v102
	v_lshlrev_b32_e64 v116, v112, 0x80000
	v_add_nc_u32_e32 v112, v112, v55
	v_and_b32_e32 v102, v113, v102
	v_bfe_u32 v115, v114, 20, 1
	v_cmp_eq_u32_e64 s12, v102, v116
	v_add_nc_u32_e32 v113, -1, v115
	v_cndmask_b32_e64 v102, 0, v113, s12
	v_lshrrev_b32_e32 v113, 23, v114
	s_mov_b32 s12, exec_lo
	v_add_nc_u32_e32 v102, v102, v114
	v_xor_b32_e32 v113, 1, v113
	v_and_b32_e32 v55, 0xfffff, v102
	v_add_nc_u32_e32 v102, v55, v114
                                        ; implicit-def: $vgpr55
	v_cmpx_ne_u32_e64 v112, v113
	s_xor_b32 s12, exec_lo, s12
; %bb.2184:                             ;   in Loop: Header=BB2_2069 Depth=2
	v_cmp_lt_u32_e32 vcc_lo, 0xffffff, v102
	v_sub_nc_u32_e32 v55, v112, v113
	v_cndmask_b32_e64 v112, 0, 1, vcc_lo
	v_add_co_ci_u32_e64 v55, null, 0, v55, vcc_lo
	v_lshrrev_b32_e32 v102, v112, v102
; %bb.2185:                             ;   in Loop: Header=BB2_2069 Depth=2
	s_andn2_saveexec_b32 s12, s12
; %bb.2186:                             ;   in Loop: Header=BB2_2069 Depth=2
	v_bfe_u32 v55, v102, 23, 1
; %bb.2187:                             ;   in Loop: Header=BB2_2069 Depth=2
	s_or_b32 exec_lo, exec_lo, s12
	v_lshrrev_b32_e32 v102, 20, v102
	v_cmp_gt_i32_e32 vcc_lo, 16, v55
	v_min_i32_e32 v112, 15, v55
	v_and_b32_sdwa v64, v64, v86 dst_sel:DWORD dst_unused:UNUSED_PAD src0_sel:BYTE_3 src1_sel:DWORD
	v_cndmask_b32_e32 v102, 7, v102, vcc_lo
	v_lshlrev_b32_e32 v112, 3, v112
	v_and_b32_e32 v113, 7, v102
	v_or_b32_e32 v55, v55, v102
	v_or3_b32 v64, v112, v64, v113
	v_cmp_ne_u32_e32 vcc_lo, 0, v55
	v_cndmask_b32_e32 v55, 0, v64, vcc_lo
.LBB2_2188:                             ;   in Loop: Header=BB2_2069 Depth=2
	s_or_b32 exec_lo, exec_lo, s28
.LBB2_2189:                             ;   in Loop: Header=BB2_2069 Depth=2
	s_or_b32 exec_lo, exec_lo, s27
	v_cmp_gt_i16_sdwa s27, v53, v85 src0_sel:BYTE_0 src1_sel:DWORD
	s_mov_b32 s12, 0
	s_and_saveexec_b32 s28, s27
	s_xor_b32 s27, exec_lo, s28
	s_cbranch_execz .LBB2_2251
; %bb.2190:                             ;   in Loop: Header=BB2_2069 Depth=2
	v_cmp_eq_u16_sdwa s29, v53, v86 src0_sel:BYTE_0 src1_sel:DWORD
	s_mov_b32 s12, -1
	s_and_saveexec_b32 s28, s29
; %bb.2191:                             ;   in Loop: Header=BB2_2069 Depth=2
	s_xor_b32 s12, exec_lo, -1
; %bb.2192:                             ;   in Loop: Header=BB2_2069 Depth=2
	s_or_b32 exec_lo, exec_lo, s28
	s_and_b32 s12, s12, exec_lo
	s_or_saveexec_b32 s27, s27
	v_mov_b32_e32 v64, 0x7f800001
	s_xor_b32 exec_lo, exec_lo, s27
	s_cbranch_execnz .LBB2_2252
.LBB2_2193:                             ;   in Loop: Header=BB2_2069 Depth=2
	s_or_b32 exec_lo, exec_lo, s27
	s_and_saveexec_b32 s27, s12
	s_cbranch_execz .LBB2_2195
.LBB2_2194:                             ;   in Loop: Header=BB2_2069 Depth=2
	v_and_b32_e32 v64, 7, v53
	v_lshrrev_b16 v112, 3, v53
	v_ffbh_u32_e32 v102, v64
	v_and_b32_e32 v112, 15, v112
	v_min_u32_e32 v102, 32, v102
	v_cmp_eq_u32_e32 vcc_lo, 0, v112
	v_subrev_nc_u32_e32 v113, 28, v102
	v_sub_nc_u32_e32 v102, 29, v102
	v_lshlrev_b32_e32 v113, v113, v53
	v_lshlrev_b32_e32 v53, 24, v53
	v_cndmask_b32_e32 v102, v112, v102, vcc_lo
	v_and_b32_e32 v113, 7, v113
	v_and_b32_e32 v53, 0x80000000, v53
	v_lshl_add_u32 v102, v102, 23, 0x3b800000
	v_cndmask_b32_e32 v64, v64, v113, vcc_lo
	v_lshlrev_b32_e32 v64, 20, v64
	v_or3_b32 v64, v53, v102, v64
.LBB2_2195:                             ;   in Loop: Header=BB2_2069 Depth=2
	s_or_b32 exec_lo, exec_lo, s27
	s_waitcnt vmcnt(1) lgkmcnt(1)
	v_cmp_gt_i16_sdwa s27, v51, v85 src0_sel:BYTE_0 src1_sel:DWORD
	s_mov_b32 s12, 0
	s_and_saveexec_b32 s28, s27
	s_xor_b32 s27, exec_lo, s28
	s_cbranch_execz .LBB2_2253
; %bb.2196:                             ;   in Loop: Header=BB2_2069 Depth=2
	v_cmp_eq_u16_sdwa s29, v51, v86 src0_sel:BYTE_0 src1_sel:DWORD
	s_mov_b32 s12, -1
	s_and_saveexec_b32 s28, s29
; %bb.2197:                             ;   in Loop: Header=BB2_2069 Depth=2
	s_xor_b32 s12, exec_lo, -1
; %bb.2198:                             ;   in Loop: Header=BB2_2069 Depth=2
	s_or_b32 exec_lo, exec_lo, s28
	s_and_b32 s12, s12, exec_lo
	s_or_saveexec_b32 s27, s27
	v_mov_b32_e32 v53, 0x7f800001
	s_xor_b32 exec_lo, exec_lo, s27
	s_cbranch_execnz .LBB2_2254
.LBB2_2199:                             ;   in Loop: Header=BB2_2069 Depth=2
	s_or_b32 exec_lo, exec_lo, s27
	s_and_saveexec_b32 s27, s12
	s_cbranch_execz .LBB2_2201
.LBB2_2200:                             ;   in Loop: Header=BB2_2069 Depth=2
	v_and_b32_e32 v53, 7, v51
	v_lshrrev_b16 v112, 3, v51
	v_ffbh_u32_e32 v102, v53
	v_and_b32_e32 v112, 15, v112
	v_min_u32_e32 v102, 32, v102
	v_cmp_eq_u32_e32 vcc_lo, 0, v112
	v_subrev_nc_u32_e32 v113, 28, v102
	v_sub_nc_u32_e32 v102, 29, v102
	v_lshlrev_b32_e32 v113, v113, v51
	v_lshlrev_b32_e32 v51, 24, v51
	v_cndmask_b32_e32 v102, v112, v102, vcc_lo
	v_and_b32_e32 v113, 7, v113
	v_and_b32_e32 v51, 0x80000000, v51
	v_lshl_add_u32 v102, v102, 23, 0x3b800000
	v_cndmask_b32_e32 v53, v53, v113, vcc_lo
	v_lshlrev_b32_e32 v53, 20, v53
	v_or3_b32 v53, v51, v102, v53
.LBB2_2201:                             ;   in Loop: Header=BB2_2069 Depth=2
	s_or_b32 exec_lo, exec_lo, s27
	v_add_f32_e32 v53, v64, v53
	v_and_b32_e32 v51, 0x7f800000, v53
	v_cmp_ne_u32_e32 vcc_lo, 0x7f800000, v51
	v_mov_b32_e32 v51, 0x80
	s_and_saveexec_b32 s27, vcc_lo
	s_cbranch_execz .LBB2_2209
; %bb.2202:                             ;   in Loop: Header=BB2_2069 Depth=2
	v_mov_b32_e32 v51, 0
	s_mov_b32 s28, exec_lo
	v_cmpx_ne_u32_e32 0, v53
	s_cbranch_execz .LBB2_2208
; %bb.2203:                             ;   in Loop: Header=BB2_2069 Depth=2
	v_bfe_u32 v51, v53, 23, 8
	v_and_b32_e32 v64, 0x7fffff, v53
	v_sub_nc_u32_e32 v102, 0x78, v51
	v_cmp_gt_u32_e32 vcc_lo, 0x79, v51
	v_or_b32_e32 v112, 0x800000, v64
	v_cndmask_b32_e32 v102, 0, v102, vcc_lo
	v_cmp_eq_u32_e32 vcc_lo, 0, v51
	v_add_nc_u32_e32 v51, 0xffffff89, v51
	v_cndmask_b32_e64 v102, v102, 0x77, vcc_lo
	v_cndmask_b32_e32 v64, v112, v64, vcc_lo
	v_cndmask_b32_e64 v51, v51, 0xffffff8a, vcc_lo
	v_lshl_add_u32 v112, 0x100000, v102, -1
	v_lshrrev_b32_e32 v113, v102, v64
	v_lshlrev_b32_e64 v115, v102, 0x80000
	v_add_nc_u32_e32 v102, v102, v51
	v_and_b32_e32 v64, v112, v64
	v_bfe_u32 v114, v113, 20, 1
	v_cmp_eq_u32_e64 s12, v64, v115
	v_add_nc_u32_e32 v112, -1, v114
	v_cndmask_b32_e64 v64, 0, v112, s12
	v_lshrrev_b32_e32 v112, 23, v113
	s_mov_b32 s12, exec_lo
	v_add_nc_u32_e32 v64, v64, v113
	v_xor_b32_e32 v112, 1, v112
	v_and_b32_e32 v51, 0xfffff, v64
	v_add_nc_u32_e32 v64, v51, v113
                                        ; implicit-def: $vgpr51
	v_cmpx_ne_u32_e64 v102, v112
	s_xor_b32 s12, exec_lo, s12
; %bb.2204:                             ;   in Loop: Header=BB2_2069 Depth=2
	v_cmp_lt_u32_e32 vcc_lo, 0xffffff, v64
	v_sub_nc_u32_e32 v51, v102, v112
	v_cndmask_b32_e64 v102, 0, 1, vcc_lo
	v_add_co_ci_u32_e64 v51, null, 0, v51, vcc_lo
	v_lshrrev_b32_e32 v64, v102, v64
; %bb.2205:                             ;   in Loop: Header=BB2_2069 Depth=2
	s_andn2_saveexec_b32 s12, s12
; %bb.2206:                             ;   in Loop: Header=BB2_2069 Depth=2
	v_bfe_u32 v51, v64, 23, 1
; %bb.2207:                             ;   in Loop: Header=BB2_2069 Depth=2
	s_or_b32 exec_lo, exec_lo, s12
	v_lshrrev_b32_e32 v64, 20, v64
	v_cmp_gt_i32_e32 vcc_lo, 16, v51
	v_min_i32_e32 v102, 15, v51
	v_and_b32_sdwa v53, v53, v86 dst_sel:DWORD dst_unused:UNUSED_PAD src0_sel:BYTE_3 src1_sel:DWORD
	v_cndmask_b32_e32 v64, 7, v64, vcc_lo
	v_lshlrev_b32_e32 v102, 3, v102
	v_and_b32_e32 v112, 7, v64
	v_or_b32_e32 v51, v51, v64
	v_or3_b32 v53, v102, v53, v112
	v_cmp_ne_u32_e32 vcc_lo, 0, v51
	v_cndmask_b32_e32 v51, 0, v53, vcc_lo
.LBB2_2208:                             ;   in Loop: Header=BB2_2069 Depth=2
	s_or_b32 exec_lo, exec_lo, s28
.LBB2_2209:                             ;   in Loop: Header=BB2_2069 Depth=2
	s_or_b32 exec_lo, exec_lo, s27
	v_cmp_gt_i16_sdwa s27, v49, v85 src0_sel:BYTE_0 src1_sel:DWORD
	s_mov_b32 s12, 0
	s_and_saveexec_b32 s28, s27
	s_xor_b32 s27, exec_lo, s28
	s_cbranch_execz .LBB2_2255
; %bb.2210:                             ;   in Loop: Header=BB2_2069 Depth=2
	v_cmp_eq_u16_sdwa s29, v49, v86 src0_sel:BYTE_0 src1_sel:DWORD
	s_mov_b32 s12, -1
	s_and_saveexec_b32 s28, s29
; %bb.2211:                             ;   in Loop: Header=BB2_2069 Depth=2
	s_xor_b32 s12, exec_lo, -1
; %bb.2212:                             ;   in Loop: Header=BB2_2069 Depth=2
	s_or_b32 exec_lo, exec_lo, s28
	s_and_b32 s12, s12, exec_lo
	s_or_saveexec_b32 s27, s27
	v_mov_b32_e32 v53, 0x7f800001
	s_xor_b32 exec_lo, exec_lo, s27
	s_cbranch_execnz .LBB2_2256
.LBB2_2213:                             ;   in Loop: Header=BB2_2069 Depth=2
	s_or_b32 exec_lo, exec_lo, s27
	s_and_saveexec_b32 s27, s12
	s_cbranch_execz .LBB2_2215
.LBB2_2214:                             ;   in Loop: Header=BB2_2069 Depth=2
	v_and_b32_e32 v53, 7, v49
	v_lshrrev_b16 v102, 3, v49
	v_ffbh_u32_e32 v64, v53
	v_and_b32_e32 v102, 15, v102
	v_min_u32_e32 v64, 32, v64
	v_cmp_eq_u32_e32 vcc_lo, 0, v102
	v_subrev_nc_u32_e32 v112, 28, v64
	v_sub_nc_u32_e32 v64, 29, v64
	v_lshlrev_b32_e32 v112, v112, v49
	v_lshlrev_b32_e32 v49, 24, v49
	v_cndmask_b32_e32 v64, v102, v64, vcc_lo
	v_and_b32_e32 v112, 7, v112
	v_and_b32_e32 v49, 0x80000000, v49
	v_lshl_add_u32 v64, v64, 23, 0x3b800000
	v_cndmask_b32_e32 v53, v53, v112, vcc_lo
	v_lshlrev_b32_e32 v53, 20, v53
	v_or3_b32 v53, v49, v64, v53
.LBB2_2215:                             ;   in Loop: Header=BB2_2069 Depth=2
	s_or_b32 exec_lo, exec_lo, s27
	s_waitcnt vmcnt(0) lgkmcnt(0)
	v_cmp_gt_i16_sdwa s27, v48, v85 src0_sel:BYTE_0 src1_sel:DWORD
	s_mov_b32 s12, 0
	s_and_saveexec_b32 s28, s27
	s_xor_b32 s27, exec_lo, s28
	s_cbranch_execz .LBB2_2257
; %bb.2216:                             ;   in Loop: Header=BB2_2069 Depth=2
	v_cmp_eq_u16_sdwa s29, v48, v86 src0_sel:BYTE_0 src1_sel:DWORD
	s_mov_b32 s12, -1
	s_and_saveexec_b32 s28, s29
; %bb.2217:                             ;   in Loop: Header=BB2_2069 Depth=2
	s_xor_b32 s12, exec_lo, -1
; %bb.2218:                             ;   in Loop: Header=BB2_2069 Depth=2
	s_or_b32 exec_lo, exec_lo, s28
	s_and_b32 s12, s12, exec_lo
	s_or_saveexec_b32 s27, s27
	v_mov_b32_e32 v49, 0x7f800001
	s_xor_b32 exec_lo, exec_lo, s27
	s_cbranch_execnz .LBB2_2258
.LBB2_2219:                             ;   in Loop: Header=BB2_2069 Depth=2
	s_or_b32 exec_lo, exec_lo, s27
	s_and_saveexec_b32 s27, s12
	s_cbranch_execz .LBB2_2221
.LBB2_2220:                             ;   in Loop: Header=BB2_2069 Depth=2
	v_and_b32_e32 v49, 7, v48
	v_lshrrev_b16 v102, 3, v48
	v_ffbh_u32_e32 v64, v49
	v_and_b32_e32 v102, 15, v102
	v_min_u32_e32 v64, 32, v64
	v_cmp_eq_u32_e32 vcc_lo, 0, v102
	v_subrev_nc_u32_e32 v112, 28, v64
	v_sub_nc_u32_e32 v64, 29, v64
	v_lshlrev_b32_e32 v112, v112, v48
	v_lshlrev_b32_e32 v48, 24, v48
	v_cndmask_b32_e32 v64, v102, v64, vcc_lo
	v_and_b32_e32 v112, 7, v112
	v_and_b32_e32 v48, 0x80000000, v48
	v_lshl_add_u32 v64, v64, 23, 0x3b800000
	v_cndmask_b32_e32 v49, v49, v112, vcc_lo
	v_lshlrev_b32_e32 v49, 20, v49
	v_or3_b32 v49, v48, v64, v49
.LBB2_2221:                             ;   in Loop: Header=BB2_2069 Depth=2
	s_or_b32 exec_lo, exec_lo, s27
	v_add_f32_e32 v48, v53, v49
	v_and_b32_e32 v49, 0x7f800000, v48
	v_cmp_ne_u32_e32 vcc_lo, 0x7f800000, v49
	v_mov_b32_e32 v49, 0x80
	s_and_saveexec_b32 s27, vcc_lo
	s_cbranch_execz .LBB2_2068
; %bb.2222:                             ;   in Loop: Header=BB2_2069 Depth=2
	v_mov_b32_e32 v49, 0
	s_mov_b32 s28, exec_lo
	v_cmpx_ne_u32_e32 0, v48
	s_cbranch_execz .LBB2_2067
; %bb.2223:                             ;   in Loop: Header=BB2_2069 Depth=2
	v_bfe_u32 v49, v48, 23, 8
	v_and_b32_e32 v53, 0x7fffff, v48
	v_sub_nc_u32_e32 v64, 0x78, v49
	v_cmp_gt_u32_e32 vcc_lo, 0x79, v49
	v_or_b32_e32 v102, 0x800000, v53
	v_cndmask_b32_e32 v64, 0, v64, vcc_lo
	v_cmp_eq_u32_e32 vcc_lo, 0, v49
	v_add_nc_u32_e32 v49, 0xffffff89, v49
	v_cndmask_b32_e64 v64, v64, 0x77, vcc_lo
	v_cndmask_b32_e32 v53, v102, v53, vcc_lo
	v_cndmask_b32_e64 v49, v49, 0xffffff8a, vcc_lo
	v_lshl_add_u32 v102, 0x100000, v64, -1
	v_lshrrev_b32_e32 v112, v64, v53
	v_lshlrev_b32_e64 v114, v64, 0x80000
	v_add_nc_u32_e32 v64, v64, v49
	v_and_b32_e32 v53, v102, v53
	v_bfe_u32 v113, v112, 20, 1
	v_cmp_eq_u32_e64 s12, v53, v114
	v_add_nc_u32_e32 v102, -1, v113
	v_cndmask_b32_e64 v53, 0, v102, s12
	v_lshrrev_b32_e32 v102, 23, v112
	s_mov_b32 s12, exec_lo
	v_add_nc_u32_e32 v53, v53, v112
	v_xor_b32_e32 v102, 1, v102
	v_and_b32_e32 v49, 0xfffff, v53
	v_add_nc_u32_e32 v53, v49, v112
                                        ; implicit-def: $vgpr49
	v_cmpx_ne_u32_e64 v64, v102
	s_xor_b32 s12, exec_lo, s12
; %bb.2224:                             ;   in Loop: Header=BB2_2069 Depth=2
	v_cmp_lt_u32_e32 vcc_lo, 0xffffff, v53
	v_sub_nc_u32_e32 v49, v64, v102
	v_cndmask_b32_e64 v64, 0, 1, vcc_lo
	v_add_co_ci_u32_e64 v49, null, 0, v49, vcc_lo
	v_lshrrev_b32_e32 v53, v64, v53
; %bb.2225:                             ;   in Loop: Header=BB2_2069 Depth=2
	s_andn2_saveexec_b32 s12, s12
	s_cbranch_execz .LBB2_2066
; %bb.2226:                             ;   in Loop: Header=BB2_2069 Depth=2
	v_bfe_u32 v49, v53, 23, 1
	s_branch .LBB2_2066
.LBB2_2227:                             ;   in Loop: Header=BB2_2069 Depth=2
	s_or_saveexec_b32 s27, s27
	v_mov_b32_e32 v115, 0x7f800001
	s_xor_b32 exec_lo, exec_lo, s27
	s_cbranch_execz .LBB2_2073
.LBB2_2228:                             ;   in Loop: Header=BB2_2069 Depth=2
	v_cmp_ne_u16_e32 vcc_lo, 0, v116
	v_mov_b32_e32 v115, 0
	s_andn2_b32 s12, s12, exec_lo
	s_and_b32 s28, vcc_lo, exec_lo
	s_or_b32 s12, s12, s28
	s_or_b32 exec_lo, exec_lo, s27
	s_and_saveexec_b32 s27, s12
	s_cbranch_execnz .LBB2_2074
	s_branch .LBB2_2075
.LBB2_2229:                             ;   in Loop: Header=BB2_2069 Depth=2
	s_or_saveexec_b32 s27, s27
	v_mov_b32_e32 v116, 0x7f800001
	s_xor_b32 exec_lo, exec_lo, s27
	s_cbranch_execz .LBB2_2079
.LBB2_2230:                             ;   in Loop: Header=BB2_2069 Depth=2
	v_cmp_ne_u16_sdwa s28, v50, v35 src0_sel:BYTE_0 src1_sel:DWORD
	v_mov_b32_e32 v116, 0
	s_andn2_b32 s12, s12, exec_lo
	s_and_b32 s28, s28, exec_lo
	s_or_b32 s12, s12, s28
	s_or_b32 exec_lo, exec_lo, s27
	s_and_saveexec_b32 s27, s12
	s_cbranch_execnz .LBB2_2080
	s_branch .LBB2_2081
.LBB2_2231:                             ;   in Loop: Header=BB2_2069 Depth=2
	s_or_saveexec_b32 s27, s27
	v_mov_b32_e32 v115, 0x7f800001
	s_xor_b32 exec_lo, exec_lo, s27
	s_cbranch_execz .LBB2_2093
.LBB2_2232:                             ;   in Loop: Header=BB2_2069 Depth=2
	v_cmp_ne_u16_sdwa s28, v114, v35 src0_sel:BYTE_0 src1_sel:DWORD
	v_mov_b32_e32 v115, 0
	s_andn2_b32 s12, s12, exec_lo
	s_and_b32 s28, s28, exec_lo
	s_or_b32 s12, s12, s28
	s_or_b32 exec_lo, exec_lo, s27
	s_and_saveexec_b32 s27, s12
	s_cbranch_execnz .LBB2_2094
	s_branch .LBB2_2095
.LBB2_2233:                             ;   in Loop: Header=BB2_2069 Depth=2
	s_or_saveexec_b32 s27, s27
	v_mov_b32_e32 v114, 0x7f800001
	s_xor_b32 exec_lo, exec_lo, s27
	s_cbranch_execz .LBB2_2099
.LBB2_2234:                             ;   in Loop: Header=BB2_2069 Depth=2
	v_cmp_ne_u16_sdwa s28, v54, v35 src0_sel:BYTE_0 src1_sel:DWORD
	v_mov_b32_e32 v114, 0
	s_andn2_b32 s12, s12, exec_lo
	s_and_b32 s28, s28, exec_lo
	s_or_b32 s12, s12, s28
	s_or_b32 exec_lo, exec_lo, s27
	s_and_saveexec_b32 s27, s12
	s_cbranch_execnz .LBB2_2100
	s_branch .LBB2_2101
.LBB2_2235:                             ;   in Loop: Header=BB2_2069 Depth=2
	s_or_saveexec_b32 s27, s27
	v_mov_b32_e32 v114, 0x7f800001
	s_xor_b32 exec_lo, exec_lo, s27
	s_cbranch_execz .LBB2_2113
.LBB2_2236:                             ;   in Loop: Header=BB2_2069 Depth=2
	v_cmp_ne_u16_sdwa s28, v113, v35 src0_sel:BYTE_0 src1_sel:DWORD
	v_mov_b32_e32 v114, 0
	s_andn2_b32 s12, s12, exec_lo
	s_and_b32 s28, s28, exec_lo
	s_or_b32 s12, s12, s28
	s_or_b32 exec_lo, exec_lo, s27
	s_and_saveexec_b32 s27, s12
	s_cbranch_execnz .LBB2_2114
	s_branch .LBB2_2115
.LBB2_2237:                             ;   in Loop: Header=BB2_2069 Depth=2
	s_or_saveexec_b32 s27, s27
	v_mov_b32_e32 v113, 0x7f800001
	s_xor_b32 exec_lo, exec_lo, s27
	s_cbranch_execz .LBB2_2119
.LBB2_2238:                             ;   in Loop: Header=BB2_2069 Depth=2
	v_cmp_ne_u16_sdwa s28, v65, v35 src0_sel:BYTE_0 src1_sel:DWORD
	v_mov_b32_e32 v113, 0
	s_andn2_b32 s12, s12, exec_lo
	s_and_b32 s28, s28, exec_lo
	s_or_b32 s12, s12, s28
	s_or_b32 exec_lo, exec_lo, s27
	s_and_saveexec_b32 s27, s12
	s_cbranch_execnz .LBB2_2120
	s_branch .LBB2_2121
.LBB2_2239:                             ;   in Loop: Header=BB2_2069 Depth=2
	s_or_saveexec_b32 s27, s27
	v_mov_b32_e32 v113, 0x7f800001
	s_xor_b32 exec_lo, exec_lo, s27
	s_cbranch_execz .LBB2_2133
.LBB2_2240:                             ;   in Loop: Header=BB2_2069 Depth=2
	v_cmp_ne_u16_sdwa s28, v112, v35 src0_sel:BYTE_0 src1_sel:DWORD
	v_mov_b32_e32 v113, 0
	s_andn2_b32 s12, s12, exec_lo
	s_and_b32 s28, s28, exec_lo
	s_or_b32 s12, s12, s28
	s_or_b32 exec_lo, exec_lo, s27
	s_and_saveexec_b32 s27, s12
	s_cbranch_execnz .LBB2_2134
	s_branch .LBB2_2135
.LBB2_2241:                             ;   in Loop: Header=BB2_2069 Depth=2
	s_or_saveexec_b32 s27, s27
	v_mov_b32_e32 v112, 0x7f800001
	s_xor_b32 exec_lo, exec_lo, s27
	s_cbranch_execz .LBB2_2139
.LBB2_2242:                             ;   in Loop: Header=BB2_2069 Depth=2
	v_cmp_ne_u16_sdwa s28, v103, v35 src0_sel:BYTE_0 src1_sel:DWORD
	v_mov_b32_e32 v112, 0
	s_andn2_b32 s12, s12, exec_lo
	s_and_b32 s28, s28, exec_lo
	s_or_b32 s12, s12, s28
	s_or_b32 exec_lo, exec_lo, s27
	s_and_saveexec_b32 s27, s12
	s_cbranch_execnz .LBB2_2140
	s_branch .LBB2_2141
.LBB2_2243:                             ;   in Loop: Header=BB2_2069 Depth=2
	s_or_saveexec_b32 s27, s27
	v_mov_b32_e32 v112, 0x7f800001
	s_xor_b32 exec_lo, exec_lo, s27
	s_cbranch_execz .LBB2_2153
.LBB2_2244:                             ;   in Loop: Header=BB2_2069 Depth=2
	v_cmp_ne_u16_sdwa s28, v102, v35 src0_sel:BYTE_0 src1_sel:DWORD
	v_mov_b32_e32 v112, 0
	s_andn2_b32 s12, s12, exec_lo
	s_and_b32 s28, s28, exec_lo
	s_or_b32 s12, s12, s28
	s_or_b32 exec_lo, exec_lo, s27
	s_and_saveexec_b32 s27, s12
	s_cbranch_execnz .LBB2_2154
	s_branch .LBB2_2155
.LBB2_2245:                             ;   in Loop: Header=BB2_2069 Depth=2
	s_or_saveexec_b32 s27, s27
	v_mov_b32_e32 v102, 0x7f800001
	s_xor_b32 exec_lo, exec_lo, s27
	s_cbranch_execz .LBB2_2159
.LBB2_2246:                             ;   in Loop: Header=BB2_2069 Depth=2
	v_cmp_ne_u16_sdwa s28, v101, v35 src0_sel:BYTE_0 src1_sel:DWORD
	v_mov_b32_e32 v102, 0
	s_andn2_b32 s12, s12, exec_lo
	s_and_b32 s28, s28, exec_lo
	s_or_b32 s12, s12, s28
	s_or_b32 exec_lo, exec_lo, s27
	s_and_saveexec_b32 s27, s12
	s_cbranch_execnz .LBB2_2160
	s_branch .LBB2_2161
.LBB2_2247:                             ;   in Loop: Header=BB2_2069 Depth=2
	s_or_saveexec_b32 s27, s27
	v_mov_b32_e32 v102, 0x7f800001
	s_xor_b32 exec_lo, exec_lo, s27
	s_cbranch_execz .LBB2_2173
.LBB2_2248:                             ;   in Loop: Header=BB2_2069 Depth=2
	v_cmp_ne_u16_sdwa s28, v64, v35 src0_sel:BYTE_0 src1_sel:DWORD
	v_mov_b32_e32 v102, 0
	s_andn2_b32 s12, s12, exec_lo
	s_and_b32 s28, s28, exec_lo
	s_or_b32 s12, s12, s28
	s_or_b32 exec_lo, exec_lo, s27
	s_and_saveexec_b32 s27, s12
	s_cbranch_execnz .LBB2_2174
	s_branch .LBB2_2175
.LBB2_2249:                             ;   in Loop: Header=BB2_2069 Depth=2
	s_or_saveexec_b32 s27, s27
	v_mov_b32_e32 v64, 0x7f800001
	s_xor_b32 exec_lo, exec_lo, s27
	s_cbranch_execz .LBB2_2179
.LBB2_2250:                             ;   in Loop: Header=BB2_2069 Depth=2
	v_cmp_ne_u16_sdwa s28, v55, v35 src0_sel:BYTE_0 src1_sel:DWORD
	v_mov_b32_e32 v64, 0
	s_andn2_b32 s12, s12, exec_lo
	s_and_b32 s28, s28, exec_lo
	s_or_b32 s12, s12, s28
	s_or_b32 exec_lo, exec_lo, s27
	s_and_saveexec_b32 s27, s12
	s_cbranch_execnz .LBB2_2180
	s_branch .LBB2_2181
.LBB2_2251:                             ;   in Loop: Header=BB2_2069 Depth=2
	s_or_saveexec_b32 s27, s27
	v_mov_b32_e32 v64, 0x7f800001
	s_xor_b32 exec_lo, exec_lo, s27
	s_cbranch_execz .LBB2_2193
.LBB2_2252:                             ;   in Loop: Header=BB2_2069 Depth=2
	v_cmp_ne_u16_sdwa s28, v53, v35 src0_sel:BYTE_0 src1_sel:DWORD
	v_mov_b32_e32 v64, 0
	s_andn2_b32 s12, s12, exec_lo
	s_and_b32 s28, s28, exec_lo
	s_or_b32 s12, s12, s28
	s_or_b32 exec_lo, exec_lo, s27
	s_and_saveexec_b32 s27, s12
	s_cbranch_execnz .LBB2_2194
	s_branch .LBB2_2195
.LBB2_2253:                             ;   in Loop: Header=BB2_2069 Depth=2
	s_or_saveexec_b32 s27, s27
	v_mov_b32_e32 v53, 0x7f800001
	s_xor_b32 exec_lo, exec_lo, s27
	s_cbranch_execz .LBB2_2199
.LBB2_2254:                             ;   in Loop: Header=BB2_2069 Depth=2
	v_cmp_ne_u16_sdwa s28, v51, v35 src0_sel:BYTE_0 src1_sel:DWORD
	v_mov_b32_e32 v53, 0
	s_andn2_b32 s12, s12, exec_lo
	s_and_b32 s28, s28, exec_lo
	s_or_b32 s12, s12, s28
	s_or_b32 exec_lo, exec_lo, s27
	s_and_saveexec_b32 s27, s12
	s_cbranch_execnz .LBB2_2200
	s_branch .LBB2_2201
.LBB2_2255:                             ;   in Loop: Header=BB2_2069 Depth=2
	s_or_saveexec_b32 s27, s27
	v_mov_b32_e32 v53, 0x7f800001
	s_xor_b32 exec_lo, exec_lo, s27
	s_cbranch_execz .LBB2_2213
.LBB2_2256:                             ;   in Loop: Header=BB2_2069 Depth=2
	v_cmp_ne_u16_sdwa s28, v49, v35 src0_sel:BYTE_0 src1_sel:DWORD
	v_mov_b32_e32 v53, 0
	s_andn2_b32 s12, s12, exec_lo
	s_and_b32 s28, s28, exec_lo
	s_or_b32 s12, s12, s28
	s_or_b32 exec_lo, exec_lo, s27
	s_and_saveexec_b32 s27, s12
	s_cbranch_execnz .LBB2_2214
	s_branch .LBB2_2215
.LBB2_2257:                             ;   in Loop: Header=BB2_2069 Depth=2
	s_or_saveexec_b32 s27, s27
	v_mov_b32_e32 v49, 0x7f800001
	s_xor_b32 exec_lo, exec_lo, s27
	s_cbranch_execz .LBB2_2219
.LBB2_2258:                             ;   in Loop: Header=BB2_2069 Depth=2
	v_cmp_ne_u16_sdwa s28, v48, v35 src0_sel:BYTE_0 src1_sel:DWORD
	v_mov_b32_e32 v49, 0
	s_andn2_b32 s12, s12, exec_lo
	s_and_b32 s28, s28, exec_lo
	s_or_b32 s12, s12, s28
	s_or_b32 exec_lo, exec_lo, s27
	s_and_saveexec_b32 s27, s12
	s_cbranch_execnz .LBB2_2220
	s_branch .LBB2_2221
.LBB2_2259:                             ;   in Loop: Header=BB2_1213 Depth=1
	s_or_b32 exec_lo, exec_lo, s26
.LBB2_2260:                             ;   in Loop: Header=BB2_1213 Depth=1
	s_or_b32 exec_lo, exec_lo, s25
	v_and_b32_e32 v10, 0x7fffff00, v100
	v_cmp_ne_u32_e32 vcc_lo, v100, v10
	s_and_b32 exec_lo, exec_lo, vcc_lo
	s_cbranch_execz .LBB2_2288
; %bb.2261:                             ;   in Loop: Header=BB2_1213 Depth=1
	v_lshlrev_b32_e32 v11, 5, v17
	v_lshlrev_b32_e32 v12, 5, v52
	v_sub_nc_u32_e32 v11, v16, v11
	v_sub_nc_u32_e32 v11, v11, v12
	v_sub_nc_u32_sdwa v16, v100, v11 dst_sel:DWORD dst_unused:UNUSED_PAD src0_sel:BYTE_0 src1_sel:DWORD
	v_cmp_lt_i32_e32 vcc_lo, 0, v16
	s_and_b32 exec_lo, exec_lo, vcc_lo
	s_cbranch_execz .LBB2_2288
; %bb.2262:                             ;   in Loop: Header=BB2_1213 Depth=1
	s_trap 2
	ds_read_b128 v[12:15], v0
	ds_read_b64 v[48:49], v0
	v_add3_u32 v17, v10, v99, v11
	s_mov_b32 s25, 0
	v_ashrrev_i32_e32 v50, 31, v17
	s_waitcnt lgkmcnt(1)
	v_add_co_u32 v10, vcc_lo, v12, v17
	v_add_co_ci_u32_e64 v11, null, v13, v50, vcc_lo
	v_add_co_u32 v12, vcc_lo, v14, v17
	v_add_co_ci_u32_e64 v13, null, v15, v50, vcc_lo
	s_waitcnt lgkmcnt(0)
	v_add_co_u32 v14, vcc_lo, v48, v17
	v_add_co_ci_u32_e64 v15, null, v49, v50, vcc_lo
	s_branch .LBB2_2266
.LBB2_2263:                             ;   in Loop: Header=BB2_2266 Depth=2
	s_or_b32 exec_lo, exec_lo, s12
	v_lshrrev_b32_e32 v49, 20, v49
	v_cmp_gt_i32_e32 vcc_lo, 16, v48
	v_min_i32_e32 v50, 15, v48
	v_and_b32_sdwa v17, v17, v86 dst_sel:DWORD dst_unused:UNUSED_PAD src0_sel:BYTE_3 src1_sel:DWORD
	v_cndmask_b32_e32 v49, 7, v49, vcc_lo
	v_lshlrev_b32_e32 v50, 3, v50
	v_and_b32_e32 v51, 7, v49
	v_or_b32_e32 v48, v48, v49
	v_or3_b32 v17, v50, v17, v51
	v_cmp_ne_u32_e32 vcc_lo, 0, v48
	v_cndmask_b32_e32 v48, 0, v17, vcc_lo
.LBB2_2264:                             ;   in Loop: Header=BB2_2266 Depth=2
	s_or_b32 exec_lo, exec_lo, s27
.LBB2_2265:                             ;   in Loop: Header=BB2_2266 Depth=2
	s_or_b32 exec_lo, exec_lo, s26
	v_sub_nc_u32_e32 v16, v16, v67
	v_add_co_u32 v10, vcc_lo, v10, v67
	v_add_co_ci_u32_e64 v11, null, 0, v11, vcc_lo
	v_add_co_u32 v12, vcc_lo, v12, v67
	flat_store_byte v[14:15], v48 glc slc
	v_add_co_ci_u32_e64 v13, null, 0, v13, vcc_lo
	v_cmp_gt_i32_e32 vcc_lo, 1, v16
	v_add_co_u32 v14, s12, v14, v67
	v_add_co_ci_u32_e64 v15, null, 0, v15, s12
	s_or_b32 s25, vcc_lo, s25
	s_andn2_b32 exec_lo, exec_lo, s25
	s_cbranch_execz .LBB2_2288
.LBB2_2266:                             ;   Parent Loop BB2_1213 Depth=1
                                        ; =>  This Inner Loop Header: Depth=2
	flat_load_ubyte v49, v[10:11] slc
	flat_load_ubyte v17, v[12:13] slc
	s_mov_b32 s12, 0
	s_mov_b32 s26, exec_lo
	s_waitcnt vmcnt(1) lgkmcnt(1)
	v_cmpx_lt_i16_e32 0x7f, v49
	s_xor_b32 s26, exec_lo, s26
	s_cbranch_execz .LBB2_2284
; %bb.2267:                             ;   in Loop: Header=BB2_2266 Depth=2
	s_mov_b32 s12, -1
	s_mov_b32 s27, exec_lo
	v_cmpx_eq_u16_e32 0x80, v49
; %bb.2268:                             ;   in Loop: Header=BB2_2266 Depth=2
	s_xor_b32 s12, exec_lo, -1
; %bb.2269:                             ;   in Loop: Header=BB2_2266 Depth=2
	s_or_b32 exec_lo, exec_lo, s27
	s_and_b32 s12, s12, exec_lo
	s_or_saveexec_b32 s26, s26
	v_mov_b32_e32 v48, 0x7f800001
	s_xor_b32 exec_lo, exec_lo, s26
	s_cbranch_execnz .LBB2_2285
.LBB2_2270:                             ;   in Loop: Header=BB2_2266 Depth=2
	s_or_b32 exec_lo, exec_lo, s26
	s_and_saveexec_b32 s26, s12
	s_cbranch_execz .LBB2_2272
.LBB2_2271:                             ;   in Loop: Header=BB2_2266 Depth=2
	v_and_b32_e32 v48, 0xffff, v49
	v_lshlrev_b32_e32 v49, 24, v49
	v_and_b32_e32 v50, 7, v48
	v_bfe_u32 v53, v48, 3, 4
	v_and_b32_e32 v49, 0x80000000, v49
	v_ffbh_u32_e32 v51, v50
	v_cmp_eq_u32_e32 vcc_lo, 0, v53
	v_min_u32_e32 v51, 32, v51
	v_subrev_nc_u32_e32 v52, 28, v51
	v_sub_nc_u32_e32 v51, 29, v51
	v_lshlrev_b32_e32 v48, v52, v48
	v_cndmask_b32_e32 v51, v53, v51, vcc_lo
	v_and_b32_e32 v48, 7, v48
	v_cndmask_b32_e32 v48, v50, v48, vcc_lo
	v_lshl_add_u32 v50, v51, 23, 0x3b800000
	v_lshlrev_b32_e32 v48, 20, v48
	v_or3_b32 v48, v49, v50, v48
.LBB2_2272:                             ;   in Loop: Header=BB2_2266 Depth=2
	s_or_b32 exec_lo, exec_lo, s26
	s_waitcnt vmcnt(0) lgkmcnt(0)
	v_cmp_gt_i16_sdwa s26, v17, v85 src0_sel:BYTE_0 src1_sel:DWORD
	s_mov_b32 s12, 0
	s_and_saveexec_b32 s27, s26
	s_xor_b32 s26, exec_lo, s27
	s_cbranch_execz .LBB2_2286
; %bb.2273:                             ;   in Loop: Header=BB2_2266 Depth=2
	v_cmp_eq_u16_sdwa s28, v17, v86 src0_sel:BYTE_0 src1_sel:DWORD
	s_mov_b32 s12, -1
	s_and_saveexec_b32 s27, s28
; %bb.2274:                             ;   in Loop: Header=BB2_2266 Depth=2
	s_xor_b32 s12, exec_lo, -1
; %bb.2275:                             ;   in Loop: Header=BB2_2266 Depth=2
	s_or_b32 exec_lo, exec_lo, s27
	s_and_b32 s12, s12, exec_lo
	s_or_saveexec_b32 s26, s26
	v_mov_b32_e32 v49, 0x7f800001
	s_xor_b32 exec_lo, exec_lo, s26
	s_cbranch_execnz .LBB2_2287
.LBB2_2276:                             ;   in Loop: Header=BB2_2266 Depth=2
	s_or_b32 exec_lo, exec_lo, s26
	s_and_saveexec_b32 s26, s12
	s_cbranch_execz .LBB2_2278
.LBB2_2277:                             ;   in Loop: Header=BB2_2266 Depth=2
	v_and_b32_e32 v49, 7, v17
	v_lshrrev_b16 v51, 3, v17
	v_ffbh_u32_e32 v50, v49
	v_and_b32_e32 v51, 15, v51
	v_min_u32_e32 v50, 32, v50
	v_cmp_eq_u32_e32 vcc_lo, 0, v51
	v_subrev_nc_u32_e32 v52, 28, v50
	v_sub_nc_u32_e32 v50, 29, v50
	v_lshlrev_b32_e32 v52, v52, v17
	v_lshlrev_b32_e32 v17, 24, v17
	v_cndmask_b32_e32 v50, v51, v50, vcc_lo
	v_and_b32_e32 v52, 7, v52
	v_and_b32_e32 v17, 0x80000000, v17
	v_lshl_add_u32 v50, v50, 23, 0x3b800000
	v_cndmask_b32_e32 v49, v49, v52, vcc_lo
	v_lshlrev_b32_e32 v49, 20, v49
	v_or3_b32 v49, v17, v50, v49
.LBB2_2278:                             ;   in Loop: Header=BB2_2266 Depth=2
	s_or_b32 exec_lo, exec_lo, s26
	v_add_f32_e32 v17, v48, v49
	v_and_b32_e32 v48, 0x7f800000, v17
	v_cmp_ne_u32_e32 vcc_lo, 0x7f800000, v48
	v_mov_b32_e32 v48, 0x80
	s_and_saveexec_b32 s26, vcc_lo
	s_cbranch_execz .LBB2_2265
; %bb.2279:                             ;   in Loop: Header=BB2_2266 Depth=2
	v_mov_b32_e32 v48, 0
	s_mov_b32 s27, exec_lo
	v_cmpx_ne_u32_e32 0, v17
	s_cbranch_execz .LBB2_2264
; %bb.2280:                             ;   in Loop: Header=BB2_2266 Depth=2
	v_bfe_u32 v48, v17, 23, 8
	v_and_b32_e32 v49, 0x7fffff, v17
	v_sub_nc_u32_e32 v50, 0x78, v48
	v_cmp_gt_u32_e32 vcc_lo, 0x79, v48
	v_or_b32_e32 v51, 0x800000, v49
	v_cndmask_b32_e32 v50, 0, v50, vcc_lo
	v_cmp_eq_u32_e32 vcc_lo, 0, v48
	v_add_nc_u32_e32 v48, 0xffffff89, v48
	v_cndmask_b32_e64 v50, v50, 0x77, vcc_lo
	v_cndmask_b32_e32 v49, v51, v49, vcc_lo
	v_cndmask_b32_e64 v48, v48, 0xffffff8a, vcc_lo
	v_lshl_add_u32 v51, 0x100000, v50, -1
	v_lshrrev_b32_e32 v52, v50, v49
	v_lshlrev_b32_e64 v54, v50, 0x80000
	v_add_nc_u32_e32 v50, v50, v48
	v_and_b32_e32 v49, v51, v49
	v_bfe_u32 v53, v52, 20, 1
	v_cmp_eq_u32_e64 s12, v49, v54
	v_add_nc_u32_e32 v51, -1, v53
	v_cndmask_b32_e64 v49, 0, v51, s12
	v_lshrrev_b32_e32 v51, 23, v52
	s_mov_b32 s12, exec_lo
	v_add_nc_u32_e32 v49, v49, v52
	v_xor_b32_e32 v51, 1, v51
	v_and_b32_e32 v48, 0xfffff, v49
	v_add_nc_u32_e32 v49, v48, v52
                                        ; implicit-def: $vgpr48
	v_cmpx_ne_u32_e64 v50, v51
	s_xor_b32 s12, exec_lo, s12
; %bb.2281:                             ;   in Loop: Header=BB2_2266 Depth=2
	v_cmp_lt_u32_e32 vcc_lo, 0xffffff, v49
	v_sub_nc_u32_e32 v48, v50, v51
	v_cndmask_b32_e64 v50, 0, 1, vcc_lo
	v_add_co_ci_u32_e64 v48, null, 0, v48, vcc_lo
	v_lshrrev_b32_e32 v49, v50, v49
; %bb.2282:                             ;   in Loop: Header=BB2_2266 Depth=2
	s_andn2_saveexec_b32 s12, s12
	s_cbranch_execz .LBB2_2263
; %bb.2283:                             ;   in Loop: Header=BB2_2266 Depth=2
	v_bfe_u32 v48, v49, 23, 1
	s_branch .LBB2_2263
.LBB2_2284:                             ;   in Loop: Header=BB2_2266 Depth=2
	s_or_saveexec_b32 s26, s26
	v_mov_b32_e32 v48, 0x7f800001
	s_xor_b32 exec_lo, exec_lo, s26
	s_cbranch_execz .LBB2_2270
.LBB2_2285:                             ;   in Loop: Header=BB2_2266 Depth=2
	v_cmp_ne_u16_e32 vcc_lo, 0, v49
	v_mov_b32_e32 v48, 0
	s_andn2_b32 s12, s12, exec_lo
	s_and_b32 s27, vcc_lo, exec_lo
	s_or_b32 s12, s12, s27
	s_or_b32 exec_lo, exec_lo, s26
	s_and_saveexec_b32 s26, s12
	s_cbranch_execnz .LBB2_2271
	s_branch .LBB2_2272
.LBB2_2286:                             ;   in Loop: Header=BB2_2266 Depth=2
	s_or_saveexec_b32 s26, s26
	v_mov_b32_e32 v49, 0x7f800001
	s_xor_b32 exec_lo, exec_lo, s26
	s_cbranch_execz .LBB2_2276
.LBB2_2287:                             ;   in Loop: Header=BB2_2266 Depth=2
	v_cmp_ne_u16_sdwa s27, v17, v35 src0_sel:BYTE_0 src1_sel:DWORD
	v_mov_b32_e32 v49, 0
	s_andn2_b32 s12, s12, exec_lo
	s_and_b32 s27, s27, exec_lo
	s_or_b32 s12, s12, s27
	s_or_b32 exec_lo, exec_lo, s26
	s_and_saveexec_b32 s26, s12
	s_cbranch_execnz .LBB2_2277
	s_branch .LBB2_2278
.LBB2_2288:                             ;   in Loop: Header=BB2_1213 Depth=1
	s_or_b32 exec_lo, exec_lo, s13
	v_cmp_ne_u32_e64 s12, 0, v34
	s_and_saveexec_b32 s13, s6
	s_cbranch_execz .LBB2_2307
.LBB2_2289:                             ;   in Loop: Header=BB2_1213 Depth=1
	s_and_saveexec_b32 s25, s19
	s_xor_b32 s25, exec_lo, s25
	s_cbranch_execz .LBB2_2304
; %bb.2290:                             ;   in Loop: Header=BB2_1213 Depth=1
	s_and_saveexec_b32 s26, s7
	s_cbranch_execz .LBB2_2303
; %bb.2291:                             ;   in Loop: Header=BB2_1213 Depth=1
	s_mov_b32 s28, exec_lo
	s_mov_b32 s27, exec_lo
	v_mbcnt_lo_u32_b32 v10, s28, 0
	s_waitcnt vmcnt(0) lgkmcnt(0)
	s_waitcnt_vscnt null, 0x0
	buffer_gl1_inv
	buffer_gl0_inv
	v_cmpx_eq_u32_e32 0, v10
	s_cbranch_execz .LBB2_2293
; %bb.2292:                             ;   in Loop: Header=BB2_1213 Depth=1
	s_bcnt1_i32_b32 s28, s28
	v_mov_b32_e32 v34, s28
	ds_add_u64 v0, v[34:35]
	s_trap 2
.LBB2_2293:                             ;   in Loop: Header=BB2_1213 Depth=1
	s_or_b32 exec_lo, exec_lo, s27
	s_trap 2
	ds_read_b64 v[10:11], v0
	s_waitcnt lgkmcnt(0)
	buffer_gl0_inv
	v_add_co_u32 v28, vcc_lo, v28, v30
	v_add_co_ci_u32_e64 v29, null, 0, v29, vcc_lo
	s_mov_b32 s27, exec_lo
	v_cmpx_lt_u64_e64 v[10:11], v[28:29]
	s_cbranch_execz .LBB2_2302
; %bb.2294:                             ;   in Loop: Header=BB2_1213 Depth=1
	s_mov_b32 s28, 0
	s_mov_b32 s41, 0
                                        ; implicit-def: $sgpr29
                                        ; implicit-def: $sgpr40
	s_inst_prefetch 0x1
	s_branch .LBB2_2296
	.p2align	6
.LBB2_2295:                             ;   in Loop: Header=BB2_2296 Depth=2
	s_or_b32 exec_lo, exec_lo, s43
	s_and_b32 s42, exec_lo, s44
	s_or_b32 s28, s42, s28
	s_andn2_b32 s29, s29, exec_lo
	s_and_b32 s42, s40, exec_lo
	s_or_b32 s29, s29, s42
	s_andn2_b32 exec_lo, exec_lo, s28
	s_cbranch_execz .LBB2_2300
.LBB2_2296:                             ;   Parent Loop BB2_1213 Depth=1
                                        ; =>  This Inner Loop Header: Depth=2
	s_add_i32 s41, s41, 1
	s_cmpk_lg_i32 s41, 0x2710
	s_cselect_b32 s42, -1, 0
	s_and_b32 vcc_lo, exec_lo, s42
	s_cbranch_vccz .LBB2_2298
; %bb.2297:                             ;   in Loop: Header=BB2_2296 Depth=2
	s_mov_b32 s44, -1
	s_or_b32 s40, s40, exec_lo
	s_and_saveexec_b32 s43, s42
	s_cbranch_execz .LBB2_2295
	s_branch .LBB2_2299
	.p2align	6
.LBB2_2298:                             ;   in Loop: Header=BB2_2296 Depth=2
	s_trap 2
	ds_read_b64 v[10:11], v0
	s_andn2_b32 s42, s42, exec_lo
	s_mov_b32 s41, 0
	s_waitcnt lgkmcnt(0)
	flat_load_dword v10, v[10:11] glc dlc
	s_waitcnt vmcnt(0) lgkmcnt(0)
	buffer_gl1_inv
	buffer_gl0_inv
	v_cmp_eq_u32_e32 vcc_lo, 0, v10
	s_and_b32 s43, vcc_lo, exec_lo
	s_or_b32 s42, s42, s43
	s_mov_b32 s44, -1
	s_or_b32 s40, s40, exec_lo
	s_and_saveexec_b32 s43, s42
	s_cbranch_execz .LBB2_2295
.LBB2_2299:                             ;   in Loop: Header=BB2_2296 Depth=2
	s_sleep 1
	s_trap 2
	ds_read_b64 v[10:11], v0
	s_waitcnt lgkmcnt(0)
	buffer_gl0_inv
	s_andn2_b32 s40, s40, exec_lo
	v_cmp_ge_u64_e32 vcc_lo, v[10:11], v[28:29]
	s_orn2_b32 s44, vcc_lo, exec_lo
	s_branch .LBB2_2295
.LBB2_2300:                             ;   in Loop: Header=BB2_1213 Depth=1
	s_inst_prefetch 0x2
	s_or_b32 exec_lo, exec_lo, s28
	s_and_saveexec_b32 s28, s29
	s_xor_b32 s28, exec_lo, s28
	s_cbranch_execz .LBB2_2302
; %bb.2301:                             ;   in Loop: Header=BB2_1213 Depth=1
	ds_write_b32 v0, v84
	s_trap 2
.LBB2_2302:                             ;   in Loop: Header=BB2_1213 Depth=1
	s_or_b32 exec_lo, exec_lo, s27
	;;#ASMSTART
	s_wakeup
	;;#ASMEND
.LBB2_2303:                             ;   in Loop: Header=BB2_1213 Depth=1
	s_or_b32 exec_lo, exec_lo, s26
.LBB2_2304:                             ;   in Loop: Header=BB2_1213 Depth=1
	s_andn2_saveexec_b32 s25, s25
	s_cbranch_execz .LBB2_2306
; %bb.2305:                             ;   in Loop: Header=BB2_1213 Depth=1
	s_waitcnt vmcnt(0) lgkmcnt(0)
	s_waitcnt_vscnt null, 0x0
	buffer_gl1_inv
	buffer_gl0_inv
	s_barrier
.LBB2_2306:                             ;   in Loop: Header=BB2_1213 Depth=1
	s_or_b32 exec_lo, exec_lo, s25
.LBB2_2307:                             ;   in Loop: Header=BB2_1213 Depth=1
	s_or_b32 exec_lo, exec_lo, s13
	v_and_b32_e32 v10, 16, v69
	v_cmp_ne_u32_e32 vcc_lo, 0, v10
	s_and_b32 s13, vcc_lo, s12
	s_and_saveexec_b32 s12, s13
	s_cbranch_execz .LBB2_2309
; %bb.2308:                             ;   in Loop: Header=BB2_1213 Depth=1
	s_waitcnt vmcnt(0) lgkmcnt(0)
	s_waitcnt_vscnt null, 0x0
	buffer_gl1_inv
	buffer_gl0_inv
.LBB2_2309:                             ;   in Loop: Header=BB2_1213 Depth=1
	s_or_b32 exec_lo, exec_lo, s12
	v_and_b32_e32 v10, 32, v69
	s_mov_b32 s12, exec_lo
	v_cmpx_ne_u32_e32 0, v10
	s_cbranch_execz .LBB2_2311
; %bb.2310:                             ;   in Loop: Header=BB2_1213 Depth=1
	v_add_co_u32 v8, vcc_lo, v8, 1
	v_add_co_ci_u32_e64 v9, null, 0, v9, vcc_lo
	s_waitcnt vmcnt(0) lgkmcnt(0)
	s_waitcnt_vscnt null, 0x0
	flat_store_dwordx2 v[22:23], v[8:9]
.LBB2_2311:                             ;   in Loop: Header=BB2_1213 Depth=1
	s_or_b32 exec_lo, exec_lo, s12
	v_mov_b32_e32 v14, v39
.LBB2_2312:                             ;   in Loop: Header=BB2_1213 Depth=1
	s_or_b32 exec_lo, exec_lo, s24
	s_and_saveexec_b32 s13, s23
	s_cbranch_execz .LBB2_1212
; %bb.2313:                             ;   in Loop: Header=BB2_1213 Depth=1
	v_and_b32_e32 v10, 4, v69
	s_mov_b32 s23, exec_lo
	v_cmpx_ne_u32_e32 0, v10
	s_cbranch_execz .LBB2_2335
; %bb.2314:                             ;   in Loop: Header=BB2_1213 Depth=1
	s_waitcnt lgkmcnt(0)
	v_add_co_u32 v10, vcc_lo, v8, 1
	v_add_co_ci_u32_e64 v11, null, 0, v9, vcc_lo
	s_mov_b32 s24, exec_lo
	s_waitcnt vmcnt(0)
	v_cmpx_lt_u64_e64 v[26:27], v[10:11]
	s_cbranch_execz .LBB2_2326
; %bb.2315:                             ;   in Loop: Header=BB2_1213 Depth=1
	v_and_b32_e32 v9, 64, v69
	s_mov_b32 s25, 0
	s_mov_b32 s29, 0
                                        ; implicit-def: $sgpr26
                                        ; implicit-def: $sgpr27
                                        ; implicit-def: $sgpr28
	v_cmp_eq_u32_e32 vcc_lo, 0, v9
	s_branch .LBB2_2319
.LBB2_2316:                             ;   in Loop: Header=BB2_2319 Depth=2
	s_waitcnt vmcnt(0) lgkmcnt(0)
	v_cmp_ge_u64_e64 s12, v[26:27], v[10:11]
	s_or_b32 s42, s42, exec_lo
	s_orn2_b32 s41, s12, exec_lo
.LBB2_2317:                             ;   in Loop: Header=BB2_2319 Depth=2
	s_or_b32 exec_lo, exec_lo, s44
	s_andn2_b32 s12, s28, exec_lo
	s_and_b32 s28, s42, exec_lo
	s_andn2_b32 s27, s27, exec_lo
	s_and_b32 s41, s41, exec_lo
	s_or_b32 s28, s12, s28
	s_or_b32 s27, s27, s41
.LBB2_2318:                             ;   in Loop: Header=BB2_2319 Depth=2
	s_or_b32 exec_lo, exec_lo, s40
	s_and_b32 s12, exec_lo, s27
	s_or_b32 s25, s12, s25
	s_andn2_b32 s12, s26, exec_lo
	s_and_b32 s26, s28, exec_lo
	s_or_b32 s26, s12, s26
	s_andn2_b32 exec_lo, exec_lo, s25
	s_cbranch_execz .LBB2_2323
.LBB2_2319:                             ;   Parent Loop BB2_1213 Depth=1
                                        ; =>  This Inner Loop Header: Depth=2
	s_sleep 1
	s_waitcnt vmcnt(0) lgkmcnt(0)
	flat_load_dwordx2 v[26:27], v[22:23] glc dlc
	s_or_b32 s28, s28, exec_lo
	s_or_b32 s27, s27, exec_lo
                                        ; implicit-def: $vgpr9
	s_and_saveexec_b32 s40, vcc_lo
	s_cbranch_execz .LBB2_2318
; %bb.2320:                             ;   in Loop: Header=BB2_2319 Depth=2
	s_cmpk_lt_i32 s29, 0x270f
	s_mov_b32 s41, -1
	s_cselect_b32 s43, -1, 0
	s_cmpk_gt_i32 s29, 0x270e
	s_cbranch_scc0 .LBB2_2322
; %bb.2321:                             ;   in Loop: Header=BB2_2319 Depth=2
	s_trap 2
	ds_read_b64 v[12:13], v0
	s_andn2_b32 s29, s43, exec_lo
	s_mov_b32 s42, 0
	s_waitcnt vmcnt(0) lgkmcnt(0)
	s_waitcnt_vscnt null, 0x0
	flat_load_dword v9, v[12:13] glc dlc
	s_waitcnt vmcnt(0) lgkmcnt(0)
	buffer_gl1_inv
	buffer_gl0_inv
	v_cmp_eq_u32_e64 s12, 0, v9
	s_and_b32 s12, s12, exec_lo
	s_or_b32 s43, s29, s12
	s_mov_b32 s29, 0
	s_and_saveexec_b32 s44, s43
	s_cbranch_execz .LBB2_2317
	s_branch .LBB2_2316
.LBB2_2322:                             ;   in Loop: Header=BB2_2319 Depth=2
	s_add_i32 s29, s29, 1
	s_mov_b32 s42, -1
                                        ; implicit-def: $vgpr9
	s_and_saveexec_b32 s44, s43
	s_cbranch_execz .LBB2_2317
	s_branch .LBB2_2316
.LBB2_2323:                             ;   in Loop: Header=BB2_1213 Depth=1
	s_or_b32 exec_lo, exec_lo, s25
	s_xor_b32 s12, s26, -1
	s_and_saveexec_b32 s25, s12
	s_xor_b32 s12, exec_lo, s25
	s_cbranch_execz .LBB2_2325
; %bb.2324:                             ;   in Loop: Header=BB2_1213 Depth=1
	v_or_b32_e32 v69, 64, v69
	s_waitcnt vmcnt(0) lgkmcnt(0)
	s_waitcnt_vscnt null, 0x0
	ds_write_b32 v0, v9
	s_trap 2
.LBB2_2325:                             ;   in Loop: Header=BB2_1213 Depth=1
	s_or_b32 exec_lo, exec_lo, s12
.LBB2_2326:                             ;   in Loop: Header=BB2_1213 Depth=1
	s_or_b32 exec_lo, exec_lo, s24
	v_and_b32_e32 v9, 0x100, v69
	v_and_b32_e32 v15, 7, v8
	s_mov_b32 s12, -1
	;;#ASMSTART
	s_wakeup
	;;#ASMEND
	v_cmp_ne_u32_e32 vcc_lo, 0, v9
                                        ; implicit-def: $vgpr8_vgpr9
	s_and_saveexec_b32 s24, vcc_lo
	s_cbranch_execz .LBB2_2330
; %bb.2327:                             ;   in Loop: Header=BB2_1213 Depth=1
	v_mad_u64_u32 v[12:13], null, v15, 24, v[6:7]
	flat_load_dword v8, v[12:13]
	s_waitcnt vmcnt(0) lgkmcnt(0)
	v_cmp_eq_u32_e64 s12, 1, v8
	v_cmp_ne_u32_e32 vcc_lo, 1, v8
                                        ; implicit-def: $vgpr8_vgpr9
	s_and_saveexec_b32 s25, s12
	s_cbranch_execz .LBB2_2329
; %bb.2328:                             ;   in Loop: Header=BB2_1213 Depth=1
	flat_load_dword v8, v[12:13] offset:4 glc dlc
	s_waitcnt vmcnt(0) lgkmcnt(0)
	v_ashrrev_i32_e32 v9, 31, v8
.LBB2_2329:                             ;   in Loop: Header=BB2_1213 Depth=1
	s_or_b32 exec_lo, exec_lo, s25
	s_orn2_b32 s12, vcc_lo, exec_lo
.LBB2_2330:                             ;   in Loop: Header=BB2_1213 Depth=1
	s_or_b32 exec_lo, exec_lo, s24
	s_and_saveexec_b32 s24, s12
; %bb.2331:                             ;   in Loop: Header=BB2_1213 Depth=1
	v_mad_i64_i32 v[8:9], null, v15, v70, 0
; %bb.2332:                             ;   in Loop: Header=BB2_1213 Depth=1
	s_or_b32 exec_lo, exec_lo, s24
	v_add_co_u32 v8, vcc_lo, v24, v8
	v_and_b32_e32 v12, 0x2000, v69
	v_add_co_ci_u32_e64 v9, null, v25, v9, vcc_lo
	s_mov_b32 s12, exec_lo
	ds_write_b64 v0, v[8:9] offset:728
	v_cmpx_ne_u32_e32 0, v12
	s_cbranch_execz .LBB2_2334
; %bb.2333:                             ;   in Loop: Header=BB2_1213 Depth=1
	ds_read_b64 v[8:9], v0 offset:872
	s_waitcnt lgkmcnt(0)
	v_add_co_u32 v8, vcc_lo, v8, 1
	v_add_co_ci_u32_e64 v9, null, 0, v9, vcc_lo
	ds_write_b64 v0, v[8:9] offset:872
.LBB2_2334:                             ;   in Loop: Header=BB2_1213 Depth=1
	s_or_b32 exec_lo, exec_lo, s12
	v_mov_b32_e32 v8, v10
	v_mov_b32_e32 v9, v11
.LBB2_2335:                             ;   in Loop: Header=BB2_1213 Depth=1
	s_or_b32 exec_lo, exec_lo, s23
	s_and_saveexec_b32 s12, s6
	s_cbranch_execz .LBB2_2354
; %bb.2336:                             ;   in Loop: Header=BB2_1213 Depth=1
	s_and_saveexec_b32 s23, s19
	s_xor_b32 s23, exec_lo, s23
	s_cbranch_execz .LBB2_2351
; %bb.2337:                             ;   in Loop: Header=BB2_1213 Depth=1
	s_and_saveexec_b32 s24, s7
	s_cbranch_execz .LBB2_2350
; %bb.2338:                             ;   in Loop: Header=BB2_1213 Depth=1
	s_mov_b32 s26, exec_lo
	s_mov_b32 s25, exec_lo
	v_mbcnt_lo_u32_b32 v10, s26, 0
	s_waitcnt vmcnt(0) lgkmcnt(0)
	s_waitcnt_vscnt null, 0x0
	buffer_gl1_inv
	buffer_gl0_inv
	v_cmpx_eq_u32_e32 0, v10
	s_cbranch_execz .LBB2_2340
; %bb.2339:                             ;   in Loop: Header=BB2_1213 Depth=1
	s_bcnt1_i32_b32 s26, s26
	v_mov_b32_e32 v34, s26
	ds_add_u64 v0, v[34:35]
	s_trap 2
.LBB2_2340:                             ;   in Loop: Header=BB2_1213 Depth=1
	s_or_b32 exec_lo, exec_lo, s25
	s_trap 2
	ds_read_b64 v[10:11], v0
	s_waitcnt lgkmcnt(0)
	buffer_gl0_inv
	v_add_co_u32 v28, vcc_lo, v28, v30
	v_add_co_ci_u32_e64 v29, null, 0, v29, vcc_lo
	s_mov_b32 s25, exec_lo
	v_cmpx_lt_u64_e64 v[10:11], v[28:29]
	s_cbranch_execz .LBB2_2349
; %bb.2341:                             ;   in Loop: Header=BB2_1213 Depth=1
	s_mov_b32 s26, 0
	s_mov_b32 s29, 0
                                        ; implicit-def: $sgpr27
                                        ; implicit-def: $sgpr28
	s_inst_prefetch 0x1
	s_branch .LBB2_2343
	.p2align	6
.LBB2_2342:                             ;   in Loop: Header=BB2_2343 Depth=2
	s_or_b32 exec_lo, exec_lo, s41
	s_and_b32 s40, exec_lo, s42
	s_or_b32 s26, s40, s26
	s_andn2_b32 s27, s27, exec_lo
	s_and_b32 s40, s28, exec_lo
	s_or_b32 s27, s27, s40
	s_andn2_b32 exec_lo, exec_lo, s26
	s_cbranch_execz .LBB2_2347
.LBB2_2343:                             ;   Parent Loop BB2_1213 Depth=1
                                        ; =>  This Inner Loop Header: Depth=2
	s_add_i32 s29, s29, 1
	s_cmpk_lg_i32 s29, 0x2710
	s_cselect_b32 s40, -1, 0
	s_and_b32 vcc_lo, exec_lo, s40
	s_cbranch_vccz .LBB2_2345
; %bb.2344:                             ;   in Loop: Header=BB2_2343 Depth=2
	s_mov_b32 s42, -1
	s_or_b32 s28, s28, exec_lo
	s_and_saveexec_b32 s41, s40
	s_cbranch_execz .LBB2_2342
	s_branch .LBB2_2346
	.p2align	6
.LBB2_2345:                             ;   in Loop: Header=BB2_2343 Depth=2
	s_trap 2
	ds_read_b64 v[10:11], v0
	s_andn2_b32 s40, s40, exec_lo
	s_mov_b32 s29, 0
	s_waitcnt lgkmcnt(0)
	flat_load_dword v10, v[10:11] glc dlc
	s_waitcnt vmcnt(0) lgkmcnt(0)
	buffer_gl1_inv
	buffer_gl0_inv
	v_cmp_eq_u32_e32 vcc_lo, 0, v10
	s_and_b32 s41, vcc_lo, exec_lo
	s_or_b32 s40, s40, s41
	s_mov_b32 s42, -1
	s_or_b32 s28, s28, exec_lo
	s_and_saveexec_b32 s41, s40
	s_cbranch_execz .LBB2_2342
.LBB2_2346:                             ;   in Loop: Header=BB2_2343 Depth=2
	s_sleep 1
	s_trap 2
	ds_read_b64 v[10:11], v0
	s_waitcnt lgkmcnt(0)
	buffer_gl0_inv
	s_andn2_b32 s28, s28, exec_lo
	v_cmp_ge_u64_e32 vcc_lo, v[10:11], v[28:29]
	s_orn2_b32 s42, vcc_lo, exec_lo
	s_branch .LBB2_2342
.LBB2_2347:                             ;   in Loop: Header=BB2_1213 Depth=1
	s_inst_prefetch 0x2
	s_or_b32 exec_lo, exec_lo, s26
	s_and_saveexec_b32 s26, s27
	s_xor_b32 s26, exec_lo, s26
	s_cbranch_execz .LBB2_2349
; %bb.2348:                             ;   in Loop: Header=BB2_1213 Depth=1
	ds_write_b32 v0, v84
	s_trap 2
.LBB2_2349:                             ;   in Loop: Header=BB2_1213 Depth=1
	s_or_b32 exec_lo, exec_lo, s25
	;;#ASMSTART
	s_wakeup
	;;#ASMEND
.LBB2_2350:                             ;   in Loop: Header=BB2_1213 Depth=1
	s_or_b32 exec_lo, exec_lo, s24
.LBB2_2351:                             ;   in Loop: Header=BB2_1213 Depth=1
	s_andn2_saveexec_b32 s23, s23
	s_cbranch_execz .LBB2_2353
; %bb.2352:                             ;   in Loop: Header=BB2_1213 Depth=1
	s_waitcnt vmcnt(0) lgkmcnt(0)
	s_waitcnt_vscnt null, 0x0
	buffer_gl1_inv
	buffer_gl0_inv
	s_barrier
.LBB2_2353:                             ;   in Loop: Header=BB2_1213 Depth=1
	s_or_b32 exec_lo, exec_lo, s23
.LBB2_2354:                             ;   in Loop: Header=BB2_1213 Depth=1
	s_or_b32 exec_lo, exec_lo, s12
	s_trap 2
	ds_read_b32 v10, v0
	v_sub_nc_u32_e32 v11, v38, v14
	v_min_i32_e32 v11, v39, v11
	v_cmp_lt_i32_e32 vcc_lo, 0, v11
	s_waitcnt lgkmcnt(0)
	v_readfirstlane_b32 s12, v10
	v_and_b32_e32 v10, 16, v69
	s_cmp_eq_u32 s12, 0
	v_cmp_ne_u32_e64 s12, 0, v10
	s_cselect_b32 s23, -1, 0
	s_and_b32 s23, vcc_lo, s23
	s_and_b32 s23, s12, s23
	s_and_saveexec_b32 s12, s23
	s_cbranch_execz .LBB2_2356
; %bb.2355:                             ;   in Loop: Header=BB2_1213 Depth=1
	s_waitcnt vmcnt(0)
	s_waitcnt_vscnt null, 0x0
	buffer_gl1_inv
	buffer_gl0_inv
.LBB2_2356:                             ;   in Loop: Header=BB2_1213 Depth=1
	s_or_b32 exec_lo, exec_lo, s12
	v_and_b32_e32 v10, 32, v69
	s_mov_b32 s12, exec_lo
	v_cmpx_ne_u32_e32 0, v10
	s_cbranch_execz .LBB2_1211
; %bb.2357:                             ;   in Loop: Header=BB2_1213 Depth=1
	v_add_co_u32 v8, vcc_lo, v8, 1
	v_add_co_ci_u32_e64 v9, null, 0, v9, vcc_lo
	s_waitcnt vmcnt(0)
	s_waitcnt_vscnt null, 0x0
	flat_store_dwordx2 v[22:23], v[8:9]
	s_branch .LBB2_1211
.LBB2_2358:
	s_or_b32 exec_lo, exec_lo, s20
.LBB2_2359:
	s_or_b32 exec_lo, exec_lo, s18
.LBB2_2360:
	s_or_b32 exec_lo, exec_lo, s14
                                        ; implicit-def: $vgpr18_vgpr19
                                        ; implicit-def: $vgpr4_vgpr5
                                        ; implicit-def: $vgpr34_vgpr35
                                        ; implicit-def: $vgpr70
                                        ; implicit-def: $vgpr26_vgpr27
                                        ; implicit-def: $vgpr24_vgpr25
                                        ; implicit-def: $vgpr22_vgpr23
                                        ; implicit-def: $vgpr0
                                        ; implicit-def: $vgpr38
                                        ; implicit-def: $vgpr32
.LBB2_2361:
	s_andn2_saveexec_b32 s17, s17
	s_cbranch_execz .LBB2_2535
; %bb.2362:
	s_waitcnt vmcnt(1)
	v_mov_b32_e32 v28, 0
	v_mov_b32_e32 v29, 0
	s_mov_b32 s18, exec_lo
	v_cmpx_ne_u64_e32 0, v[4:5]
	s_cbranch_execz .LBB2_2534
; %bb.2363:
	v_ashrrev_i32_e32 v10, 31, v0
	v_and_b32_e32 v14, 31, v31
	s_ashr_i32 s10, s16, 31
	v_lshrrev_b32_e32 v30, 5, v1
	s_lshr_b32 s10, s10, 24
	v_lshrrev_b32_e32 v10, 27, v10
	s_add_i32 s16, s16, s10
	v_cmp_eq_u32_e64 s10, 0, v14
	v_cmp_eq_u32_e32 vcc_lo, 32, v1
	v_mov_b32_e32 v12, 0
	v_add_nc_u32_e32 v10, v0, v10
	s_waitcnt lgkmcnt(1)
	v_cmp_ne_u64_e64 s7, 0, v[34:35]
	v_mov_b32_e32 v28, 0
	v_cmp_ge_i32_e64 s5, v0, v1
	v_cmp_ne_u32_e64 s6, 32, v1
	v_and_b32_e32 v15, 0xffffffe0, v10
	v_ashrrev_i32_e32 v51, 5, v10
	s_waitcnt vmcnt(0)
	v_cmp_ne_u32_sdwa s19, v1, v68 src0_sel:DWORD src1_sel:WORD_0
	v_mov_b32_e32 v11, 0
	v_and_b32_e32 v50, 0x1fe0, v1
	v_sub_nc_u32_e32 v52, v0, v15
	v_lshlrev_b32_e32 v10, 10, v51
	v_mov_b32_e32 v13, 0
	v_mov_b32_e32 v29, 0
	v_lshlrev_b32_e32 v53, 10, v30
	v_lshlrev_b32_e32 v54, 9, v30
	v_lshl_add_u32 v14, v52, 4, v10
	v_lshlrev_b32_e32 v55, 8, v30
	v_cmp_gt_i32_e64 s11, 1, v52
	v_cmp_lt_i32_e64 s12, v52, v38
	v_mov_b32_e32 v64, 1
	v_ashrrev_i32_e32 v15, 31, v14
	s_ashr_i32 s20, s16, 8
	s_mov_b32 s16, 0
	s_xor_b32 s21, vcc_lo, -1
	s_trap 2
	s_branch .LBB2_2367
.LBB2_2364:                             ;   in Loop: Header=BB2_2367 Depth=1
	s_or_b32 exec_lo, exec_lo, s22
	v_add_co_u32 v8, vcc_lo, v8, 1
	v_add_co_ci_u32_e64 v9, null, 0, v9, vcc_lo
	s_waitcnt vmcnt(0) lgkmcnt(0)
	s_waitcnt_vscnt null, 0x0
	flat_store_dwordx2 v[22:23], v[8:9]
.LBB2_2365:                             ;   in Loop: Header=BB2_2367 Depth=1
	s_or_b32 exec_lo, exec_lo, s13
.LBB2_2366:                             ;   in Loop: Header=BB2_2367 Depth=1
	s_or_b32 exec_lo, exec_lo, s14
	v_add_co_u32 v12, vcc_lo, v12, v32
	v_add_co_ci_u32_e64 v13, null, 0, v13, vcc_lo
	v_cmp_ge_u64_e32 vcc_lo, v[12:13], v[4:5]
	s_or_b32 s16, vcc_lo, s16
	s_andn2_b32 exec_lo, exec_lo, s16
	s_cbranch_execz .LBB2_2533
.LBB2_2367:                             ; =>This Loop Header: Depth=1
                                        ;     Child Loop BB2_2376 Depth 2
                                        ;     Child Loop BB2_2400 Depth 2
	;; [unrolled: 1-line block ×10, first 2 shown]
	v_sub_co_u32 v16, vcc_lo, v4, v12
	v_sub_co_ci_u32_e64 v17, null, v5, v13, vcc_lo
	v_cmp_lt_u64_e32 vcc_lo, v[32:33], v[16:17]
	v_cndmask_b32_e32 v16, v16, v32, vcc_lo
	v_cndmask_b32_e64 v17, v17, 0, vcc_lo
	v_add_nc_u32_e32 v10, 15, v16
	v_cmp_eq_u64_e32 vcc_lo, 0, v[16:17]
	v_mov_b32_e32 v17, 0
	v_and_b32_e32 v10, 0x7ffffff0, v10
	s_or_b32 s22, s5, vcc_lo
	s_xor_b32 s13, s22, -1
	v_max_i32_e32 v10, s20, v10
	s_and_saveexec_b32 s23, s13
	s_cbranch_execz .LBB2_2486
; %bb.2368:                             ;   in Loop: Header=BB2_2367 Depth=1
	s_and_saveexec_b32 s13, s4
	s_cbranch_execz .LBB2_2370
; %bb.2369:                             ;   in Loop: Header=BB2_2367 Depth=1
	s_trap 2
	ds_read_b64 v[36:37], v0
	s_waitcnt lgkmcnt(0)
	v_add_co_u32 v17, vcc_lo, v36, v18
	v_add_co_ci_u32_e64 v37, null, v37, v19, vcc_lo
	v_mov_b32_e32 v36, v11
	v_add_co_u32 v38, vcc_lo, v17, v12
	v_add_co_ci_u32_e64 v39, null, v37, v13, vcc_lo
	v_mov_b32_e32 v37, v11
	ds_write_b64 v0, v[38:39]
	ds_write_b64 v0, v[36:37]
.LBB2_2370:                             ;   in Loop: Header=BB2_2367 Depth=1
	s_or_b32 exec_lo, exec_lo, s13
	v_and_b32_e32 v17, 8, v69
	v_min_u32_e32 v10, v10, v16
	s_mov_b32 s14, exec_lo
	v_cmpx_ne_u32_e32 0, v17
	s_cbranch_execz .LBB2_2392
; %bb.2371:                             ;   in Loop: Header=BB2_2367 Depth=1
	s_waitcnt vmcnt(0)
	v_add_co_u32 v38, vcc_lo, v26, 8
	v_add_co_ci_u32_e64 v39, null, 0, v27, vcc_lo
	s_waitcnt lgkmcnt(0)
	v_add_co_u32 v36, vcc_lo, v8, 1
	v_add_co_ci_u32_e64 v37, null, 0, v9, vcc_lo
	s_mov_b32 s24, exec_lo
	v_cmpx_lt_u64_e64 v[38:39], v[36:37]
	s_cbranch_execz .LBB2_2383
; %bb.2372:                             ;   in Loop: Header=BB2_2367 Depth=1
	v_and_b32_e32 v9, 64, v69
	s_mov_b32 s25, 0
	s_mov_b32 s29, 0
                                        ; implicit-def: $sgpr26
                                        ; implicit-def: $sgpr27
                                        ; implicit-def: $sgpr28
	v_cmp_eq_u32_e32 vcc_lo, 0, v9
	s_branch .LBB2_2376
.LBB2_2373:                             ;   in Loop: Header=BB2_2376 Depth=2
	s_waitcnt vmcnt(0) lgkmcnt(0)
	v_add_co_u32 v38, s13, v26, 8
	v_add_co_ci_u32_e64 v39, null, 0, v27, s13
	s_or_b32 s42, s42, exec_lo
	v_cmp_ge_u64_e64 s13, v[38:39], v[36:37]
	s_orn2_b32 s41, s13, exec_lo
.LBB2_2374:                             ;   in Loop: Header=BB2_2376 Depth=2
	s_or_b32 exec_lo, exec_lo, s44
	s_andn2_b32 s13, s28, exec_lo
	s_and_b32 s28, s42, exec_lo
	s_andn2_b32 s27, s27, exec_lo
	s_and_b32 s41, s41, exec_lo
	s_or_b32 s28, s13, s28
	s_or_b32 s27, s27, s41
.LBB2_2375:                             ;   in Loop: Header=BB2_2376 Depth=2
	s_or_b32 exec_lo, exec_lo, s40
	s_and_b32 s13, exec_lo, s27
	s_or_b32 s25, s13, s25
	s_andn2_b32 s13, s26, exec_lo
	s_and_b32 s26, s28, exec_lo
	s_or_b32 s26, s13, s26
	s_andn2_b32 exec_lo, exec_lo, s25
	s_cbranch_execz .LBB2_2380
.LBB2_2376:                             ;   Parent Loop BB2_2367 Depth=1
                                        ; =>  This Inner Loop Header: Depth=2
	s_sleep 1
	s_waitcnt vmcnt(0) lgkmcnt(0)
	flat_load_dwordx2 v[26:27], v[22:23] glc dlc
	s_or_b32 s28, s28, exec_lo
	s_or_b32 s27, s27, exec_lo
                                        ; implicit-def: $vgpr9
	s_and_saveexec_b32 s40, vcc_lo
	s_cbranch_execz .LBB2_2375
; %bb.2377:                             ;   in Loop: Header=BB2_2376 Depth=2
	s_cmpk_lt_i32 s29, 0x270f
	s_mov_b32 s41, -1
	s_cselect_b32 s43, -1, 0
	s_cmpk_gt_i32 s29, 0x270e
	s_cbranch_scc0 .LBB2_2379
; %bb.2378:                             ;   in Loop: Header=BB2_2376 Depth=2
	s_trap 2
	ds_read_b64 v[38:39], v0
	s_andn2_b32 s29, s43, exec_lo
	s_mov_b32 s42, 0
	s_waitcnt vmcnt(0) lgkmcnt(0)
	s_waitcnt_vscnt null, 0x0
	flat_load_dword v9, v[38:39] glc dlc
	s_waitcnt vmcnt(0) lgkmcnt(0)
	buffer_gl1_inv
	buffer_gl0_inv
	v_cmp_eq_u32_e64 s13, 0, v9
	s_and_b32 s13, s13, exec_lo
	s_or_b32 s43, s29, s13
	s_mov_b32 s29, 0
	s_and_saveexec_b32 s44, s43
	s_cbranch_execz .LBB2_2374
	s_branch .LBB2_2373
.LBB2_2379:                             ;   in Loop: Header=BB2_2376 Depth=2
	s_add_i32 s29, s29, 1
	s_mov_b32 s42, -1
                                        ; implicit-def: $vgpr9
	s_and_saveexec_b32 s44, s43
	s_cbranch_execz .LBB2_2374
	s_branch .LBB2_2373
.LBB2_2380:                             ;   in Loop: Header=BB2_2367 Depth=1
	s_or_b32 exec_lo, exec_lo, s25
	s_xor_b32 s13, s26, -1
	s_and_saveexec_b32 s25, s13
	s_xor_b32 s13, exec_lo, s25
	s_cbranch_execz .LBB2_2382
; %bb.2381:                             ;   in Loop: Header=BB2_2367 Depth=1
	v_or_b32_e32 v69, 64, v69
	s_waitcnt vmcnt(0) lgkmcnt(0)
	s_waitcnt_vscnt null, 0x0
	ds_write_b32 v0, v9
	s_trap 2
.LBB2_2382:                             ;   in Loop: Header=BB2_2367 Depth=1
	s_or_b32 exec_lo, exec_lo, s13
.LBB2_2383:                             ;   in Loop: Header=BB2_2367 Depth=1
	s_or_b32 exec_lo, exec_lo, s24
	v_and_b32_e32 v9, 0x100, v69
	v_and_b32_e32 v17, 7, v8
	s_mov_b32 s13, -1
	;;#ASMSTART
	s_wakeup
	;;#ASMEND
	v_cmp_ne_u32_e32 vcc_lo, 0, v9
                                        ; implicit-def: $vgpr8_vgpr9
	s_and_saveexec_b32 s24, vcc_lo
	s_cbranch_execz .LBB2_2387
; %bb.2384:                             ;   in Loop: Header=BB2_2367 Depth=1
	v_mad_u64_u32 v[38:39], null, v17, 24, v[6:7]
	flat_load_dword v8, v[38:39]
	flat_store_dwordx2 v[38:39], v[10:11] offset:8
	s_waitcnt vmcnt(0) lgkmcnt(1)
	v_cmp_eq_u32_e64 s13, 1, v8
	v_cmp_ne_u32_e32 vcc_lo, 1, v8
                                        ; implicit-def: $vgpr8_vgpr9
	s_and_saveexec_b32 s25, s13
	s_cbranch_execz .LBB2_2386
; %bb.2385:                             ;   in Loop: Header=BB2_2367 Depth=1
	flat_load_dword v8, v[38:39] offset:4 glc dlc
	s_waitcnt vmcnt(0) lgkmcnt(0)
	v_ashrrev_i32_e32 v9, 31, v8
.LBB2_2386:                             ;   in Loop: Header=BB2_2367 Depth=1
	s_or_b32 exec_lo, exec_lo, s25
	s_orn2_b32 s13, vcc_lo, exec_lo
.LBB2_2387:                             ;   in Loop: Header=BB2_2367 Depth=1
	s_or_b32 exec_lo, exec_lo, s24
	s_and_saveexec_b32 s24, s13
; %bb.2388:                             ;   in Loop: Header=BB2_2367 Depth=1
	v_mad_i64_i32 v[8:9], null, v17, v70, 0
; %bb.2389:                             ;   in Loop: Header=BB2_2367 Depth=1
	s_or_b32 exec_lo, exec_lo, s24
	v_add_co_u32 v8, vcc_lo, v24, v8
	v_and_b32_e32 v17, 0x2000, v69
	v_add_co_ci_u32_e64 v9, null, v25, v9, vcc_lo
	s_mov_b32 s13, exec_lo
	ds_write_b64 v0, v[8:9] offset:784
	v_cmpx_ne_u32_e32 0, v17
	s_cbranch_execz .LBB2_2391
; %bb.2390:                             ;   in Loop: Header=BB2_2367 Depth=1
	ds_read_b64 v[8:9], v0 offset:872
	s_waitcnt lgkmcnt(0)
	v_add_co_u32 v8, vcc_lo, v8, 1
	v_add_co_ci_u32_e64 v9, null, 0, v9, vcc_lo
	ds_write_b64 v0, v[8:9] offset:872
.LBB2_2391:                             ;   in Loop: Header=BB2_2367 Depth=1
	s_or_b32 exec_lo, exec_lo, s13
	v_mov_b32_e32 v8, v36
	v_mov_b32_e32 v9, v37
.LBB2_2392:                             ;   in Loop: Header=BB2_2367 Depth=1
	s_or_b32 exec_lo, exec_lo, s14
	s_and_saveexec_b32 s13, s6
	s_cbranch_execz .LBB2_2411
; %bb.2393:                             ;   in Loop: Header=BB2_2367 Depth=1
	s_and_saveexec_b32 s14, s19
	s_xor_b32 s14, exec_lo, s14
	s_cbranch_execz .LBB2_2408
; %bb.2394:                             ;   in Loop: Header=BB2_2367 Depth=1
	s_and_saveexec_b32 s24, s10
	s_cbranch_execz .LBB2_2407
; %bb.2395:                             ;   in Loop: Header=BB2_2367 Depth=1
	s_mov_b32 s26, exec_lo
	s_mov_b32 s25, exec_lo
	v_mbcnt_lo_u32_b32 v17, s26, 0
	s_waitcnt vmcnt(0) lgkmcnt(0)
	s_waitcnt_vscnt null, 0x0
	buffer_gl1_inv
	buffer_gl0_inv
	v_cmpx_eq_u32_e32 0, v17
	s_cbranch_execz .LBB2_2397
; %bb.2396:                             ;   in Loop: Header=BB2_2367 Depth=1
	s_bcnt1_i32_b32 s26, s26
	v_mov_b32_e32 v37, v11
	v_mov_b32_e32 v36, s26
	ds_add_u64 v0, v[36:37]
	s_trap 2
.LBB2_2397:                             ;   in Loop: Header=BB2_2367 Depth=1
	s_or_b32 exec_lo, exec_lo, s25
	s_trap 2
	ds_read_b64 v[36:37], v0
	s_waitcnt lgkmcnt(0)
	buffer_gl0_inv
	v_add_co_u32 v28, vcc_lo, v28, v30
	v_add_co_ci_u32_e64 v29, null, 0, v29, vcc_lo
	s_mov_b32 s25, exec_lo
	v_cmpx_lt_u64_e64 v[36:37], v[28:29]
	s_cbranch_execz .LBB2_2406
; %bb.2398:                             ;   in Loop: Header=BB2_2367 Depth=1
	s_mov_b32 s26, 0
	s_mov_b32 s29, 0
                                        ; implicit-def: $sgpr27
                                        ; implicit-def: $sgpr28
	s_inst_prefetch 0x1
	s_branch .LBB2_2400
	.p2align	6
.LBB2_2399:                             ;   in Loop: Header=BB2_2400 Depth=2
	s_or_b32 exec_lo, exec_lo, s41
	s_and_b32 s40, exec_lo, s42
	s_or_b32 s26, s40, s26
	s_andn2_b32 s27, s27, exec_lo
	s_and_b32 s40, s28, exec_lo
	s_or_b32 s27, s27, s40
	s_andn2_b32 exec_lo, exec_lo, s26
	s_cbranch_execz .LBB2_2404
.LBB2_2400:                             ;   Parent Loop BB2_2367 Depth=1
                                        ; =>  This Inner Loop Header: Depth=2
	s_add_i32 s29, s29, 1
	s_cmpk_lg_i32 s29, 0x2710
	s_cselect_b32 s40, -1, 0
	s_and_b32 vcc_lo, exec_lo, s40
	s_cbranch_vccz .LBB2_2402
; %bb.2401:                             ;   in Loop: Header=BB2_2400 Depth=2
	s_mov_b32 s42, -1
	s_or_b32 s28, s28, exec_lo
	s_and_saveexec_b32 s41, s40
	s_cbranch_execz .LBB2_2399
	s_branch .LBB2_2403
	.p2align	6
.LBB2_2402:                             ;   in Loop: Header=BB2_2400 Depth=2
	s_trap 2
	ds_read_b64 v[36:37], v0
	s_andn2_b32 s40, s40, exec_lo
	s_mov_b32 s29, 0
	s_waitcnt lgkmcnt(0)
	flat_load_dword v17, v[36:37] glc dlc
	s_waitcnt vmcnt(0) lgkmcnt(0)
	buffer_gl1_inv
	buffer_gl0_inv
	v_cmp_eq_u32_e32 vcc_lo, 0, v17
	s_and_b32 s41, vcc_lo, exec_lo
	s_or_b32 s40, s40, s41
	s_mov_b32 s42, -1
	s_or_b32 s28, s28, exec_lo
	s_and_saveexec_b32 s41, s40
	s_cbranch_execz .LBB2_2399
.LBB2_2403:                             ;   in Loop: Header=BB2_2400 Depth=2
	s_sleep 1
	s_trap 2
	ds_read_b64 v[36:37], v0
	s_waitcnt lgkmcnt(0)
	buffer_gl0_inv
	s_andn2_b32 s28, s28, exec_lo
	v_cmp_ge_u64_e32 vcc_lo, v[36:37], v[28:29]
	s_orn2_b32 s42, vcc_lo, exec_lo
	s_branch .LBB2_2399
.LBB2_2404:                             ;   in Loop: Header=BB2_2367 Depth=1
	s_inst_prefetch 0x2
	s_or_b32 exec_lo, exec_lo, s26
	s_and_saveexec_b32 s26, s27
	s_xor_b32 s26, exec_lo, s26
	s_cbranch_execz .LBB2_2406
; %bb.2405:                             ;   in Loop: Header=BB2_2367 Depth=1
	ds_write_b32 v0, v64
	s_trap 2
.LBB2_2406:                             ;   in Loop: Header=BB2_2367 Depth=1
	s_or_b32 exec_lo, exec_lo, s25
	;;#ASMSTART
	s_wakeup
	;;#ASMEND
.LBB2_2407:                             ;   in Loop: Header=BB2_2367 Depth=1
	s_or_b32 exec_lo, exec_lo, s24
.LBB2_2408:                             ;   in Loop: Header=BB2_2367 Depth=1
	s_andn2_saveexec_b32 s14, s14
	s_cbranch_execz .LBB2_2410
; %bb.2409:                             ;   in Loop: Header=BB2_2367 Depth=1
	s_waitcnt vmcnt(0) lgkmcnt(0)
	s_waitcnt_vscnt null, 0x0
	buffer_gl1_inv
	buffer_gl0_inv
	s_barrier
.LBB2_2410:                             ;   in Loop: Header=BB2_2367 Depth=1
	s_or_b32 exec_lo, exec_lo, s14
.LBB2_2411:                             ;   in Loop: Header=BB2_2367 Depth=1
	s_or_b32 exec_lo, exec_lo, s13
	s_trap 2
	ds_read_b32 v17, v0
	v_and_b32_e32 v36, 0x4000, v69
	v_cmp_ne_u32_e32 vcc_lo, 0, v36
	s_and_b32 s14, s21, vcc_lo
	s_and_saveexec_b32 s13, s14
	s_cbranch_execz .LBB2_2430
; %bb.2412:                             ;   in Loop: Header=BB2_2367 Depth=1
	s_and_saveexec_b32 s14, s19
	s_xor_b32 s14, exec_lo, s14
	s_cbranch_execz .LBB2_2427
; %bb.2413:                             ;   in Loop: Header=BB2_2367 Depth=1
	s_and_saveexec_b32 s24, s10
	s_cbranch_execz .LBB2_2426
; %bb.2414:                             ;   in Loop: Header=BB2_2367 Depth=1
	s_mov_b32 s26, exec_lo
	s_mov_b32 s25, exec_lo
	v_mbcnt_lo_u32_b32 v36, s26, 0
	s_waitcnt vmcnt(0) lgkmcnt(0)
	s_waitcnt_vscnt null, 0x0
	buffer_gl1_inv
	buffer_gl0_inv
	v_cmpx_eq_u32_e32 0, v36
	s_cbranch_execz .LBB2_2416
; %bb.2415:                             ;   in Loop: Header=BB2_2367 Depth=1
	s_bcnt1_i32_b32 s26, s26
	v_mov_b32_e32 v37, v11
	v_mov_b32_e32 v36, s26
	ds_add_u64 v0, v[36:37]
	s_trap 2
.LBB2_2416:                             ;   in Loop: Header=BB2_2367 Depth=1
	s_or_b32 exec_lo, exec_lo, s25
	s_trap 2
	ds_read_b64 v[36:37], v0
	s_waitcnt lgkmcnt(0)
	buffer_gl0_inv
	v_add_co_u32 v28, vcc_lo, v28, v30
	v_add_co_ci_u32_e64 v29, null, 0, v29, vcc_lo
	s_mov_b32 s25, exec_lo
	v_cmpx_lt_u64_e64 v[36:37], v[28:29]
	s_cbranch_execz .LBB2_2425
; %bb.2417:                             ;   in Loop: Header=BB2_2367 Depth=1
	s_mov_b32 s26, 0
	s_mov_b32 s29, 0
                                        ; implicit-def: $sgpr27
                                        ; implicit-def: $sgpr28
	s_inst_prefetch 0x1
	s_branch .LBB2_2419
	.p2align	6
.LBB2_2418:                             ;   in Loop: Header=BB2_2419 Depth=2
	s_or_b32 exec_lo, exec_lo, s41
	s_and_b32 s40, exec_lo, s42
	s_or_b32 s26, s40, s26
	s_andn2_b32 s27, s27, exec_lo
	s_and_b32 s40, s28, exec_lo
	s_or_b32 s27, s27, s40
	s_andn2_b32 exec_lo, exec_lo, s26
	s_cbranch_execz .LBB2_2423
.LBB2_2419:                             ;   Parent Loop BB2_2367 Depth=1
                                        ; =>  This Inner Loop Header: Depth=2
	s_add_i32 s29, s29, 1
	s_cmpk_lg_i32 s29, 0x2710
	s_cselect_b32 s40, -1, 0
	s_and_b32 vcc_lo, exec_lo, s40
	s_cbranch_vccz .LBB2_2421
; %bb.2420:                             ;   in Loop: Header=BB2_2419 Depth=2
	s_mov_b32 s42, -1
	s_or_b32 s28, s28, exec_lo
	s_and_saveexec_b32 s41, s40
	s_cbranch_execz .LBB2_2418
	s_branch .LBB2_2422
	.p2align	6
.LBB2_2421:                             ;   in Loop: Header=BB2_2419 Depth=2
	s_trap 2
	ds_read_b64 v[36:37], v0
	s_andn2_b32 s40, s40, exec_lo
	s_mov_b32 s29, 0
	s_waitcnt lgkmcnt(0)
	flat_load_dword v36, v[36:37] glc dlc
	s_waitcnt vmcnt(0) lgkmcnt(0)
	buffer_gl1_inv
	buffer_gl0_inv
	v_cmp_eq_u32_e32 vcc_lo, 0, v36
	s_and_b32 s41, vcc_lo, exec_lo
	s_or_b32 s40, s40, s41
	s_mov_b32 s42, -1
	s_or_b32 s28, s28, exec_lo
	s_and_saveexec_b32 s41, s40
	s_cbranch_execz .LBB2_2418
.LBB2_2422:                             ;   in Loop: Header=BB2_2419 Depth=2
	s_sleep 1
	s_trap 2
	ds_read_b64 v[36:37], v0
	s_waitcnt lgkmcnt(0)
	buffer_gl0_inv
	s_andn2_b32 s28, s28, exec_lo
	v_cmp_ge_u64_e32 vcc_lo, v[36:37], v[28:29]
	s_orn2_b32 s42, vcc_lo, exec_lo
	s_branch .LBB2_2418
.LBB2_2423:                             ;   in Loop: Header=BB2_2367 Depth=1
	s_inst_prefetch 0x2
	s_or_b32 exec_lo, exec_lo, s26
	s_and_saveexec_b32 s26, s27
	s_xor_b32 s26, exec_lo, s26
	s_cbranch_execz .LBB2_2425
; %bb.2424:                             ;   in Loop: Header=BB2_2367 Depth=1
	ds_write_b32 v0, v64
	s_trap 2
.LBB2_2425:                             ;   in Loop: Header=BB2_2367 Depth=1
	s_or_b32 exec_lo, exec_lo, s25
	;;#ASMSTART
	s_wakeup
	;;#ASMEND
.LBB2_2426:                             ;   in Loop: Header=BB2_2367 Depth=1
	s_or_b32 exec_lo, exec_lo, s24
.LBB2_2427:                             ;   in Loop: Header=BB2_2367 Depth=1
	s_andn2_saveexec_b32 s14, s14
	s_cbranch_execz .LBB2_2429
; %bb.2428:                             ;   in Loop: Header=BB2_2367 Depth=1
	s_waitcnt vmcnt(0) lgkmcnt(0)
	s_waitcnt_vscnt null, 0x0
	buffer_gl1_inv
	buffer_gl0_inv
	s_barrier
.LBB2_2429:                             ;   in Loop: Header=BB2_2367 Depth=1
	s_or_b32 exec_lo, exec_lo, s14
.LBB2_2430:                             ;   in Loop: Header=BB2_2367 Depth=1
	s_or_b32 exec_lo, exec_lo, s13
	s_trap 2
	ds_read_b64 v[36:37], v0
	s_waitcnt lgkmcnt(0)
	v_cmp_eq_u64_e32 vcc_lo, 0, v[36:37]
	s_cbranch_vccnz .LBB2_2438
; %bb.2431:                             ;   in Loop: Header=BB2_2367 Depth=1
	s_trap 2
	ds_read_b64 v[38:39], v0
	s_waitcnt lgkmcnt(0)
	v_cmp_eq_u64_e32 vcc_lo, 0, v[38:39]
	s_cbranch_vccnz .LBB2_2438
; %bb.2432:                             ;   in Loop: Header=BB2_2367 Depth=1
	s_mov_b32 s13, -1
	s_and_saveexec_b32 s14, s11
	s_cbranch_execz .LBB2_2434
; %bb.2433:                             ;   in Loop: Header=BB2_2367 Depth=1
	ds_read_b32 v48, v0 offset:720
	s_waitcnt lgkmcnt(0)
	v_and_b32_e32 v48, 15, v48
	v_cmp_eq_u32_e32 vcc_lo, 0, v48
	s_orn2_b32 s13, vcc_lo, exec_lo
.LBB2_2434:                             ;   in Loop: Header=BB2_2367 Depth=1
	s_or_b32 exec_lo, exec_lo, s14
	s_and_saveexec_b32 s14, s12
	s_cbranch_execz .LBB2_2436
; %bb.2435:                             ;   in Loop: Header=BB2_2367 Depth=1
	ds_read_b32 v48, v0 offset:784
	s_waitcnt lgkmcnt(0)
	v_and_b32_e32 v48, 15, v48
	v_cmp_eq_u32_e32 vcc_lo, 0, v48
	s_and_b32 s24, s13, vcc_lo
	s_andn2_b32 s13, s13, exec_lo
	s_and_b32 s24, s24, exec_lo
	s_or_b32 s13, s13, s24
.LBB2_2436:                             ;   in Loop: Header=BB2_2367 Depth=1
	s_or_b32 exec_lo, exec_lo, s14
	v_cmp_eq_u32_e32 vcc_lo, 0, v17
	s_xor_b32 s13, s13, -1
	v_mov_b32_e32 v65, v0
	v_cndmask_b32_e64 v48, 0, 1, s13
	v_mov_b32_e32 v71, v51
	v_cndmask_b32_e32 v17, 0, v10, vcc_lo
	s_mov_b32 s13, -1
	v_cmp_ne_u32_e32 vcc_lo, 0, v48
	v_mov_b32_e32 v48, 0
	v_mov_b32_e32 v49, v17
	s_cbranch_vccz .LBB2_2439
; %bb.2437:                             ;   in Loop: Header=BB2_2367 Depth=1
	s_and_saveexec_b32 s14, s13
	s_cbranch_execnz .LBB2_2452
	s_branch .LBB2_2460
.LBB2_2438:                             ;   in Loop: Header=BB2_2367 Depth=1
	s_mov_b32 s13, 0
	s_and_saveexec_b32 s14, s6
	s_cbranch_execnz .LBB2_2461
	s_branch .LBB2_2479
.LBB2_2439:                             ;   in Loop: Header=BB2_2367 Depth=1
	v_lshrrev_b32_e32 v48, 10, v17
	s_mov_b32 s14, exec_lo
	v_sub_nc_u32_e32 v66, v48, v51
	v_cmpx_lt_i32_e32 0, v66
	s_cbranch_execz .LBB2_2443
; %bb.2440:                             ;   in Loop: Header=BB2_2367 Depth=1
	v_mov_b32_e32 v49, v15
	v_mov_b32_e32 v48, v14
	s_mov_b32 s24, 0
	.p2align	6
.LBB2_2441:                             ;   Parent Loop BB2_2367 Depth=1
                                        ; =>  This Inner Loop Header: Depth=2
	v_add_co_u32 v84, vcc_lo, v36, v48
	v_add_co_ci_u32_e64 v85, null, v37, v49, vcc_lo
	v_sub_nc_u32_e32 v66, v66, v30
	v_add_co_u32 v96, vcc_lo, v38, v48
	s_clause 0x1
	global_load_dwordx4 v[80:83], v[84:85], off slc
	global_load_dwordx4 v[84:87], v[84:85], off offset:512 slc
	v_add_co_ci_u32_e64 v97, null, v39, v49, vcc_lo
	v_cmp_gt_i32_e32 vcc_lo, 1, v66
	v_add_co_u32 v48, s13, v48, v53
	v_add_co_ci_u32_e64 v49, null, 0, v49, s13
	s_or_b32 s24, vcc_lo, s24
	s_waitcnt vmcnt(1)
	global_store_dwordx4 v[96:97], v[80:83], off glc slc
	s_waitcnt vmcnt(0)
	global_store_dwordx4 v[96:97], v[84:87], off offset:512 glc slc
	s_andn2_b32 exec_lo, exec_lo, s24
	s_cbranch_execnz .LBB2_2441
; %bb.2442:                             ;   in Loop: Header=BB2_2367 Depth=1
	s_or_b32 exec_lo, exec_lo, s24
.LBB2_2443:                             ;   in Loop: Header=BB2_2367 Depth=1
	s_or_b32 exec_lo, exec_lo, s14
	v_and_b32_e32 v80, 0x3ffffc00, v17
	v_mov_b32_e32 v48, 0
	s_mov_b32 s13, 0
	s_mov_b32 s24, exec_lo
                                        ; implicit-def: $vgpr49
                                        ; implicit-def: $vgpr65
                                        ; implicit-def: $vgpr71
	v_cmpx_ne_u32_e64 v17, v80
	s_cbranch_execz .LBB2_2451
; %bb.2444:                             ;   in Loop: Header=BB2_2367 Depth=1
	v_lshlrev_b32_e32 v48, 5, v66
	v_bfe_u32 v81, v17, 9, 1
	v_and_b32_e32 v71, 0x3ff, v17
	s_mov_b32 s25, exec_lo
	v_sub_nc_u32_e32 v48, v52, v48
	v_ashrrev_i32_e32 v49, 31, v48
	v_lshrrev_b32_e32 v49, 27, v49
	v_add_nc_u32_e32 v49, v48, v49
	v_and_b32_e32 v65, 0xffffffe0, v49
	v_ashrrev_i32_e32 v67, 5, v49
	v_sub_nc_u32_e32 v66, v48, v65
	v_and_b32_e32 v48, 0x1ff, v17
	v_lshlrev_b32_e32 v49, 4, v66
	v_cmp_lt_u32_e32 vcc_lo, 15, v48
	v_lshl_add_u32 v65, v67, 9, v49
	v_add_co_ci_u32_e64 v81, null, 0, v81, vcc_lo
	v_sub_nc_u32_e32 v49, v71, v65
	v_sub_nc_u32_e32 v67, v81, v67
	v_cmpx_lt_i32_e32 15, v49
	s_cbranch_execz .LBB2_2448
; %bb.2445:                             ;   in Loop: Header=BB2_2367 Depth=1
	v_add_nc_u32_e32 v65, v65, v80
	s_mov_b32 s26, 0
	v_ashrrev_i32_e32 v71, 31, v65
	.p2align	6
.LBB2_2446:                             ;   Parent Loop BB2_2367 Depth=1
                                        ; =>  This Inner Loop Header: Depth=2
	v_add_co_u32 v80, s13, v36, v65
	v_add_co_ci_u32_e64 v81, null, v37, v71, s13
	v_sub_nc_u32_e32 v49, v49, v54
	v_add_co_u32 v84, s13, v38, v65
	global_load_dwordx4 v[80:83], v[80:81], off slc
	v_add_co_ci_u32_e64 v85, null, v39, v71, s13
	v_cmp_gt_i32_e64 s13, 16, v49
	v_add_co_u32 v65, s14, v65, v54
	v_sub_nc_u32_e32 v67, v67, v30
	v_add_co_ci_u32_e64 v71, null, 0, v71, s14
	s_or_b32 s26, s13, s26
	s_waitcnt vmcnt(0)
	global_store_dwordx4 v[84:85], v[80:83], off glc slc
	s_andn2_b32 exec_lo, exec_lo, s26
	s_cbranch_execnz .LBB2_2446
; %bb.2447:                             ;   in Loop: Header=BB2_2367 Depth=1
	s_or_b32 exec_lo, exec_lo, s26
.LBB2_2448:                             ;   in Loop: Header=BB2_2367 Depth=1
	s_or_b32 exec_lo, exec_lo, s25
	v_and_b32_e32 v49, 15, v17
	s_mov_b32 s14, 0
	s_mov_b32 s25, exec_lo
                                        ; implicit-def: $vgpr65
                                        ; implicit-def: $vgpr71
	v_cndmask_b32_e32 v49, v48, v49, vcc_lo
	v_mov_b32_e32 v48, 0
	v_cmpx_ne_u32_e32 0, v49
	s_cbranch_execz .LBB2_2450
; %bb.2449:                             ;   in Loop: Header=BB2_2367 Depth=1
	v_cmp_lt_i32_e64 s13, 0, v67
	s_mov_b32 s14, exec_lo
	v_cndmask_b32_e64 v48, 0, v30, s13
	v_sub_nc_u32_e32 v48, v48, v67
	v_lshl_add_u32 v65, v48, 5, v66
	v_and_b32_e32 v66, 0x1f0, v17
	v_ashrrev_i32_e32 v48, 31, v65
	v_cndmask_b32_e32 v66, 0, v66, vcc_lo
	v_lshrrev_b32_e32 v48, 27, v48
	v_add_nc_u32_e32 v67, v65, v48
	v_and_or_b32 v48, 0x3ffffe00, v17, v66
	v_ashrrev_i32_e32 v71, 5, v67
.LBB2_2450:                             ;   in Loop: Header=BB2_2367 Depth=1
	s_or_b32 exec_lo, exec_lo, s25
	s_and_b32 s13, s14, exec_lo
.LBB2_2451:                             ;   in Loop: Header=BB2_2367 Depth=1
	s_or_b32 exec_lo, exec_lo, s24
	s_and_saveexec_b32 s14, s13
	s_cbranch_execz .LBB2_2460
.LBB2_2452:                             ;   in Loop: Header=BB2_2367 Depth=1
	v_lshrrev_b32_e32 v66, 8, v49
	v_ashrrev_i32_e32 v67, 31, v65
	s_mov_b32 s13, exec_lo
	v_sub_nc_u32_e32 v66, v66, v71
	v_lshrrev_b32_e32 v67, 27, v67
	v_cmpx_lt_i32_e32 0, v66
	s_cbranch_execz .LBB2_2456
; %bb.2453:                             ;   in Loop: Header=BB2_2367 Depth=1
	v_add_nc_u32_e32 v80, v65, v67
	v_lshlrev_b32_e32 v71, 8, v71
	s_mov_b32 s24, 0
	v_and_b32_e32 v80, 0xffffffe0, v80
	v_sub_nc_u32_e32 v80, v65, v80
	v_add3_u32 v71, v48, v80, v71
	v_ashrrev_i32_e32 v80, 31, v71
.LBB2_2454:                             ;   Parent Loop BB2_2367 Depth=1
                                        ; =>  This Inner Loop Header: Depth=2
	v_add_co_u32 v81, vcc_lo, v71, v36
	v_add_co_ci_u32_e64 v82, null, v80, v37, vcc_lo
	v_sub_nc_u32_e32 v66, v66, v30
	s_clause 0x7
	flat_load_ubyte v83, v[81:82] slc
	flat_load_ubyte v84, v[81:82] offset:32 slc
	flat_load_ubyte v85, v[81:82] offset:64 slc
	;; [unrolled: 1-line block ×7, first 2 shown]
	v_add_co_u32 v81, vcc_lo, v71, v38
	v_add_co_ci_u32_e64 v82, null, v80, v39, vcc_lo
	v_add_co_u32 v36, vcc_lo, v36, v55
	v_add_co_ci_u32_e64 v37, null, 0, v37, vcc_lo
	;; [unrolled: 2-line block ×3, first 2 shown]
	v_cmp_gt_i32_e32 vcc_lo, 1, v66
	s_waitcnt vmcnt(7) lgkmcnt(7)
	flat_store_byte v[81:82], v83 glc slc
	s_waitcnt vmcnt(6) lgkmcnt(7)
	flat_store_byte v[81:82], v84 offset:32 glc slc
	s_waitcnt vmcnt(5) lgkmcnt(7)
	flat_store_byte v[81:82], v85 offset:64 glc slc
	;; [unrolled: 2-line block ×7, first 2 shown]
	s_or_b32 s24, vcc_lo, s24
	s_andn2_b32 exec_lo, exec_lo, s24
	s_cbranch_execnz .LBB2_2454
; %bb.2455:                             ;   in Loop: Header=BB2_2367 Depth=1
	s_or_b32 exec_lo, exec_lo, s24
.LBB2_2456:                             ;   in Loop: Header=BB2_2367 Depth=1
	s_or_b32 exec_lo, exec_lo, s13
	v_and_b32_e32 v39, 0xffffff00, v49
	v_cmp_ne_u32_e32 vcc_lo, v49, v39
	s_and_b32 exec_lo, exec_lo, vcc_lo
	s_cbranch_execz .LBB2_2460
; %bb.2457:                             ;   in Loop: Header=BB2_2367 Depth=1
	v_add_nc_u32_e32 v36, v65, v67
	v_lshlrev_b32_e32 v37, 5, v66
	v_and_b32_e32 v36, 0xffffffe0, v36
	v_sub_nc_u32_e32 v36, v65, v36
	v_sub_nc_u32_e32 v65, v36, v37
	v_sub_nc_u32_sdwa v38, v49, v65 dst_sel:DWORD dst_unused:UNUSED_PAD src0_sel:BYTE_0 src1_sel:DWORD
	v_cmp_lt_i32_e32 vcc_lo, 0, v38
	s_and_b32 exec_lo, exec_lo, vcc_lo
	s_cbranch_execz .LBB2_2460
; %bb.2458:                             ;   in Loop: Header=BB2_2367 Depth=1
	s_trap 2
	ds_read_b64 v[36:37], v0
	v_add3_u32 v39, v39, v48, v65
	s_mov_b32 s24, 0
	v_ashrrev_i32_e32 v48, 31, v39
	.p2align	6
.LBB2_2459:                             ;   Parent Loop BB2_2367 Depth=1
                                        ; =>  This Inner Loop Header: Depth=2
	s_waitcnt lgkmcnt(0)
	v_add_co_u32 v65, vcc_lo, v36, v39
	v_add_co_ci_u32_e64 v66, null, v37, v48, vcc_lo
	v_sub_nc_u32_e32 v38, v38, v50
	v_add_co_u32 v39, s13, v39, v50
	flat_load_ubyte v49, v[65:66] slc
	v_add_co_ci_u32_e64 v48, null, 0, v48, s13
	v_cmp_gt_i32_e32 vcc_lo, 1, v38
	s_or_b32 s24, vcc_lo, s24
	s_waitcnt vmcnt(0) lgkmcnt(0)
	flat_store_byte v[65:66], v49 glc slc
	s_andn2_b32 exec_lo, exec_lo, s24
	s_cbranch_execnz .LBB2_2459
.LBB2_2460:                             ;   in Loop: Header=BB2_2367 Depth=1
	s_or_b32 exec_lo, exec_lo, s14
	v_cmp_ne_u32_e64 s13, 0, v17
	s_and_saveexec_b32 s14, s6
	s_cbranch_execz .LBB2_2479
.LBB2_2461:                             ;   in Loop: Header=BB2_2367 Depth=1
	s_and_saveexec_b32 s24, s19
	s_xor_b32 s24, exec_lo, s24
	s_cbranch_execz .LBB2_2476
; %bb.2462:                             ;   in Loop: Header=BB2_2367 Depth=1
	s_and_saveexec_b32 s25, s10
	s_cbranch_execz .LBB2_2475
; %bb.2463:                             ;   in Loop: Header=BB2_2367 Depth=1
	s_mov_b32 s27, exec_lo
	s_mov_b32 s26, exec_lo
	v_mbcnt_lo_u32_b32 v17, s27, 0
	s_waitcnt vmcnt(0) lgkmcnt(0)
	s_waitcnt_vscnt null, 0x0
	buffer_gl1_inv
	buffer_gl0_inv
	v_cmpx_eq_u32_e32 0, v17
	s_cbranch_execz .LBB2_2465
; %bb.2464:                             ;   in Loop: Header=BB2_2367 Depth=1
	s_bcnt1_i32_b32 s27, s27
	v_mov_b32_e32 v37, v11
	v_mov_b32_e32 v36, s27
	ds_add_u64 v0, v[36:37]
	s_trap 2
.LBB2_2465:                             ;   in Loop: Header=BB2_2367 Depth=1
	s_or_b32 exec_lo, exec_lo, s26
	s_trap 2
	ds_read_b64 v[36:37], v0
	s_waitcnt lgkmcnt(0)
	buffer_gl0_inv
	v_add_co_u32 v28, vcc_lo, v28, v30
	v_add_co_ci_u32_e64 v29, null, 0, v29, vcc_lo
	s_mov_b32 s26, exec_lo
	v_cmpx_lt_u64_e64 v[36:37], v[28:29]
	s_cbranch_execz .LBB2_2474
; %bb.2466:                             ;   in Loop: Header=BB2_2367 Depth=1
	s_mov_b32 s27, 0
	s_mov_b32 s40, 0
                                        ; implicit-def: $sgpr28
                                        ; implicit-def: $sgpr29
	s_inst_prefetch 0x1
	s_branch .LBB2_2468
	.p2align	6
.LBB2_2467:                             ;   in Loop: Header=BB2_2468 Depth=2
	s_or_b32 exec_lo, exec_lo, s42
	s_and_b32 s41, exec_lo, s43
	s_or_b32 s27, s41, s27
	s_andn2_b32 s28, s28, exec_lo
	s_and_b32 s41, s29, exec_lo
	s_or_b32 s28, s28, s41
	s_andn2_b32 exec_lo, exec_lo, s27
	s_cbranch_execz .LBB2_2472
.LBB2_2468:                             ;   Parent Loop BB2_2367 Depth=1
                                        ; =>  This Inner Loop Header: Depth=2
	s_add_i32 s40, s40, 1
	s_cmpk_lg_i32 s40, 0x2710
	s_cselect_b32 s41, -1, 0
	s_and_b32 vcc_lo, exec_lo, s41
	s_cbranch_vccz .LBB2_2470
; %bb.2469:                             ;   in Loop: Header=BB2_2468 Depth=2
	s_mov_b32 s43, -1
	s_or_b32 s29, s29, exec_lo
	s_and_saveexec_b32 s42, s41
	s_cbranch_execz .LBB2_2467
	s_branch .LBB2_2471
	.p2align	6
.LBB2_2470:                             ;   in Loop: Header=BB2_2468 Depth=2
	s_trap 2
	ds_read_b64 v[36:37], v0
	s_andn2_b32 s41, s41, exec_lo
	s_mov_b32 s40, 0
	s_waitcnt lgkmcnt(0)
	flat_load_dword v17, v[36:37] glc dlc
	s_waitcnt vmcnt(0) lgkmcnt(0)
	buffer_gl1_inv
	buffer_gl0_inv
	v_cmp_eq_u32_e32 vcc_lo, 0, v17
	s_and_b32 s42, vcc_lo, exec_lo
	s_or_b32 s41, s41, s42
	s_mov_b32 s43, -1
	s_or_b32 s29, s29, exec_lo
	s_and_saveexec_b32 s42, s41
	s_cbranch_execz .LBB2_2467
.LBB2_2471:                             ;   in Loop: Header=BB2_2468 Depth=2
	s_sleep 1
	s_trap 2
	ds_read_b64 v[36:37], v0
	s_waitcnt lgkmcnt(0)
	buffer_gl0_inv
	s_andn2_b32 s29, s29, exec_lo
	v_cmp_ge_u64_e32 vcc_lo, v[36:37], v[28:29]
	s_orn2_b32 s43, vcc_lo, exec_lo
	s_branch .LBB2_2467
.LBB2_2472:                             ;   in Loop: Header=BB2_2367 Depth=1
	s_inst_prefetch 0x2
	s_or_b32 exec_lo, exec_lo, s27
	s_and_saveexec_b32 s27, s28
	s_xor_b32 s27, exec_lo, s27
	s_cbranch_execz .LBB2_2474
; %bb.2473:                             ;   in Loop: Header=BB2_2367 Depth=1
	ds_write_b32 v0, v64
	s_trap 2
.LBB2_2474:                             ;   in Loop: Header=BB2_2367 Depth=1
	s_or_b32 exec_lo, exec_lo, s26
	;;#ASMSTART
	s_wakeup
	;;#ASMEND
.LBB2_2475:                             ;   in Loop: Header=BB2_2367 Depth=1
	s_or_b32 exec_lo, exec_lo, s25
.LBB2_2476:                             ;   in Loop: Header=BB2_2367 Depth=1
	s_andn2_saveexec_b32 s24, s24
	s_cbranch_execz .LBB2_2478
; %bb.2477:                             ;   in Loop: Header=BB2_2367 Depth=1
	s_waitcnt vmcnt(0) lgkmcnt(0)
	s_waitcnt_vscnt null, 0x0
	buffer_gl1_inv
	buffer_gl0_inv
	s_barrier
.LBB2_2478:                             ;   in Loop: Header=BB2_2367 Depth=1
	s_or_b32 exec_lo, exec_lo, s24
.LBB2_2479:                             ;   in Loop: Header=BB2_2367 Depth=1
	s_or_b32 exec_lo, exec_lo, s14
	v_and_b32_e32 v17, 16, v69
	v_cmp_ne_u32_e32 vcc_lo, 0, v17
	s_and_b32 s14, vcc_lo, s13
	s_and_saveexec_b32 s13, s14
	s_cbranch_execz .LBB2_2481
; %bb.2480:                             ;   in Loop: Header=BB2_2367 Depth=1
	s_waitcnt vmcnt(0) lgkmcnt(0)
	s_waitcnt_vscnt null, 0x0
	buffer_gl1_inv
	buffer_gl0_inv
.LBB2_2481:                             ;   in Loop: Header=BB2_2367 Depth=1
	s_or_b32 exec_lo, exec_lo, s13
	s_mov_b32 s13, exec_lo
	v_cmpx_ne_u32_e32 0, v17
	s_cbranch_execz .LBB2_2485
; %bb.2482:                             ;   in Loop: Header=BB2_2367 Depth=1
	s_and_saveexec_b32 s14, s7
	s_cbranch_execz .LBB2_2484
; %bb.2483:                             ;   in Loop: Header=BB2_2367 Depth=1
	s_waitcnt vmcnt(0) lgkmcnt(0)
	s_waitcnt_vscnt null, 0x0
	flat_store_dword v[34:35], v64
.LBB2_2484:                             ;   in Loop: Header=BB2_2367 Depth=1
	s_or_b32 exec_lo, exec_lo, s14
	v_add_co_u32 v8, vcc_lo, v8, 1
	v_add_co_ci_u32_e64 v9, null, 0, v9, vcc_lo
	s_waitcnt vmcnt(0) lgkmcnt(0)
	s_waitcnt_vscnt null, 0x0
	flat_store_dwordx2 v[22:23], v[8:9]
.LBB2_2485:                             ;   in Loop: Header=BB2_2367 Depth=1
	s_or_b32 exec_lo, exec_lo, s13
	v_mov_b32_e32 v17, v10
.LBB2_2486:                             ;   in Loop: Header=BB2_2367 Depth=1
	s_or_b32 exec_lo, exec_lo, s23
	s_and_saveexec_b32 s14, s22
	s_cbranch_execz .LBB2_2366
; %bb.2487:                             ;   in Loop: Header=BB2_2367 Depth=1
	v_sub_nc_u32_e32 v16, v16, v17
	v_and_b32_e32 v17, 8, v69
	s_mov_b32 s22, exec_lo
	v_min_i32_e32 v16, v10, v16
	v_cmpx_ne_u32_e32 0, v17
	s_cbranch_execz .LBB2_2509
; %bb.2488:                             ;   in Loop: Header=BB2_2367 Depth=1
	s_waitcnt vmcnt(0)
	v_add_co_u32 v38, vcc_lo, v26, 8
	v_add_co_ci_u32_e64 v39, null, 0, v27, vcc_lo
	s_waitcnt lgkmcnt(0)
	v_add_co_u32 v36, vcc_lo, v8, 1
	v_add_co_ci_u32_e64 v37, null, 0, v9, vcc_lo
	s_mov_b32 s23, exec_lo
	v_cmpx_lt_u64_e64 v[38:39], v[36:37]
	s_cbranch_execz .LBB2_2500
; %bb.2489:                             ;   in Loop: Header=BB2_2367 Depth=1
	v_and_b32_e32 v9, 64, v69
	s_mov_b32 s24, 0
	s_mov_b32 s28, 0
                                        ; implicit-def: $sgpr25
                                        ; implicit-def: $sgpr26
                                        ; implicit-def: $sgpr27
	v_cmp_eq_u32_e32 vcc_lo, 0, v9
	s_branch .LBB2_2493
.LBB2_2490:                             ;   in Loop: Header=BB2_2493 Depth=2
	s_waitcnt vmcnt(0) lgkmcnt(0)
	v_add_co_u32 v38, s13, v26, 8
	v_add_co_ci_u32_e64 v39, null, 0, v27, s13
	s_or_b32 s41, s41, exec_lo
	v_cmp_ge_u64_e64 s13, v[38:39], v[36:37]
	s_orn2_b32 s40, s13, exec_lo
.LBB2_2491:                             ;   in Loop: Header=BB2_2493 Depth=2
	s_or_b32 exec_lo, exec_lo, s43
	s_andn2_b32 s13, s27, exec_lo
	s_and_b32 s27, s41, exec_lo
	s_andn2_b32 s26, s26, exec_lo
	s_and_b32 s40, s40, exec_lo
	s_or_b32 s27, s13, s27
	s_or_b32 s26, s26, s40
.LBB2_2492:                             ;   in Loop: Header=BB2_2493 Depth=2
	s_or_b32 exec_lo, exec_lo, s29
	s_and_b32 s13, exec_lo, s26
	s_or_b32 s24, s13, s24
	s_andn2_b32 s13, s25, exec_lo
	s_and_b32 s25, s27, exec_lo
	s_or_b32 s25, s13, s25
	s_andn2_b32 exec_lo, exec_lo, s24
	s_cbranch_execz .LBB2_2497
.LBB2_2493:                             ;   Parent Loop BB2_2367 Depth=1
                                        ; =>  This Inner Loop Header: Depth=2
	s_sleep 1
	s_waitcnt vmcnt(0) lgkmcnt(0)
	flat_load_dwordx2 v[26:27], v[22:23] glc dlc
	s_or_b32 s27, s27, exec_lo
	s_or_b32 s26, s26, exec_lo
                                        ; implicit-def: $vgpr9
	s_and_saveexec_b32 s29, vcc_lo
	s_cbranch_execz .LBB2_2492
; %bb.2494:                             ;   in Loop: Header=BB2_2493 Depth=2
	s_cmpk_lt_i32 s28, 0x270f
	s_mov_b32 s40, -1
	s_cselect_b32 s42, -1, 0
	s_cmpk_gt_i32 s28, 0x270e
	s_cbranch_scc0 .LBB2_2496
; %bb.2495:                             ;   in Loop: Header=BB2_2493 Depth=2
	s_trap 2
	ds_read_b64 v[9:10], v0
	s_andn2_b32 s28, s42, exec_lo
	s_mov_b32 s41, 0
	s_waitcnt vmcnt(0) lgkmcnt(0)
	s_waitcnt_vscnt null, 0x0
	flat_load_dword v9, v[9:10] glc dlc
	s_waitcnt vmcnt(0) lgkmcnt(0)
	buffer_gl1_inv
	buffer_gl0_inv
	v_cmp_eq_u32_e64 s13, 0, v9
	s_and_b32 s13, s13, exec_lo
	s_or_b32 s42, s28, s13
	s_mov_b32 s28, 0
	s_and_saveexec_b32 s43, s42
	s_cbranch_execz .LBB2_2491
	s_branch .LBB2_2490
.LBB2_2496:                             ;   in Loop: Header=BB2_2493 Depth=2
	s_add_i32 s28, s28, 1
	s_mov_b32 s41, -1
                                        ; implicit-def: $vgpr9
	s_and_saveexec_b32 s43, s42
	s_cbranch_execz .LBB2_2491
	s_branch .LBB2_2490
.LBB2_2497:                             ;   in Loop: Header=BB2_2367 Depth=1
	s_or_b32 exec_lo, exec_lo, s24
	s_xor_b32 s13, s25, -1
	s_and_saveexec_b32 s24, s13
	s_xor_b32 s13, exec_lo, s24
	s_cbranch_execz .LBB2_2499
; %bb.2498:                             ;   in Loop: Header=BB2_2367 Depth=1
	v_or_b32_e32 v69, 64, v69
	s_waitcnt vmcnt(0) lgkmcnt(0)
	s_waitcnt_vscnt null, 0x0
	ds_write_b32 v0, v9
	s_trap 2
.LBB2_2499:                             ;   in Loop: Header=BB2_2367 Depth=1
	s_or_b32 exec_lo, exec_lo, s13
.LBB2_2500:                             ;   in Loop: Header=BB2_2367 Depth=1
	s_or_b32 exec_lo, exec_lo, s23
	v_and_b32_e32 v9, 0x100, v69
	v_and_b32_e32 v10, 7, v8
	s_mov_b32 s13, -1
	;;#ASMSTART
	s_wakeup
	;;#ASMEND
	v_cmp_ne_u32_e32 vcc_lo, 0, v9
                                        ; implicit-def: $vgpr8_vgpr9
	s_and_saveexec_b32 s23, vcc_lo
	s_cbranch_execz .LBB2_2504
; %bb.2501:                             ;   in Loop: Header=BB2_2367 Depth=1
	v_mad_u64_u32 v[38:39], null, v10, 24, v[6:7]
	v_ashrrev_i32_e32 v17, 31, v16
	flat_load_dword v8, v[38:39]
	flat_store_dwordx2 v[38:39], v[16:17] offset:8
	s_waitcnt vmcnt(0) lgkmcnt(1)
	v_cmp_eq_u32_e64 s13, 1, v8
	v_cmp_ne_u32_e32 vcc_lo, 1, v8
                                        ; implicit-def: $vgpr8_vgpr9
	s_and_saveexec_b32 s24, s13
	s_cbranch_execz .LBB2_2503
; %bb.2502:                             ;   in Loop: Header=BB2_2367 Depth=1
	flat_load_dword v8, v[38:39] offset:4 glc dlc
	s_waitcnt vmcnt(0) lgkmcnt(0)
	v_ashrrev_i32_e32 v9, 31, v8
.LBB2_2503:                             ;   in Loop: Header=BB2_2367 Depth=1
	s_or_b32 exec_lo, exec_lo, s24
	s_orn2_b32 s13, vcc_lo, exec_lo
.LBB2_2504:                             ;   in Loop: Header=BB2_2367 Depth=1
	s_or_b32 exec_lo, exec_lo, s23
	s_and_saveexec_b32 s23, s13
; %bb.2505:                             ;   in Loop: Header=BB2_2367 Depth=1
	v_mad_i64_i32 v[8:9], null, v10, v70, 0
; %bb.2506:                             ;   in Loop: Header=BB2_2367 Depth=1
	s_or_b32 exec_lo, exec_lo, s23
	v_add_co_u32 v8, vcc_lo, v24, v8
	v_and_b32_e32 v10, 0x2000, v69
	v_add_co_ci_u32_e64 v9, null, v25, v9, vcc_lo
	s_mov_b32 s13, exec_lo
	ds_write_b64 v0, v[8:9] offset:784
	v_cmpx_ne_u32_e32 0, v10
	s_cbranch_execz .LBB2_2508
; %bb.2507:                             ;   in Loop: Header=BB2_2367 Depth=1
	ds_read_b64 v[8:9], v0 offset:872
	s_waitcnt lgkmcnt(0)
	v_add_co_u32 v8, vcc_lo, v8, 1
	v_add_co_ci_u32_e64 v9, null, 0, v9, vcc_lo
	ds_write_b64 v0, v[8:9] offset:872
.LBB2_2508:                             ;   in Loop: Header=BB2_2367 Depth=1
	s_or_b32 exec_lo, exec_lo, s13
	v_mov_b32_e32 v8, v36
	v_mov_b32_e32 v9, v37
.LBB2_2509:                             ;   in Loop: Header=BB2_2367 Depth=1
	s_or_b32 exec_lo, exec_lo, s22
	s_and_saveexec_b32 s13, s6
	s_cbranch_execz .LBB2_2528
; %bb.2510:                             ;   in Loop: Header=BB2_2367 Depth=1
	s_and_saveexec_b32 s22, s19
	s_xor_b32 s22, exec_lo, s22
	s_cbranch_execz .LBB2_2525
; %bb.2511:                             ;   in Loop: Header=BB2_2367 Depth=1
	s_and_saveexec_b32 s23, s10
	s_cbranch_execz .LBB2_2524
; %bb.2512:                             ;   in Loop: Header=BB2_2367 Depth=1
	s_mov_b32 s25, exec_lo
	s_mov_b32 s24, exec_lo
	v_mbcnt_lo_u32_b32 v10, s25, 0
	s_waitcnt vmcnt(0) lgkmcnt(0)
	s_waitcnt_vscnt null, 0x0
	buffer_gl1_inv
	buffer_gl0_inv
	v_cmpx_eq_u32_e32 0, v10
	s_cbranch_execz .LBB2_2514
; %bb.2513:                             ;   in Loop: Header=BB2_2367 Depth=1
	s_bcnt1_i32_b32 s25, s25
	v_mov_b32_e32 v10, s25
	ds_add_u64 v0, v[10:11]
	s_trap 2
.LBB2_2514:                             ;   in Loop: Header=BB2_2367 Depth=1
	s_or_b32 exec_lo, exec_lo, s24
	s_trap 2
	ds_read_b64 v[36:37], v0
	s_waitcnt lgkmcnt(0)
	buffer_gl0_inv
	v_add_co_u32 v28, vcc_lo, v28, v30
	v_add_co_ci_u32_e64 v29, null, 0, v29, vcc_lo
	s_mov_b32 s24, exec_lo
	v_cmpx_lt_u64_e64 v[36:37], v[28:29]
	s_cbranch_execz .LBB2_2523
; %bb.2515:                             ;   in Loop: Header=BB2_2367 Depth=1
	s_mov_b32 s25, 0
	s_mov_b32 s28, 0
                                        ; implicit-def: $sgpr26
                                        ; implicit-def: $sgpr27
	s_inst_prefetch 0x1
	s_branch .LBB2_2517
	.p2align	6
.LBB2_2516:                             ;   in Loop: Header=BB2_2517 Depth=2
	s_or_b32 exec_lo, exec_lo, s40
	s_and_b32 s29, exec_lo, s41
	s_or_b32 s25, s29, s25
	s_andn2_b32 s26, s26, exec_lo
	s_and_b32 s29, s27, exec_lo
	s_or_b32 s26, s26, s29
	s_andn2_b32 exec_lo, exec_lo, s25
	s_cbranch_execz .LBB2_2521
.LBB2_2517:                             ;   Parent Loop BB2_2367 Depth=1
                                        ; =>  This Inner Loop Header: Depth=2
	s_add_i32 s28, s28, 1
	s_cmpk_lg_i32 s28, 0x2710
	s_cselect_b32 s29, -1, 0
	s_and_b32 vcc_lo, exec_lo, s29
	s_cbranch_vccz .LBB2_2519
; %bb.2518:                             ;   in Loop: Header=BB2_2517 Depth=2
	s_mov_b32 s41, -1
	s_or_b32 s27, s27, exec_lo
	s_and_saveexec_b32 s40, s29
	s_cbranch_execz .LBB2_2516
	s_branch .LBB2_2520
	.p2align	6
.LBB2_2519:                             ;   in Loop: Header=BB2_2517 Depth=2
	s_trap 2
	ds_read_b64 v[36:37], v0
	s_andn2_b32 s29, s29, exec_lo
	s_mov_b32 s28, 0
	s_waitcnt lgkmcnt(0)
	flat_load_dword v10, v[36:37] glc dlc
	s_waitcnt vmcnt(0) lgkmcnt(0)
	buffer_gl1_inv
	buffer_gl0_inv
	v_cmp_eq_u32_e32 vcc_lo, 0, v10
	s_and_b32 s40, vcc_lo, exec_lo
	s_or_b32 s29, s29, s40
	s_mov_b32 s41, -1
	s_or_b32 s27, s27, exec_lo
	s_and_saveexec_b32 s40, s29
	s_cbranch_execz .LBB2_2516
.LBB2_2520:                             ;   in Loop: Header=BB2_2517 Depth=2
	s_sleep 1
	s_trap 2
	ds_read_b64 v[36:37], v0
	s_waitcnt lgkmcnt(0)
	buffer_gl0_inv
	s_andn2_b32 s27, s27, exec_lo
	v_cmp_ge_u64_e32 vcc_lo, v[36:37], v[28:29]
	s_orn2_b32 s41, vcc_lo, exec_lo
	s_branch .LBB2_2516
.LBB2_2521:                             ;   in Loop: Header=BB2_2367 Depth=1
	s_inst_prefetch 0x2
	s_or_b32 exec_lo, exec_lo, s25
	s_and_saveexec_b32 s25, s26
	s_xor_b32 s25, exec_lo, s25
	s_cbranch_execz .LBB2_2523
; %bb.2522:                             ;   in Loop: Header=BB2_2367 Depth=1
	ds_write_b32 v0, v64
	s_trap 2
.LBB2_2523:                             ;   in Loop: Header=BB2_2367 Depth=1
	s_or_b32 exec_lo, exec_lo, s24
	;;#ASMSTART
	s_wakeup
	;;#ASMEND
.LBB2_2524:                             ;   in Loop: Header=BB2_2367 Depth=1
	s_or_b32 exec_lo, exec_lo, s23
.LBB2_2525:                             ;   in Loop: Header=BB2_2367 Depth=1
	s_andn2_saveexec_b32 s22, s22
	s_cbranch_execz .LBB2_2527
; %bb.2526:                             ;   in Loop: Header=BB2_2367 Depth=1
	s_waitcnt vmcnt(0) lgkmcnt(0)
	s_waitcnt_vscnt null, 0x0
	buffer_gl1_inv
	buffer_gl0_inv
	s_barrier
.LBB2_2527:                             ;   in Loop: Header=BB2_2367 Depth=1
	s_or_b32 exec_lo, exec_lo, s22
.LBB2_2528:                             ;   in Loop: Header=BB2_2367 Depth=1
	s_or_b32 exec_lo, exec_lo, s13
	s_trap 2
	ds_read_b32 v10, v0
	v_cmp_lt_i32_e32 vcc_lo, 0, v16
	s_waitcnt lgkmcnt(0)
	v_readfirstlane_b32 s13, v10
	v_and_b32_e32 v10, 16, v69
	s_cmp_eq_u32 s13, 0
	v_cmp_ne_u32_e64 s13, 0, v10
	s_cselect_b32 s22, -1, 0
	s_and_b32 s22, vcc_lo, s22
	s_and_b32 s22, s13, s22
	s_and_saveexec_b32 s13, s22
	s_cbranch_execz .LBB2_2530
; %bb.2529:                             ;   in Loop: Header=BB2_2367 Depth=1
	s_waitcnt vmcnt(0)
	s_waitcnt_vscnt null, 0x0
	buffer_gl1_inv
	buffer_gl0_inv
.LBB2_2530:                             ;   in Loop: Header=BB2_2367 Depth=1
	s_or_b32 exec_lo, exec_lo, s13
	s_mov_b32 s13, exec_lo
	v_cmpx_ne_u32_e32 0, v10
	s_cbranch_execz .LBB2_2365
; %bb.2531:                             ;   in Loop: Header=BB2_2367 Depth=1
	s_and_saveexec_b32 s22, s7
	s_cbranch_execz .LBB2_2364
; %bb.2532:                             ;   in Loop: Header=BB2_2367 Depth=1
	s_waitcnt vmcnt(0)
	s_waitcnt_vscnt null, 0x0
	flat_store_dword v[34:35], v64
	s_branch .LBB2_2364
.LBB2_2533:
	s_or_b32 exec_lo, exec_lo, s16
.LBB2_2534:
	s_or_b32 exec_lo, exec_lo, s18
.LBB2_2535:
	s_or_b32 exec_lo, exec_lo, s17
	v_and_b32_e32 v0, 0x800, v69
	s_mov_b32 s5, exec_lo
	v_cmpx_eq_u32_e32 0, v0
	s_cbranch_execz .LBB2_2568
; %bb.2536:
	v_and_b32_e32 v0, 48, v69
	s_mov_b32 s4, exec_lo
	v_cmpx_ne_u32_e32 0, v0
	s_cbranch_execz .LBB2_2538
; %bb.2537:
	s_waitcnt vmcnt(0) lgkmcnt(0)
	flat_store_dwordx2 v[20:21], v[8:9] offset:104
.LBB2_2538:
	s_or_b32 exec_lo, exec_lo, s4
	v_and_b32_e32 v0, 0x88, v69
	s_mov_b32 s6, exec_lo
	v_cmpx_eq_u32_e32 0x88, v0
	s_cbranch_execz .LBB2_2548
; %bb.2539:
	s_waitcnt vmcnt(0) lgkmcnt(0)
	v_add_nc_u32_e32 v0, -1, v8
	s_mov_b32 s7, 0
	v_and_b32_e32 v0, 7, v0
	v_mad_u64_u32 v[4:5], null, v0, 24, v[6:7]
	v_and_b32_e32 v0, 64, v69
	v_cmp_eq_u32_e64 s4, 0, v0
	flat_load_dwordx2 v[6:7], v[4:5] offset:8 glc dlc
	s_waitcnt vmcnt(0) lgkmcnt(0)
	v_cmp_ne_u64_e32 vcc_lo, -1, v[6:7]
	s_and_b32 s4, vcc_lo, s4
	s_and_b32 exec_lo, exec_lo, s4
	s_cbranch_execz .LBB2_2548
; %bb.2540:
	s_mov_b32 s11, 0
                                        ; implicit-def: $sgpr4
                                        ; implicit-def: $sgpr10
	s_inst_prefetch 0x1
	s_branch .LBB2_2543
	.p2align	6
.LBB2_2541:                             ;   in Loop: Header=BB2_2543 Depth=1
	flat_load_dwordx2 v[6:7], v[4:5] offset:8 glc dlc
	s_waitcnt vmcnt(0)
	s_andn2_b32 s10, s10, exec_lo
	s_waitcnt lgkmcnt(0)
	v_cmp_eq_u64_e32 vcc_lo, -1, v[6:7]
	s_orn2_b32 s13, vcc_lo, exec_lo
.LBB2_2542:                             ;   in Loop: Header=BB2_2543 Depth=1
	s_or_b32 exec_lo, exec_lo, s14
	s_and_b32 s12, exec_lo, s13
	s_or_b32 s7, s12, s7
	s_andn2_b32 s4, s4, exec_lo
	s_and_b32 s12, s10, exec_lo
	s_or_b32 s4, s4, s12
	s_andn2_b32 exec_lo, exec_lo, s7
	s_cbranch_execz .LBB2_2546
.LBB2_2543:                             ; =>This Inner Loop Header: Depth=1
	s_cmpk_lt_i32 s11, 0x270f
	s_cselect_b32 s12, -1, 0
	s_and_b32 vcc_lo, exec_lo, s12
	s_cbranch_vccnz .LBB2_2545
; %bb.2544:                             ;   in Loop: Header=BB2_2543 Depth=1
	s_trap 2
	ds_read_b64 v[6:7], v0
	s_andn2_b32 s12, s12, exec_lo
	s_mov_b32 s11, 0
	s_waitcnt lgkmcnt(0)
	s_waitcnt_vscnt null, 0x0
	flat_load_dword v0, v[6:7] glc dlc
	s_waitcnt vmcnt(0) lgkmcnt(0)
	buffer_gl1_inv
	buffer_gl0_inv
	v_cmp_eq_u32_e32 vcc_lo, 0, v0
	s_and_b32 s13, vcc_lo, exec_lo
	s_or_b32 s12, s12, s13
	s_mov_b32 s13, -1
	s_or_b32 s10, s10, exec_lo
	s_and_saveexec_b32 s14, s12
	s_cbranch_execz .LBB2_2542
	s_branch .LBB2_2541
	.p2align	6
.LBB2_2545:                             ;   in Loop: Header=BB2_2543 Depth=1
	s_add_i32 s11, s11, 1
                                        ; implicit-def: $vgpr0
	s_mov_b32 s13, -1
	s_or_b32 s10, s10, exec_lo
	s_and_saveexec_b32 s14, s12
	s_cbranch_execz .LBB2_2542
	s_branch .LBB2_2541
.LBB2_2546:
	s_inst_prefetch 0x2
	s_or_b32 exec_lo, exec_lo, s7
	s_and_saveexec_b32 s7, s4
	s_xor_b32 s7, exec_lo, s7
	s_cbranch_execz .LBB2_2548
; %bb.2547:
	s_waitcnt_vscnt null, 0x0
	ds_write_b32 v0, v0
	s_trap 2
.LBB2_2548:
	s_or_b32 exec_lo, exec_lo, s6
	v_and_b32_e32 v0, 0x2000, v69
	s_mov_b32 s4, exec_lo
	v_cmpx_ne_u32_e32 0, v0
	s_cbranch_execz .LBB2_2550
; %bb.2549:
	s_trap 2
	ds_read_b64 v[4:5], v0
	s_waitcnt lgkmcnt(0)
	flat_store_dwordx2 v[2:3], v[4:5] offset:16
.LBB2_2550:
	s_or_b32 exec_lo, exec_lo, s4
	v_cmp_ne_u32_e32 vcc_lo, 32, v1
	s_and_b32 exec_lo, exec_lo, vcc_lo
	s_cbranch_execz .LBB2_2568
; %bb.2551:
	s_waitcnt vmcnt(0)
	v_cmp_ne_u32_sdwa s4, v1, v68 src0_sel:DWORD src1_sel:WORD_0
	s_and_saveexec_b32 s6, s4
	s_xor_b32 s4, exec_lo, s6
	s_cbranch_execz .LBB2_2566
; %bb.2552:
	v_and_b32_e32 v0, 31, v31
	s_mov_b32 s6, exec_lo
	v_cmpx_eq_u32_e32 0, v0
	s_cbranch_execz .LBB2_2565
; %bb.2553:
	s_mov_b32 s10, exec_lo
	s_mov_b32 s7, exec_lo
	v_mbcnt_lo_u32_b32 v0, s10, 0
	s_waitcnt lgkmcnt(0)
	s_waitcnt_vscnt null, 0x0
	buffer_gl1_inv
	buffer_gl0_inv
	v_cmpx_eq_u32_e32 0, v0
	s_cbranch_execz .LBB2_2555
; %bb.2554:
	s_bcnt1_i32_b32 s10, s10
	v_mov_b32_e32 v3, 0
	v_mov_b32_e32 v2, s10
	ds_add_u64 v0, v[2:3]
	s_trap 2
.LBB2_2555:
	s_or_b32 exec_lo, exec_lo, s7
	s_trap 2
	ds_read_b64 v[2:3], v0
	s_waitcnt lgkmcnt(0)
	buffer_gl0_inv
	v_lshrrev_b32_e32 v0, 5, v1
	s_mov_b32 s7, exec_lo
	v_add_co_u32 v0, vcc_lo, v28, v0
	v_add_co_ci_u32_e64 v1, null, 0, v29, vcc_lo
	v_cmpx_lt_u64_e64 v[2:3], v[0:1]
	s_cbranch_execz .LBB2_2564
; %bb.2556:
	s_mov_b32 s10, 0
	s_mov_b32 s13, 0
                                        ; implicit-def: $sgpr11
                                        ; implicit-def: $sgpr12
	s_inst_prefetch 0x1
	s_branch .LBB2_2558
	.p2align	6
.LBB2_2557:                             ;   in Loop: Header=BB2_2558 Depth=1
	s_or_b32 exec_lo, exec_lo, s16
	s_and_b32 s14, exec_lo, s17
	s_or_b32 s10, s14, s10
	s_andn2_b32 s11, s11, exec_lo
	s_and_b32 s14, s12, exec_lo
	s_or_b32 s11, s11, s14
	s_andn2_b32 exec_lo, exec_lo, s10
	s_cbranch_execz .LBB2_2562
.LBB2_2558:                             ; =>This Inner Loop Header: Depth=1
	s_add_i32 s13, s13, 1
	s_cmpk_lg_i32 s13, 0x2710
	s_cselect_b32 s14, -1, 0
	s_and_b32 vcc_lo, exec_lo, s14
	s_cbranch_vccz .LBB2_2560
; %bb.2559:                             ;   in Loop: Header=BB2_2558 Depth=1
	s_mov_b32 s17, -1
	s_or_b32 s12, s12, exec_lo
	s_and_saveexec_b32 s16, s14
	s_cbranch_execz .LBB2_2557
	s_branch .LBB2_2561
.LBB2_2560:                             ;   in Loop: Header=BB2_2558 Depth=1
	s_trap 2
	ds_read_b64 v[2:3], v0
	s_andn2_b32 s14, s14, exec_lo
	s_mov_b32 s13, 0
	s_waitcnt lgkmcnt(0)
	flat_load_dword v2, v[2:3] glc dlc
	s_waitcnt vmcnt(0) lgkmcnt(0)
	buffer_gl1_inv
	buffer_gl0_inv
	v_cmp_eq_u32_e32 vcc_lo, 0, v2
	s_and_b32 s16, vcc_lo, exec_lo
	s_or_b32 s14, s14, s16
	s_mov_b32 s17, -1
	s_or_b32 s12, s12, exec_lo
	s_and_saveexec_b32 s16, s14
	s_cbranch_execz .LBB2_2557
.LBB2_2561:                             ;   in Loop: Header=BB2_2558 Depth=1
	s_sleep 1
	s_trap 2
	ds_read_b64 v[2:3], v0
	s_waitcnt lgkmcnt(0)
	buffer_gl0_inv
	s_andn2_b32 s12, s12, exec_lo
	v_cmp_ge_u64_e32 vcc_lo, v[2:3], v[0:1]
	s_orn2_b32 s17, vcc_lo, exec_lo
	s_branch .LBB2_2557
.LBB2_2562:
	s_inst_prefetch 0x2
	s_or_b32 exec_lo, exec_lo, s10
	s_and_saveexec_b32 s10, s11
	s_xor_b32 s10, exec_lo, s10
	s_cbranch_execz .LBB2_2564
; %bb.2563:
	v_mov_b32_e32 v0, 1
	ds_write_b32 v0, v0
	s_trap 2
.LBB2_2564:
	s_or_b32 exec_lo, exec_lo, s7
	;;#ASMSTART
	s_wakeup
	;;#ASMEND
.LBB2_2565:
	s_or_b32 exec_lo, exec_lo, s6
.LBB2_2566:
	s_andn2_saveexec_b32 s4, s4
	s_cbranch_execz .LBB2_2568
; %bb.2567:
	s_waitcnt lgkmcnt(0)
	s_waitcnt_vscnt null, 0x0
	buffer_gl1_inv
	buffer_gl0_inv
	s_barrier
.LBB2_2568:
	s_or_b32 exec_lo, exec_lo, s5
.LBB2_2569:
	s_andn2_saveexec_b32 s25, s15
	s_cbranch_execz .LBB2_2571
; %bb.2570:
	s_getpc_b64 s[4:5]
	s_add_u32 s4, s4, __PRETTY_FUNCTION__._ZN10PrimitivesI11rccl_float87FuncSumIS0_E12FanSymmetricILi1EELi0E11ProtoSimpleILi1ELi1ELi0ELi1ELi0ELi0EELi0ELb0ELi0ELi0ELi0EEC2EiiPKiS9_PKvPvmhhhP15ncclDevWorkCollP14ncclDevWorkP2pii@rel32@lo+4
	s_addc_u32 s5, s5, __PRETTY_FUNCTION__._ZN10PrimitivesI11rccl_float87FuncSumIS0_E12FanSymmetricILi1EELi0E11ProtoSimpleILi1ELi1ELi0ELi1ELi0ELi0EELi0ELb0ELi0ELi0ELi0EEC2EiiPKiS9_PKvPvmhhhP15ncclDevWorkCollP14ncclDevWorkP2pii@rel32@hi+12
	v_mov_b32_e32 v0, s4
	v_mov_b32_e32 v1, s5
	s_getpc_b64 s[6:7]
	s_add_u32 s6, s6, __assert_fail@rel32@lo+4
	s_addc_u32 s7, s7, __assert_fail@rel32@hi+12
	s_swappc_b64 s[30:31], s[6:7]
	; divergent unreachable
.LBB2_2571:
	s_or_b32 exec_lo, exec_lo, s25
	s_clause 0xb
	buffer_load_dword v59, off, s[0:3], s33
	buffer_load_dword v58, off, s[0:3], s33 offset:4
	buffer_load_dword v57, off, s[0:3], s33 offset:8
	buffer_load_dword v56, off, s[0:3], s33 offset:12
	buffer_load_dword v47, off, s[0:3], s33 offset:16
	buffer_load_dword v46, off, s[0:3], s33 offset:20
	buffer_load_dword v45, off, s[0:3], s33 offset:24
	buffer_load_dword v44, off, s[0:3], s33 offset:28
	buffer_load_dword v43, off, s[0:3], s33 offset:32
	buffer_load_dword v42, off, s[0:3], s33 offset:36
	buffer_load_dword v41, off, s[0:3], s33 offset:40
	buffer_load_dword v40, off, s[0:3], s33 offset:44
	v_readlane_b32 s30, v60, 0
	v_readlane_b32 s31, v60, 1
	s_mov_b32 s32, s33
	s_or_saveexec_b32 s4, -1
	buffer_load_dword v60, off, s[0:3], s33 offset:48 ; 4-byte Folded Reload
	s_mov_b32 exec_lo, s4
	s_mov_b32 s33, s47
	s_waitcnt vmcnt(0) lgkmcnt(0)
	s_setpc_b64 s[30:31]
.Lfunc_end2:
	.size	_ZN12_GLOBAL__N_17runRingI11rccl_float87FuncSumIS1_E11ProtoSimpleILi1ELi1ELi0ELi1ELi0ELi0EELi0ELi1ELi0EEEviiP15ncclDevWorkColl, .Lfunc_end2-_ZN12_GLOBAL__N_17runRingI11rccl_float87FuncSumIS1_E11ProtoSimpleILi1ELi1ELi0ELi1ELi0ELi0EELi0ELi1ELi0EEEviiP15ncclDevWorkColl
                                        ; -- End function
	.set .L_ZN12_GLOBAL__N_17runRingI11rccl_float87FuncSumIS1_E11ProtoSimpleILi1ELi1ELi0ELi1ELi0ELi0EELi0ELi1ELi0EEEviiP15ncclDevWorkColl.num_vgpr, max(120, .L__assert_fail.num_vgpr)
	.set .L_ZN12_GLOBAL__N_17runRingI11rccl_float87FuncSumIS1_E11ProtoSimpleILi1ELi1ELi0ELi1ELi0ELi0EELi0ELi1ELi0EEEviiP15ncclDevWorkColl.num_agpr, max(0, .L__assert_fail.num_agpr)
	.set .L_ZN12_GLOBAL__N_17runRingI11rccl_float87FuncSumIS1_E11ProtoSimpleILi1ELi1ELi0ELi1ELi0ELi0EELi0ELi1ELi0EEEviiP15ncclDevWorkColl.numbered_sgpr, max(48, .L__assert_fail.numbered_sgpr)
	.set .L_ZN12_GLOBAL__N_17runRingI11rccl_float87FuncSumIS1_E11ProtoSimpleILi1ELi1ELi0ELi1ELi0ELi0EELi0ELi1ELi0EEEviiP15ncclDevWorkColl.num_named_barrier, max(0, .L__assert_fail.num_named_barrier)
	.set .L_ZN12_GLOBAL__N_17runRingI11rccl_float87FuncSumIS1_E11ProtoSimpleILi1ELi1ELi0ELi1ELi0ELi0EELi0ELi1ELi0EEEviiP15ncclDevWorkColl.private_seg_size, 64+max(.L__assert_fail.private_seg_size)
	.set .L_ZN12_GLOBAL__N_17runRingI11rccl_float87FuncSumIS1_E11ProtoSimpleILi1ELi1ELi0ELi1ELi0ELi0EELi0ELi1ELi0EEEviiP15ncclDevWorkColl.uses_vcc, or(1, .L__assert_fail.uses_vcc)
	.set .L_ZN12_GLOBAL__N_17runRingI11rccl_float87FuncSumIS1_E11ProtoSimpleILi1ELi1ELi0ELi1ELi0ELi0EELi0ELi1ELi0EEEviiP15ncclDevWorkColl.uses_flat_scratch, or(1, .L__assert_fail.uses_flat_scratch)
	.set .L_ZN12_GLOBAL__N_17runRingI11rccl_float87FuncSumIS1_E11ProtoSimpleILi1ELi1ELi0ELi1ELi0ELi0EELi0ELi1ELi0EEEviiP15ncclDevWorkColl.has_dyn_sized_stack, or(0, .L__assert_fail.has_dyn_sized_stack)
	.set .L_ZN12_GLOBAL__N_17runRingI11rccl_float87FuncSumIS1_E11ProtoSimpleILi1ELi1ELi0ELi1ELi0ELi0EELi0ELi1ELi0EEEviiP15ncclDevWorkColl.has_recursion, or(1, .L__assert_fail.has_recursion)
	.set .L_ZN12_GLOBAL__N_17runRingI11rccl_float87FuncSumIS1_E11ProtoSimpleILi1ELi1ELi0ELi1ELi0ELi0EELi0ELi1ELi0EEEviiP15ncclDevWorkColl.has_indirect_call, or(0, .L__assert_fail.has_indirect_call)
	.section	.AMDGPU.csdata,"",@progbits
; Function info:
; codeLenInByte = 91456
; TotalNumSgprs: 50
; NumVgprs: 120
; ScratchSize: 128
; MemoryBound: 1
	.text
	.p2align	2                               ; -- Begin function _Z47ncclDevFunc_Reduce_RING_SIMPLE_Sum_f8e4m3_0_0_1v
	.type	_Z47ncclDevFunc_Reduce_RING_SIMPLE_Sum_f8e4m3_0_0_1v,@function
_Z47ncclDevFunc_Reduce_RING_SIMPLE_Sum_f8e4m3_0_0_1v: ; @_Z47ncclDevFunc_Reduce_RING_SIMPLE_Sum_f8e4m3_0_0_1v
; %bb.0:
	s_waitcnt vmcnt(0) expcnt(0) lgkmcnt(0)
	s_mov_b32 s61, s33
	s_mov_b32 s33, s32
	s_or_saveexec_b32 s4, -1
	buffer_store_dword v43, off, s[0:3], s33 offset:16 ; 4-byte Folded Spill
	s_mov_b32 exec_lo, s4
	s_addk_i32 s32, 0x400
	buffer_store_dword v40, off, s[0:3], s33 offset:12 ; 4-byte Folded Spill
	buffer_store_dword v41, off, s[0:3], s33 offset:8 ; 4-byte Folded Spill
	;; [unrolled: 1-line block ×3, first 2 shown]
	buffer_store_dword v60, off, s[0:3], s33 ; 4-byte Folded Spill
	v_writelane_b32 v43, s30, 0
	v_writelane_b32 v43, s31, 1
	s_trap 2
	ds_read_b32 v0, v0
	v_mov_b32_e32 v40, v31
	s_waitcnt lgkmcnt(0)
	v_cmp_gt_i32_e32 vcc_lo, 1, v0
	s_cbranch_vccnz .LBB3_8
; %bb.1:
	v_and_b32_e32 v41, 0x3ff, v40
	v_mov_b32_e32 v42, 5
	s_mov_b32 s58, s12
	s_mov_b64 s[56:57], s[8:9]
	s_mov_b32 s59, 0
	s_inst_prefetch 0x1
	s_branch .LBB3_3
	.p2align	6
.LBB3_2:                                ;   in Loop: Header=BB3_3 Depth=1
	s_or_b32 exec_lo, exec_lo, s60
	s_trap 2
	ds_read_b32 v0, v0
	s_add_i32 s59, s59, 1
	s_waitcnt lgkmcnt(0)
	v_cmp_lt_i32_e32 vcc_lo, s59, v0
	s_cbranch_vccz .LBB3_8
.LBB3_3:                                ; =>This Inner Loop Header: Depth=1
	s_trap 2
	ds_read_b32 v0, v0
	s_cmp_eq_u32 s59, 0
	s_cbranch_scc1 .LBB3_6
; %bb.4:                                ;   in Loop: Header=BB3_3 Depth=1
	s_trap 2
	s_waitcnt lgkmcnt(0)
	ds_read_b32 v1, v0
	s_waitcnt lgkmcnt(0)
	v_xor_b32_e32 v1, v1, v0
	v_and_b32_e32 v1, 0xff0000, v1
	v_cmp_eq_u32_e32 vcc_lo, 0, v1
	s_cbranch_vccnz .LBB3_6
; %bb.5:                                ;   in Loop: Header=BB3_3 Depth=1
	s_waitcnt_vscnt null, 0x0
	s_barrier
	buffer_gl0_inv
	ds_read_b32 v0, v0
.LBB3_6:                                ;   in Loop: Header=BB3_3 Depth=1
	s_waitcnt lgkmcnt(0)
	v_lshlrev_b32_sdwa v1, v42, v0 dst_sel:DWORD dst_unused:UNUSED_PAD src0_sel:DWORD src1_sel:BYTE_2
	s_mov_b32 s60, exec_lo
	v_cmpx_lt_u32_e64 v41, v1
	s_cbranch_execz .LBB3_2
; %bb.7:                                ;   in Loop: Header=BB3_3 Depth=1
	s_mov_b64 s[4:5], src_shared_base
	v_mov_b32_e32 v31, v40
	v_mov_b32_e32 v0, v41
	;; [unrolled: 1-line block ×3, first 2 shown]
	s_getpc_b64 s[6:7]
	s_add_u32 s6, s6, _ZN12_GLOBAL__N_17runRingI11rccl_float87FuncSumIS1_E11ProtoSimpleILi1ELi1ELi0ELi1ELi0ELi0EELi0ELi1ELi0EEEviiP15ncclDevWorkColl@rel32@lo+4
	s_addc_u32 s7, s7, _ZN12_GLOBAL__N_17runRingI11rccl_float87FuncSumIS1_E11ProtoSimpleILi1ELi1ELi0ELi1ELi0ELi0EELi0ELi1ELi0EEEviiP15ncclDevWorkColl@rel32@hi+12
	s_mov_b64 s[8:9], s[56:57]
	s_mov_b32 s12, s58
	s_swappc_b64 s[30:31], s[6:7]
	s_branch .LBB3_2
.LBB3_8:
	s_inst_prefetch 0x2
	s_clause 0x3
	buffer_load_dword v60, off, s[0:3], s33
	buffer_load_dword v42, off, s[0:3], s33 offset:4
	buffer_load_dword v41, off, s[0:3], s33 offset:8
	;; [unrolled: 1-line block ×3, first 2 shown]
	v_readlane_b32 s30, v43, 0
	v_readlane_b32 s31, v43, 1
	s_mov_b32 s32, s33
	s_or_saveexec_b32 s4, -1
	buffer_load_dword v43, off, s[0:3], s33 offset:16 ; 4-byte Folded Reload
	s_mov_b32 exec_lo, s4
	s_mov_b32 s33, s61
	s_waitcnt vmcnt(0)
	s_setpc_b64 s[30:31]
.Lfunc_end3:
	.size	_Z47ncclDevFunc_Reduce_RING_SIMPLE_Sum_f8e4m3_0_0_1v, .Lfunc_end3-_Z47ncclDevFunc_Reduce_RING_SIMPLE_Sum_f8e4m3_0_0_1v
                                        ; -- End function
	.set .L_Z47ncclDevFunc_Reduce_RING_SIMPLE_Sum_f8e4m3_0_0_1v.num_vgpr, max(61, .L_ZN12_GLOBAL__N_17runRingI11rccl_float87FuncSumIS1_E11ProtoSimpleILi1ELi1ELi0ELi1ELi0ELi0EELi0ELi1ELi0EEEviiP15ncclDevWorkColl.num_vgpr)
	.set .L_Z47ncclDevFunc_Reduce_RING_SIMPLE_Sum_f8e4m3_0_0_1v.num_agpr, max(0, .L_ZN12_GLOBAL__N_17runRingI11rccl_float87FuncSumIS1_E11ProtoSimpleILi1ELi1ELi0ELi1ELi0ELi0EELi0ELi1ELi0EEEviiP15ncclDevWorkColl.num_agpr)
	.set .L_Z47ncclDevFunc_Reduce_RING_SIMPLE_Sum_f8e4m3_0_0_1v.numbered_sgpr, max(62, .L_ZN12_GLOBAL__N_17runRingI11rccl_float87FuncSumIS1_E11ProtoSimpleILi1ELi1ELi0ELi1ELi0ELi0EELi0ELi1ELi0EEEviiP15ncclDevWorkColl.numbered_sgpr)
	.set .L_Z47ncclDevFunc_Reduce_RING_SIMPLE_Sum_f8e4m3_0_0_1v.num_named_barrier, max(0, .L_ZN12_GLOBAL__N_17runRingI11rccl_float87FuncSumIS1_E11ProtoSimpleILi1ELi1ELi0ELi1ELi0ELi0EELi0ELi1ELi0EEEviiP15ncclDevWorkColl.num_named_barrier)
	.set .L_Z47ncclDevFunc_Reduce_RING_SIMPLE_Sum_f8e4m3_0_0_1v.private_seg_size, 32+max(.L_ZN12_GLOBAL__N_17runRingI11rccl_float87FuncSumIS1_E11ProtoSimpleILi1ELi1ELi0ELi1ELi0ELi0EELi0ELi1ELi0EEEviiP15ncclDevWorkColl.private_seg_size)
	.set .L_Z47ncclDevFunc_Reduce_RING_SIMPLE_Sum_f8e4m3_0_0_1v.uses_vcc, or(1, .L_ZN12_GLOBAL__N_17runRingI11rccl_float87FuncSumIS1_E11ProtoSimpleILi1ELi1ELi0ELi1ELi0ELi0EELi0ELi1ELi0EEEviiP15ncclDevWorkColl.uses_vcc)
	.set .L_Z47ncclDevFunc_Reduce_RING_SIMPLE_Sum_f8e4m3_0_0_1v.uses_flat_scratch, or(0, .L_ZN12_GLOBAL__N_17runRingI11rccl_float87FuncSumIS1_E11ProtoSimpleILi1ELi1ELi0ELi1ELi0ELi0EELi0ELi1ELi0EEEviiP15ncclDevWorkColl.uses_flat_scratch)
	.set .L_Z47ncclDevFunc_Reduce_RING_SIMPLE_Sum_f8e4m3_0_0_1v.has_dyn_sized_stack, or(0, .L_ZN12_GLOBAL__N_17runRingI11rccl_float87FuncSumIS1_E11ProtoSimpleILi1ELi1ELi0ELi1ELi0ELi0EELi0ELi1ELi0EEEviiP15ncclDevWorkColl.has_dyn_sized_stack)
	.set .L_Z47ncclDevFunc_Reduce_RING_SIMPLE_Sum_f8e4m3_0_0_1v.has_recursion, or(1, .L_ZN12_GLOBAL__N_17runRingI11rccl_float87FuncSumIS1_E11ProtoSimpleILi1ELi1ELi0ELi1ELi0ELi0EELi0ELi1ELi0EEEviiP15ncclDevWorkColl.has_recursion)
	.set .L_Z47ncclDevFunc_Reduce_RING_SIMPLE_Sum_f8e4m3_0_0_1v.has_indirect_call, or(0, .L_ZN12_GLOBAL__N_17runRingI11rccl_float87FuncSumIS1_E11ProtoSimpleILi1ELi1ELi0ELi1ELi0ELi0EELi0ELi1ELi0EEEviiP15ncclDevWorkColl.has_indirect_call)
	.section	.AMDGPU.csdata,"",@progbits
; Function info:
; codeLenInByte = 476
; TotalNumSgprs: 64
; NumVgprs: 120
; ScratchSize: 160
; MemoryBound: 0
	.text
	.p2align	2                               ; -- Begin function _ZN12_GLOBAL__N_17runRingI11rccl_float87FuncSumIS1_E11ProtoSimpleILi1ELi1ELi0ELi2ELi0ELi0EELi0ELi2ELi0EEEviiP15ncclDevWorkColl
	.type	_ZN12_GLOBAL__N_17runRingI11rccl_float87FuncSumIS1_E11ProtoSimpleILi1ELi1ELi0ELi2ELi0ELi0EELi0ELi2ELi0EEEviiP15ncclDevWorkColl,@function
_ZN12_GLOBAL__N_17runRingI11rccl_float87FuncSumIS1_E11ProtoSimpleILi1ELi1ELi0ELi2ELi0ELi0EELi0ELi2ELi0EEEviiP15ncclDevWorkColl: ; @_ZN12_GLOBAL__N_17runRingI11rccl_float87FuncSumIS1_E11ProtoSimpleILi1ELi1ELi0ELi2ELi0ELi0EELi0ELi2ELi0EEEviiP15ncclDevWorkColl
; %bb.0:
	s_waitcnt vmcnt(0) expcnt(0) lgkmcnt(0)
	s_mov_b32 s47, s33
	s_mov_b32 s33, s32
	s_or_saveexec_b32 s4, -1
	buffer_store_dword v88, off, s[0:3], s33 offset:96 ; 4-byte Folded Spill
	s_mov_b32 exec_lo, s4
	s_addk_i32 s32, 0xe00
	buffer_store_dword v40, off, s[0:3], s33 offset:92 ; 4-byte Folded Spill
	buffer_store_dword v41, off, s[0:3], s33 offset:88 ; 4-byte Folded Spill
	;; [unrolled: 1-line block ×23, first 2 shown]
	buffer_store_dword v79, off, s[0:3], s33 ; 4-byte Folded Spill
	v_writelane_b32 v88, s30, 0
	v_writelane_b32 v88, s31, 1
	s_trap 2
	ds_read_b64 v[14:15], v0
	ds_read_b32 v6, v0
	flat_load_dwordx2 v[8:9], v[2:3]
                                        ; implicit-def: $vgpr17_vgpr18
                                        ; implicit-def: $vgpr26_vgpr27
	s_waitcnt lgkmcnt(2)
	v_ashrrev_i32_e32 v5, 31, v15
	v_mov_b32_e32 v4, v15
	v_lshlrev_b64 v[4:5], 2, v[4:5]
	v_add_co_u32 v4, vcc_lo, v14, v4
	v_add_co_ci_u32_e64 v5, null, v15, v5, vcc_lo
	v_add_co_u32 v4, vcc_lo, -4, v4
	v_add_co_ci_u32_e64 v5, null, -1, v5, vcc_lo
	flat_load_ushort v16, v[2:3] offset:8
	flat_load_dword v24, v[4:5]
                                        ; implicit-def: $vgpr4_vgpr5
	s_waitcnt vmcnt(2) lgkmcnt(2)
	v_mov_b32_e32 v15, v9
	v_cmp_ne_u32_sdwa s4, v6, v8 src0_sel:DWORD src1_sel:BYTE_0
	s_and_saveexec_b32 s5, s4
	s_xor_b32 s4, exec_lo, s5
	s_cbranch_execz .LBB4_6
; %bb.1:
	v_not_b32_sdwa v9, v8 dst_sel:DWORD dst_unused:UNUSED_PAD src0_sel:BYTE_0
	v_cmp_ne_u32_sdwa s5, v6, v8 src0_sel:DWORD src1_sel:BYTE_1
                                        ; implicit-def: $vgpr17_vgpr18
                                        ; implicit-def: $vgpr4_vgpr5
                                        ; implicit-def: $vgpr26_vgpr27
	s_and_saveexec_b32 s6, s5
	s_xor_b32 s5, exec_lo, s6
	s_cbranch_execz .LBB4_3
; %bb.2:
	s_clause 0x1
	flat_load_dwordx4 v[10:13], v[2:3] offset:72
	flat_load_dwordx2 v[4:5], v[2:3] offset:96
	v_add_nc_u32_e32 v6, v6, v9
                                        ; implicit-def: $vgpr8
                                        ; implicit-def: $vgpr9
	v_ashrrev_i32_e32 v7, 31, v6
	s_waitcnt vmcnt(1) lgkmcnt(1)
	v_mul_lo_u32 v7, v12, v7
	v_mad_u64_u32 v[26:27], null, v12, v6, v[10:11]
	v_mul_lo_u32 v6, v13, v6
	s_waitcnt vmcnt(0) lgkmcnt(0)
	v_lshrrev_b64 v[17:18], 12, v[4:5]
	v_mov_b32_e32 v4, v12
	v_mov_b32_e32 v5, v13
	v_add3_u32 v27, v6, v27, v7
.LBB4_3:
	s_andn2_saveexec_b32 s5, s5
	s_cbranch_execz .LBB4_5
; %bb.4:
	s_clause 0x1
	flat_load_dwordx4 v[10:13], v[2:3] offset:72
	flat_load_dwordx4 v[4:7], v[2:3] offset:88
	s_waitcnt vmcnt(0) lgkmcnt(0)
	v_add_nc_u32_sdwa v6, v8, v9 dst_sel:DWORD dst_unused:UNUSED_PAD src0_sel:BYTE_1 src1_sel:DWORD
	v_ashrrev_i32_e32 v8, 31, v6
	v_mul_lo_u32 v8, v12, v8
	v_mad_u64_u32 v[26:27], null, v12, v6, v[10:11]
	v_mul_lo_u32 v6, v13, v6
	v_lshrrev_b32_e32 v17, 1, v7
	v_add3_u32 v27, v6, v27, v8
.LBB4_5:
	s_or_b32 exec_lo, exec_lo, s5
.LBB4_6:
	s_andn2_saveexec_b32 s4, s4
	s_cbranch_execz .LBB4_8
; %bb.7:
	s_clause 0x1
	flat_load_dwordx2 v[6:7], v[2:3] offset:96
	flat_load_dwordx2 v[4:5], v[2:3] offset:72
	v_mov_b32_e32 v26, 0
	v_mov_b32_e32 v27, 0
	s_waitcnt vmcnt(1) lgkmcnt(1)
	v_lshlrev_b64 v[17:18], 9, v[6:7]
.LBB4_8:
	s_or_b32 exec_lo, exec_lo, s4
	s_trap 2
	ds_read_b64 v[6:7], v0
	s_mov_b32 s5, exec_lo
	s_waitcnt lgkmcnt(0)
	v_cmp_ne_u32_e32 vcc_lo, -1, v6
	v_cndmask_b32_e64 v64, 0, 1, vcc_lo
	v_cmp_ne_u32_e32 vcc_lo, -1, v7
	v_add_co_ci_u32_e64 v6, null, 0, v64, vcc_lo
	v_lshlrev_b32_e32 v7, 1, v6
	v_cmpx_le_u32_e64 v7, v1
	s_xor_b32 s15, exec_lo, s5
	s_cbranch_execnz .LBB4_9
; %bb.3728:
	s_getpc_b64 s[34:35]
.Lpost_getpc0:
	s_add_u32 s34, s34, (.LBB4_3725-.Lpost_getpc0)&4294967295
	s_addc_u32 s35, s35, (.LBB4_3725-.Lpost_getpc0)>>32
	s_setpc_b64 s[34:35]
.LBB4_9:
	s_clause 0x1
	flat_load_dwordx4 v[10:13], v[2:3] offset:16
	flat_load_dwordx2 v[18:19], v[2:3] offset:104
	s_trap 2
	s_load_dword s4, s[8:9], 0x0
	v_mov_b32_e32 v2, 0
	v_mov_b32_e32 v84, 4
	s_waitcnt lgkmcnt(0)
	s_cmp_lt_u32 s12, s4
	s_cselect_b32 s4, 12, 18
	s_add_u32 s4, s8, s4
	s_addc_u32 s5, s9, 0
	global_load_ushort v30, v2, s[4:5]
	ds_read_b32 v2, v0
	s_mov_b32 s5, exec_lo
	s_waitcnt lgkmcnt(0)
	v_readfirstlane_b32 s16, v2
	v_cmpx_ge_i32_e64 v0, v64
	s_cbranch_execz .LBB4_19
; %bb.10:
	v_cmp_ge_u32_e64 s4, v0, v6
                                        ; implicit-def: $vgpr84
	s_and_saveexec_b32 s6, s4
	s_xor_b32 s4, exec_lo, s6
	s_cbranch_execz .LBB4_16
; %bb.11:
	v_cndmask_b32_e64 v2, 0, 1, vcc_lo
	s_mov_b32 s6, exec_lo
	v_sub_nc_u32_e32 v2, v1, v2
	v_cmpx_ge_u32_e64 v0, v2
	s_xor_b32 s6, exec_lo, s6
; %bb.12:
                                        ; implicit-def: $vgpr6
; %bb.13:
	s_or_saveexec_b32 s6, s6
	v_mov_b32_e32 v84, 16
	s_xor_b32 exec_lo, exec_lo, s6
; %bb.14:
	v_sub_nc_u32_e32 v2, v1, v6
	v_cmp_lt_i32_e32 vcc_lo, v0, v2
	v_cndmask_b32_e64 v84, 32, 0, vcc_lo
; %bb.15:
	s_or_b32 exec_lo, exec_lo, s6
.LBB4_16:
	s_andn2_saveexec_b32 s4, s4
; %bb.17:
	v_mov_b32_e32 v84, 8
; %bb.18:
	s_or_b32 exec_lo, exec_lo, s4
.LBB4_19:
	s_or_b32 exec_lo, exec_lo, s5
	v_and_b32_e32 v2, 36, v84
	v_mov_b32_e32 v20, -1
	v_cmp_ne_u32_e32 vcc_lo, 0, v2
	s_and_saveexec_b32 s4, vcc_lo
	s_cbranch_execz .LBB4_21
; %bb.20:
	s_trap 2
	ds_read_b32 v20, v0
.LBB4_21:
	s_or_b32 exec_lo, exec_lo, s4
	v_and_b32_e32 v2, 24, v84
	s_mov_b32 s5, exec_lo
	v_cmpx_ne_u32_e32 0, v2
	s_cbranch_execz .LBB4_23
; %bb.22:
	s_trap 2
	s_waitcnt lgkmcnt(0)
	ds_read_b32 v20, v0
.LBB4_23:
	s_or_b32 exec_lo, exec_lo, s5
	s_waitcnt vmcnt(4)
	v_lshrrev_b64 v[2:3], 31, v[15:16]
	v_mov_b32_e32 v28, 0
	v_mov_b32_e32 v6, 0
	;; [unrolled: 1-line block ×3, first 2 shown]
	s_waitcnt lgkmcnt(0)
	v_ashrrev_i32_e32 v21, 31, v20
	v_mov_b32_e32 v7, 0
	v_and_b32_e32 v2, 3, v2
                                        ; implicit-def: $vgpr85
                                        ; implicit-def: $vgpr36_vgpr37
                                        ; implicit-def: $vgpr34_vgpr35
                                        ; implicit-def: $vgpr32_vgpr33
	v_and_b32_e32 v16, 0xffff, v2
                                        ; implicit-def: $vgpr2_vgpr3
	s_and_saveexec_b32 s4, vcc_lo
	s_cbranch_execz .LBB4_33
; %bb.24:
	s_trap 2
	ds_read_b64 v[2:3], v0
	v_lshlrev_b64 v[6:7], 3, v[20:21]
	s_waitcnt lgkmcnt(0)
	v_add_co_u32 v2, vcc_lo, v2, v6
	v_add_co_ci_u32_e64 v3, null, v3, v7, vcc_lo
	flat_load_dwordx2 v[2:3], v[2:3]
	s_waitcnt vmcnt(0) lgkmcnt(0)
	v_mad_u64_u32 v[22:23], null, 0xa8, v16, v[2:3]
	flat_load_dword v2, v[22:23] offset:640
	s_waitcnt vmcnt(0) lgkmcnt(0)
	v_cmp_eq_u32_e32 vcc_lo, 1, v2
                                        ; implicit-def: $vgpr2_vgpr3
	s_and_saveexec_b32 s5, vcc_lo
	s_cbranch_execz .LBB4_26
; %bb.25:
	flat_load_dwordx2 v[2:3], v[22:23] offset:648
	v_or_b32_e32 v84, 0x2000, v84
	s_waitcnt vmcnt(0) lgkmcnt(0)
	flat_load_dwordx2 v[6:7], v[2:3]
	s_trap 2
	s_waitcnt vmcnt(0) lgkmcnt(0)
	ds_write_b64 v0, v[6:7]
	flat_load_dwordx2 v[6:7], v[2:3] offset:8
	s_waitcnt vmcnt(0) lgkmcnt(0)
	ds_write_b64 v0, v[6:7]
	flat_load_dwordx2 v[6:7], v[2:3] offset:16
	s_waitcnt vmcnt(0) lgkmcnt(0)
	ds_write_b64 v0, v[6:7]
.LBB4_26:
	s_or_b32 exec_lo, exec_lo, s5
	flat_load_dwordx2 v[8:9], v[22:23] offset:608
	v_and_b32_e32 v6, 32, v84
	s_mov_b32 s5, exec_lo
                                        ; implicit-def: $vgpr32_vgpr33
	v_cmpx_ne_u32_e32 0, v6
	s_cbranch_execz .LBB4_28
; %bb.27:
	flat_load_dwordx2 v[32:33], v[22:23] offset:560
	s_waitcnt vmcnt(0) lgkmcnt(0)
	s_waitcnt_vscnt null, 0x0
	flat_store_dwordx2 v[32:33], v[8:9]
.LBB4_28:
	s_or_b32 exec_lo, exec_lo, s5
	v_add_co_u32 v28, vcc_lo, 0x1f8, v22
	v_mov_b32_e32 v6, 0
	v_and_b32_e32 v25, 4, v84
	v_add_co_ci_u32_e64 v29, null, 0, v23, vcc_lo
	v_mov_b32_e32 v7, 0
	s_mov_b32 s5, exec_lo
                                        ; implicit-def: $vgpr85
                                        ; implicit-def: $vgpr36_vgpr37
                                        ; implicit-def: $vgpr34_vgpr35
	v_cmpx_ne_u32_e32 0, v25
	s_cbranch_execz .LBB4_32
; %bb.29:
	v_and_b32_e32 v6, 0x800, v84
	s_mov_b32 s6, exec_lo
	v_cmpx_eq_u32_e32 0, v6
	s_cbranch_execz .LBB4_31
; %bb.30:
	s_trap 2
	ds_write_b64 v0, v[28:29]
.LBB4_31:
	s_or_b32 exec_lo, exec_lo, s6
	flat_load_dwordx2 v[32:33], v[22:23] offset:552
	s_waitcnt vmcnt(0) lgkmcnt(0)
	flat_load_dwordx2 v[36:37], v[32:33] glc dlc
	s_clause 0x2
	flat_load_dwordx2 v[6:7], v[22:23] offset:600
	flat_load_dword v85, v[22:23] offset:576
	flat_load_dwordx2 v[34:35], v[22:23] offset:520
	v_or_b32_e32 v22, 0x100, v84
	s_waitcnt vmcnt(2) lgkmcnt(2)
	v_cmp_eq_u64_e32 vcc_lo, 0, v[6:7]
	v_cndmask_b32_e32 v84, v22, v84, vcc_lo
.LBB4_32:
	s_or_b32 exec_lo, exec_lo, s5
.LBB4_33:
	s_or_b32 exec_lo, exec_lo, s4
	v_and_b32_e32 v22, 24, v84
	s_mov_b32 s4, exec_lo
                                        ; implicit-def: $vgpr50_vgpr51
	v_cmpx_ne_u32_e32 0, v22
	s_cbranch_execz .LBB4_41
; %bb.34:
	s_trap 2
	ds_read_b64 v[6:7], v0
	s_waitcnt vmcnt(0) lgkmcnt(1)
	v_lshlrev_b64 v[8:9], 3, v[20:21]
	s_mov_b32 s5, exec_lo
                                        ; implicit-def: $vgpr50_vgpr51
	s_waitcnt lgkmcnt(0)
	v_add_co_u32 v6, vcc_lo, v6, v8
	v_add_co_ci_u32_e64 v7, null, v7, v9, vcc_lo
	flat_load_dwordx2 v[6:7], v[6:7]
	s_waitcnt vmcnt(0) lgkmcnt(0)
	v_mad_u64_u32 v[28:29], null, 0xa8, v16, v[6:7]
	v_or_b32_e32 v16, 0x100, v84
	flat_load_dwordx4 v[6:9], v[28:29] offset:96
	s_waitcnt vmcnt(0) lgkmcnt(0)
	v_cmp_eq_u64_e32 vcc_lo, 0, v[6:7]
	v_cndmask_b32_e32 v84, v16, v84, vcc_lo
	v_and_b32_e32 v16, 16, v84
	v_cmpx_ne_u32_e32 0, v16
	s_cbranch_execz .LBB4_36
; %bb.35:
	s_clause 0x2
	flat_load_dwordx2 v[32:33], v[28:29] offset:48
	flat_load_dwordx2 v[50:51], v[28:29] offset:120
	;; [unrolled: 1-line block ×3, first 2 shown]
.LBB4_36:
	s_or_b32 exec_lo, exec_lo, s5
	v_and_b32_e32 v16, 8, v84
	s_mov_b32 s5, exec_lo
	v_cmpx_ne_u32_e32 0, v16
	s_cbranch_execz .LBB4_40
; %bb.37:
	v_and_b32_e32 v16, 0x800, v84
	s_mov_b32 s6, exec_lo
	v_cmpx_eq_u32_e32 0, v16
	s_cbranch_execz .LBB4_39
; %bb.38:
	s_trap 2
	ds_write_b64 v0, v[28:29]
.LBB4_39:
	s_or_b32 exec_lo, exec_lo, s6
	s_waitcnt vmcnt(2) lgkmcnt(2)
	flat_load_dwordx2 v[32:33], v[28:29] offset:56
	s_waitcnt vmcnt(0) lgkmcnt(0)
	flat_load_dwordx2 v[36:37], v[32:33] glc dlc
	s_clause 0x1
	flat_load_dword v85, v[28:29] offset:72
	flat_load_dwordx2 v[34:35], v[28:29] offset:16
.LBB4_40:
	s_or_b32 exec_lo, exec_lo, s5
.LBB4_41:
	s_or_b32 exec_lo, exec_lo, s4
	v_cmp_eq_u32_e64 s4, 0, v0
	s_and_saveexec_b32 s5, s4
	s_cbranch_execz .LBB4_43
; %bb.42:
	v_mov_b32_e32 v20, 0
	s_waitcnt vmcnt(2)
	ds_write2_b64 v0, v[12:13], v[10:11] offset1:1
	s_trap 2
	v_mov_b32_e32 v21, v20
	ds_write_b64 v0, v[20:21]
	s_waitcnt vmcnt(1)
	ds_write_b64 v0, v[18:19]
.LBB4_43:
	s_or_b32 exec_lo, exec_lo, s5
	s_waitcnt vmcnt(2)
	v_bfe_u32 v10, v15, 1, 30
	v_and_b32_e32 v48, 0x3ffffe00, v17
	v_mov_b32_e32 v49, 0
                                        ; implicit-def: $vgpr38_vgpr39
	s_mov_b32 s5, exec_lo
	v_cmpx_ne_u32_e64 v24, v10
	s_xor_b32 s17, exec_lo, s5
	s_cbranch_execz .LBB4_3517
; %bb.44:
                                        ; implicit-def: $vgpr38_vgpr39
	s_mov_b32 s5, exec_lo
	v_cmpx_ne_u32_e64 v14, v10
	s_xor_b32 s18, exec_lo, s5
	s_cbranch_execz .LBB4_1786
; %bb.45:
	v_mov_b32_e32 v38, 0
	v_mov_b32_e32 v39, 0
	s_mov_b32 s19, exec_lo
	v_cmpx_ne_u64_e32 0, v[4:5]
	s_cbranch_execz .LBB4_1785
; %bb.46:
	v_ashrrev_i32_e32 v10, 31, v0
	v_and_b32_e32 v11, 31, v31
	v_lshrrev_b32_e32 v87, 5, v1
	s_ashr_i32 s10, s16, 31
	v_cmp_eq_u32_e32 vcc_lo, 32, v1
	v_lshrrev_b32_e32 v10, 27, v10
	s_lshr_b32 s10, s10, 24
	v_mov_b32_e32 v54, 0
	s_waitcnt vmcnt(1) lgkmcnt(1)
	v_cmp_eq_u64_e64 s7, 0, v[50:51]
	v_mov_b32_e32 v38, 0
	v_add_nc_u32_e32 v10, v0, v10
	v_cmp_ge_i32_e64 s5, v0, v1
	v_ashrrev_i32_e32 v86, 31, v85
	v_cmp_ne_u32_e64 s6, 32, v1
	s_waitcnt vmcnt(0)
	v_cmp_ne_u32_sdwa s20, v1, v30 src0_sel:DWORD src1_sel:WORD_0
	v_and_b32_e32 v12, 0xffffffe0, v10
	v_ashrrev_i32_e32 v97, 5, v10
	v_mov_b32_e32 v52, 0
	v_and_b32_e32 v96, 0x1fe0, v1
	v_mov_b32_e32 v55, 0
	v_sub_nc_u32_e32 v100, v0, v12
	v_lshlrev_b32_e32 v10, 10, v97
	v_mov_b32_e32 v98, 1
	v_mov_b32_e32 v99, 0x90
	;; [unrolled: 1-line block ×3, first 2 shown]
	s_add_i32 s13, s16, s10
	v_lshl_add_u32 v102, v100, 4, v10
	v_cmp_eq_u32_e64 s10, 0, v11
	v_lshlrev_b32_e32 v103, 10, v87
	v_lshlrev_b32_e32 v112, 9, v87
	v_cmp_le_i32_e64 s11, v100, v64
	v_cmp_lt_i32_e64 s12, v100, v64
	v_ashrrev_i32_e32 v113, 31, v102
	v_mov_b32_e32 v114, 0x80
	v_mov_b32_e32 v115, 0xffff
	;; [unrolled: 1-line block ×6, first 2 shown]
	s_ashr_i32 s22, s13, 8
	s_mov_b32 s21, 0
	s_xor_b32 s23, vcc_lo, -1
	s_trap 2
	s_branch .LBB4_49
.LBB4_47:                               ;   in Loop: Header=BB4_49 Depth=1
	s_or_b32 exec_lo, exec_lo, s13
.LBB4_48:                               ;   in Loop: Header=BB4_49 Depth=1
	s_or_b32 exec_lo, exec_lo, s14
	v_add_co_u32 v54, vcc_lo, v54, v48
	v_add_co_ci_u32_e64 v55, null, 0, v55, vcc_lo
	v_cmp_ge_u64_e32 vcc_lo, v[54:55], v[4:5]
	s_or_b32 s21, vcc_lo, s21
	s_andn2_b32 exec_lo, exec_lo, s21
	s_cbranch_execz .LBB4_1784
.LBB4_49:                               ; =>This Loop Header: Depth=1
                                        ;     Child Loop BB4_58 Depth 2
                                        ;     Child Loop BB4_86 Depth 2
	;; [unrolled: 1-line block ×10, first 2 shown]
	v_sub_co_u32 v10, vcc_lo, v4, v54
	v_sub_co_ci_u32_e64 v11, null, v5, v55, vcc_lo
	v_cmp_lt_u64_e32 vcc_lo, v[48:49], v[10:11]
	v_cndmask_b32_e32 v64, v10, v48, vcc_lo
	v_cndmask_b32_e64 v65, v11, 0, vcc_lo
	v_add_nc_u32_e32 v10, 15, v64
	v_cmp_eq_u64_e32 vcc_lo, 0, v[64:65]
	v_and_b32_e32 v10, 0x7ffffff0, v10
	s_or_b32 s24, s5, vcc_lo
	s_xor_b32 s13, s24, -1
	v_max_i32_e32 v65, s22, v10
	v_mov_b32_e32 v10, 0
	s_and_saveexec_b32 s25, s13
	s_cbranch_execz .LBB4_1732
; %bb.50:                               ;   in Loop: Header=BB4_49 Depth=1
	s_and_saveexec_b32 s13, s4
	s_cbranch_execz .LBB4_52
; %bb.51:                               ;   in Loop: Header=BB4_49 Depth=1
	s_trap 2
	ds_read_b64 v[10:11], v0
	v_mov_b32_e32 v53, v52
	s_waitcnt lgkmcnt(0)
	v_add_co_u32 v10, vcc_lo, v10, v26
	v_add_co_ci_u32_e64 v11, null, v11, v27, vcc_lo
	v_add_co_u32 v10, vcc_lo, v10, v54
	v_add_co_ci_u32_e64 v11, null, v11, v55, vcc_lo
	ds_write_b64 v0, v[10:11]
	ds_write_b64 v0, v[52:53]
.LBB4_52:                               ;   in Loop: Header=BB4_49 Depth=1
	s_or_b32 exec_lo, exec_lo, s13
	v_and_b32_e32 v10, 12, v84
	v_min_u32_e32 v65, v65, v64
	s_mov_b32 s14, exec_lo
	v_cmpx_ne_u32_e32 0, v10
	s_cbranch_execz .LBB4_78
; %bb.53:                               ;   in Loop: Header=BB4_49 Depth=1
	v_and_b32_e32 v14, 8, v84
	s_mov_b32 s26, exec_lo
	s_waitcnt vmcnt(0)
	v_add_co_u32 v12, vcc_lo, v36, v14
	v_add_co_ci_u32_e64 v13, null, 0, v37, vcc_lo
	s_waitcnt lgkmcnt(0)
	v_add_co_u32 v10, vcc_lo, v8, 1
	v_add_co_ci_u32_e64 v11, null, 0, v9, vcc_lo
	v_cmpx_lt_u64_e64 v[12:13], v[10:11]
	s_cbranch_execz .LBB4_65
; %bb.54:                               ;   in Loop: Header=BB4_49 Depth=1
	v_and_b32_e32 v9, 64, v84
	s_mov_b32 s27, 0
	s_mov_b32 s41, 0
                                        ; implicit-def: $sgpr28
                                        ; implicit-def: $sgpr29
                                        ; implicit-def: $sgpr40
	v_cmp_eq_u32_e32 vcc_lo, 0, v9
	s_branch .LBB4_58
.LBB4_55:                               ;   in Loop: Header=BB4_58 Depth=2
	s_waitcnt vmcnt(0) lgkmcnt(0)
	v_add_co_u32 v12, s13, v36, v14
	v_add_co_ci_u32_e64 v13, null, 0, v37, s13
	s_or_b32 s44, s44, exec_lo
	v_cmp_ge_u64_e64 s13, v[12:13], v[10:11]
	s_orn2_b32 s43, s13, exec_lo
.LBB4_56:                               ;   in Loop: Header=BB4_58 Depth=2
	s_or_b32 exec_lo, exec_lo, s46
	s_andn2_b32 s13, s40, exec_lo
	s_and_b32 s40, s44, exec_lo
	s_andn2_b32 s29, s29, exec_lo
	s_and_b32 s43, s43, exec_lo
	s_or_b32 s40, s13, s40
	s_or_b32 s29, s29, s43
.LBB4_57:                               ;   in Loop: Header=BB4_58 Depth=2
	s_or_b32 exec_lo, exec_lo, s42
	s_and_b32 s13, exec_lo, s29
	s_or_b32 s27, s13, s27
	s_andn2_b32 s13, s28, exec_lo
	s_and_b32 s28, s40, exec_lo
	s_or_b32 s28, s13, s28
	s_andn2_b32 exec_lo, exec_lo, s27
	s_cbranch_execz .LBB4_62
.LBB4_58:                               ;   Parent Loop BB4_49 Depth=1
                                        ; =>  This Inner Loop Header: Depth=2
	s_sleep 1
	s_waitcnt vmcnt(0) lgkmcnt(0)
	flat_load_dwordx2 v[36:37], v[32:33] glc dlc
	s_or_b32 s40, s40, exec_lo
	s_or_b32 s29, s29, exec_lo
                                        ; implicit-def: $vgpr9
	s_and_saveexec_b32 s42, vcc_lo
	s_cbranch_execz .LBB4_57
; %bb.59:                               ;   in Loop: Header=BB4_58 Depth=2
	s_cmpk_lt_i32 s41, 0x270f
	s_mov_b32 s43, -1
	s_cselect_b32 s45, -1, 0
	s_cmpk_gt_i32 s41, 0x270e
	s_cbranch_scc0 .LBB4_61
; %bb.60:                               ;   in Loop: Header=BB4_58 Depth=2
	s_trap 2
	ds_read_b64 v[12:13], v0
	s_andn2_b32 s41, s45, exec_lo
	s_mov_b32 s44, 0
	s_waitcnt vmcnt(0) lgkmcnt(0)
	s_waitcnt_vscnt null, 0x0
	flat_load_dword v9, v[12:13] glc dlc
	s_waitcnt vmcnt(0) lgkmcnt(0)
	buffer_gl1_inv
	buffer_gl0_inv
	v_cmp_eq_u32_e64 s13, 0, v9
	s_and_b32 s13, s13, exec_lo
	s_or_b32 s45, s41, s13
	s_mov_b32 s41, 0
	s_and_saveexec_b32 s46, s45
	s_cbranch_execz .LBB4_56
	s_branch .LBB4_55
.LBB4_61:                               ;   in Loop: Header=BB4_58 Depth=2
	s_add_i32 s41, s41, 1
	s_mov_b32 s44, -1
                                        ; implicit-def: $vgpr9
	s_and_saveexec_b32 s46, s45
	s_cbranch_execz .LBB4_56
	s_branch .LBB4_55
.LBB4_62:                               ;   in Loop: Header=BB4_49 Depth=1
	s_or_b32 exec_lo, exec_lo, s27
	s_xor_b32 s13, s28, -1
	s_and_saveexec_b32 s27, s13
	s_xor_b32 s13, exec_lo, s27
	s_cbranch_execz .LBB4_64
; %bb.63:                               ;   in Loop: Header=BB4_49 Depth=1
	v_or_b32_e32 v84, 64, v84
	s_waitcnt vmcnt(0) lgkmcnt(0)
	s_waitcnt_vscnt null, 0x0
	ds_write_b32 v0, v9
	s_trap 2
.LBB4_64:                               ;   in Loop: Header=BB4_49 Depth=1
	s_or_b32 exec_lo, exec_lo, s13
.LBB4_65:                               ;   in Loop: Header=BB4_49 Depth=1
	s_or_b32 exec_lo, exec_lo, s26
	v_and_b32_e32 v9, 0x108, v84
	v_and_b32_e32 v15, 7, v8
	s_mov_b32 s13, exec_lo
	;;#ASMSTART
	s_wakeup
	;;#ASMEND
	v_cmpx_ne_u32_e32 0x108, v9
	s_xor_b32 s13, exec_lo, s13
                                        ; implicit-def: $vgpr16
; %bb.66:                               ;   in Loop: Header=BB4_49 Depth=1
	v_mov_b32_e32 v16, v52
; %bb.67:                               ;   in Loop: Header=BB4_49 Depth=1
	s_andn2_saveexec_b32 s13, s13
	s_cbranch_execz .LBB4_69
; %bb.68:                               ;   in Loop: Header=BB4_49 Depth=1
	v_mad_u64_u32 v[8:9], null, v15, 24, v[6:7]
	v_mov_b32_e32 v66, v52
	v_mov_b32_e32 v16, v52
	flat_store_dwordx2 v[8:9], v[65:66] offset:8
.LBB4_69:                               ;   in Loop: Header=BB4_49 Depth=1
	s_or_b32 exec_lo, exec_lo, s13
	v_and_b32_e32 v8, 0x100, v84
	s_mov_b32 s13, -1
	v_cmp_ne_u32_e32 vcc_lo, 0, v8
                                        ; implicit-def: $vgpr8_vgpr9
	s_and_saveexec_b32 s26, vcc_lo
	s_cbranch_execz .LBB4_73
; %bb.70:                               ;   in Loop: Header=BB4_49 Depth=1
	v_mad_u64_u32 v[12:13], null, v15, 24, v[6:7]
	v_mov_b32_e32 v8, v13
	v_mad_u64_u32 v[8:9], null, v16, 24, v[8:9]
	v_mov_b32_e32 v13, v8
	flat_load_dword v8, v[12:13]
	s_waitcnt vmcnt(0) lgkmcnt(0)
	v_cmp_eq_u32_e64 s13, 1, v8
	v_cmp_ne_u32_e32 vcc_lo, 1, v8
                                        ; implicit-def: $vgpr8_vgpr9
	s_and_saveexec_b32 s27, s13
	s_cbranch_execz .LBB4_72
; %bb.71:                               ;   in Loop: Header=BB4_49 Depth=1
	flat_load_dword v8, v[12:13] offset:4 glc dlc
	s_waitcnt vmcnt(0) lgkmcnt(0)
	v_ashrrev_i32_e32 v9, 31, v8
.LBB4_72:                               ;   in Loop: Header=BB4_49 Depth=1
	s_or_b32 exec_lo, exec_lo, s27
	s_orn2_b32 s13, vcc_lo, exec_lo
.LBB4_73:                               ;   in Loop: Header=BB4_49 Depth=1
	s_or_b32 exec_lo, exec_lo, s26
	s_and_saveexec_b32 s26, s13
; %bb.74:                               ;   in Loop: Header=BB4_49 Depth=1
	v_mul_lo_u32 v12, v16, v85
	v_mul_lo_u32 v13, v15, v86
	v_mad_u64_u32 v[8:9], null, v15, v85, 0
	v_add3_u32 v9, v9, v13, v12
; %bb.75:                               ;   in Loop: Header=BB4_49 Depth=1
	s_or_b32 exec_lo, exec_lo, s26
	v_cmp_eq_u32_e32 vcc_lo, 0, v14
	v_and_b32_e32 v13, 0x2000, v84
	s_mov_b32 s13, exec_lo
	v_cndmask_b32_e32 v12, 0xc8, v99, vcc_lo
	v_add_co_u32 v8, vcc_lo, v34, v8
	v_add_co_ci_u32_e64 v9, null, v35, v9, vcc_lo
	v_add_nc_u32_e32 v12, v0, v12
	ds_write_b64 v12, v[8:9] offset:584
	v_cmpx_ne_u32_e32 0, v13
	s_cbranch_execz .LBB4_77
; %bb.76:                               ;   in Loop: Header=BB4_49 Depth=1
	ds_read_b64 v[8:9], v0 offset:872
	s_waitcnt lgkmcnt(0)
	v_add_co_u32 v8, vcc_lo, v8, 1
	v_add_co_ci_u32_e64 v9, null, 0, v9, vcc_lo
	ds_write_b64 v0, v[8:9] offset:872
.LBB4_77:                               ;   in Loop: Header=BB4_49 Depth=1
	s_or_b32 exec_lo, exec_lo, s13
	v_mov_b32_e32 v8, v10
	v_mov_b32_e32 v9, v11
.LBB4_78:                               ;   in Loop: Header=BB4_49 Depth=1
	s_or_b32 exec_lo, exec_lo, s14
	s_and_saveexec_b32 s13, s6
	s_cbranch_execz .LBB4_97
; %bb.79:                               ;   in Loop: Header=BB4_49 Depth=1
	s_and_saveexec_b32 s14, s20
	s_xor_b32 s14, exec_lo, s14
	s_cbranch_execz .LBB4_94
; %bb.80:                               ;   in Loop: Header=BB4_49 Depth=1
	s_and_saveexec_b32 s26, s10
	s_cbranch_execz .LBB4_93
; %bb.81:                               ;   in Loop: Header=BB4_49 Depth=1
	s_mov_b32 s28, exec_lo
	s_mov_b32 s27, exec_lo
	v_mbcnt_lo_u32_b32 v10, s28, 0
	s_waitcnt vmcnt(0) lgkmcnt(0)
	s_waitcnt_vscnt null, 0x0
	buffer_gl1_inv
	buffer_gl0_inv
	v_cmpx_eq_u32_e32 0, v10
	s_cbranch_execz .LBB4_83
; %bb.82:                               ;   in Loop: Header=BB4_49 Depth=1
	s_bcnt1_i32_b32 s28, s28
	v_mov_b32_e32 v11, v52
	v_mov_b32_e32 v10, s28
	ds_add_u64 v0, v[10:11]
	s_trap 2
.LBB4_83:                               ;   in Loop: Header=BB4_49 Depth=1
	s_or_b32 exec_lo, exec_lo, s27
	s_trap 2
	ds_read_b64 v[10:11], v0
	s_waitcnt lgkmcnt(0)
	buffer_gl0_inv
	v_add_co_u32 v38, vcc_lo, v38, v87
	v_add_co_ci_u32_e64 v39, null, 0, v39, vcc_lo
	s_mov_b32 s27, exec_lo
	v_cmpx_lt_u64_e64 v[10:11], v[38:39]
	s_cbranch_execz .LBB4_92
; %bb.84:                               ;   in Loop: Header=BB4_49 Depth=1
	s_mov_b32 s28, 0
	s_mov_b32 s41, 0
                                        ; implicit-def: $sgpr29
                                        ; implicit-def: $sgpr40
	s_inst_prefetch 0x1
	s_branch .LBB4_86
	.p2align	6
.LBB4_85:                               ;   in Loop: Header=BB4_86 Depth=2
	s_or_b32 exec_lo, exec_lo, s43
	s_and_b32 s42, exec_lo, s44
	s_or_b32 s28, s42, s28
	s_andn2_b32 s29, s29, exec_lo
	s_and_b32 s42, s40, exec_lo
	s_or_b32 s29, s29, s42
	s_andn2_b32 exec_lo, exec_lo, s28
	s_cbranch_execz .LBB4_90
.LBB4_86:                               ;   Parent Loop BB4_49 Depth=1
                                        ; =>  This Inner Loop Header: Depth=2
	s_add_i32 s41, s41, 1
	s_cmpk_lg_i32 s41, 0x2710
	s_cselect_b32 s42, -1, 0
	s_and_b32 vcc_lo, exec_lo, s42
	s_cbranch_vccz .LBB4_88
; %bb.87:                               ;   in Loop: Header=BB4_86 Depth=2
	s_mov_b32 s44, -1
	s_or_b32 s40, s40, exec_lo
	s_and_saveexec_b32 s43, s42
	s_cbranch_execz .LBB4_85
	s_branch .LBB4_89
	.p2align	6
.LBB4_88:                               ;   in Loop: Header=BB4_86 Depth=2
	s_trap 2
	ds_read_b64 v[10:11], v0
	s_andn2_b32 s42, s42, exec_lo
	s_mov_b32 s41, 0
	s_waitcnt lgkmcnt(0)
	flat_load_dword v10, v[10:11] glc dlc
	s_waitcnt vmcnt(0) lgkmcnt(0)
	buffer_gl1_inv
	buffer_gl0_inv
	v_cmp_eq_u32_e32 vcc_lo, 0, v10
	s_and_b32 s43, vcc_lo, exec_lo
	s_or_b32 s42, s42, s43
	s_mov_b32 s44, -1
	s_or_b32 s40, s40, exec_lo
	s_and_saveexec_b32 s43, s42
	s_cbranch_execz .LBB4_85
.LBB4_89:                               ;   in Loop: Header=BB4_86 Depth=2
	s_sleep 1
	s_trap 2
	ds_read_b64 v[10:11], v0
	s_waitcnt lgkmcnt(0)
	buffer_gl0_inv
	s_andn2_b32 s40, s40, exec_lo
	v_cmp_ge_u64_e32 vcc_lo, v[10:11], v[38:39]
	s_orn2_b32 s44, vcc_lo, exec_lo
	s_branch .LBB4_85
.LBB4_90:                               ;   in Loop: Header=BB4_49 Depth=1
	s_inst_prefetch 0x2
	s_or_b32 exec_lo, exec_lo, s28
	s_and_saveexec_b32 s28, s29
	s_xor_b32 s28, exec_lo, s28
	s_cbranch_execz .LBB4_92
; %bb.91:                               ;   in Loop: Header=BB4_49 Depth=1
	ds_write_b32 v0, v98
	s_trap 2
.LBB4_92:                               ;   in Loop: Header=BB4_49 Depth=1
	s_or_b32 exec_lo, exec_lo, s27
	;;#ASMSTART
	s_wakeup
	;;#ASMEND
.LBB4_93:                               ;   in Loop: Header=BB4_49 Depth=1
	s_or_b32 exec_lo, exec_lo, s26
.LBB4_94:                               ;   in Loop: Header=BB4_49 Depth=1
	s_andn2_saveexec_b32 s14, s14
	s_cbranch_execz .LBB4_96
; %bb.95:                               ;   in Loop: Header=BB4_49 Depth=1
	s_waitcnt vmcnt(0) lgkmcnt(0)
	s_waitcnt_vscnt null, 0x0
	buffer_gl1_inv
	buffer_gl0_inv
	s_barrier
.LBB4_96:                               ;   in Loop: Header=BB4_49 Depth=1
	s_or_b32 exec_lo, exec_lo, s14
.LBB4_97:                               ;   in Loop: Header=BB4_49 Depth=1
	s_or_b32 exec_lo, exec_lo, s13
	s_trap 2
	ds_read_b32 v10, v0
	v_and_b32_e32 v11, 0x4000, v84
	v_cmp_ne_u32_e32 vcc_lo, 0, v11
	s_and_b32 s14, s23, vcc_lo
	s_and_saveexec_b32 s13, s14
	s_cbranch_execz .LBB4_116
; %bb.98:                               ;   in Loop: Header=BB4_49 Depth=1
	s_and_saveexec_b32 s14, s20
	s_xor_b32 s14, exec_lo, s14
	s_cbranch_execz .LBB4_113
; %bb.99:                               ;   in Loop: Header=BB4_49 Depth=1
	s_and_saveexec_b32 s26, s10
	s_cbranch_execz .LBB4_112
; %bb.100:                              ;   in Loop: Header=BB4_49 Depth=1
	s_mov_b32 s28, exec_lo
	s_mov_b32 s27, exec_lo
	v_mbcnt_lo_u32_b32 v11, s28, 0
	s_waitcnt vmcnt(0) lgkmcnt(0)
	s_waitcnt_vscnt null, 0x0
	buffer_gl1_inv
	buffer_gl0_inv
	v_cmpx_eq_u32_e32 0, v11
	s_cbranch_execz .LBB4_102
; %bb.101:                              ;   in Loop: Header=BB4_49 Depth=1
	s_bcnt1_i32_b32 s28, s28
	v_mov_b32_e32 v12, v52
	v_mov_b32_e32 v11, s28
	ds_add_u64 v0, v[11:12]
	s_trap 2
.LBB4_102:                              ;   in Loop: Header=BB4_49 Depth=1
	s_or_b32 exec_lo, exec_lo, s27
	s_trap 2
	ds_read_b64 v[11:12], v0
	s_waitcnt lgkmcnt(0)
	buffer_gl0_inv
	v_add_co_u32 v38, vcc_lo, v38, v87
	v_add_co_ci_u32_e64 v39, null, 0, v39, vcc_lo
	s_mov_b32 s27, exec_lo
	v_cmpx_lt_u64_e64 v[11:12], v[38:39]
	s_cbranch_execz .LBB4_111
; %bb.103:                              ;   in Loop: Header=BB4_49 Depth=1
	s_mov_b32 s28, 0
	s_mov_b32 s41, 0
                                        ; implicit-def: $sgpr29
                                        ; implicit-def: $sgpr40
	s_inst_prefetch 0x1
	s_branch .LBB4_105
	.p2align	6
.LBB4_104:                              ;   in Loop: Header=BB4_105 Depth=2
	s_or_b32 exec_lo, exec_lo, s43
	s_and_b32 s42, exec_lo, s44
	s_or_b32 s28, s42, s28
	s_andn2_b32 s29, s29, exec_lo
	s_and_b32 s42, s40, exec_lo
	s_or_b32 s29, s29, s42
	s_andn2_b32 exec_lo, exec_lo, s28
	s_cbranch_execz .LBB4_109
.LBB4_105:                              ;   Parent Loop BB4_49 Depth=1
                                        ; =>  This Inner Loop Header: Depth=2
	s_add_i32 s41, s41, 1
	s_cmpk_lg_i32 s41, 0x2710
	s_cselect_b32 s42, -1, 0
	s_and_b32 vcc_lo, exec_lo, s42
	s_cbranch_vccz .LBB4_107
; %bb.106:                              ;   in Loop: Header=BB4_105 Depth=2
	s_mov_b32 s44, -1
	s_or_b32 s40, s40, exec_lo
	s_and_saveexec_b32 s43, s42
	s_cbranch_execz .LBB4_104
	s_branch .LBB4_108
	.p2align	6
.LBB4_107:                              ;   in Loop: Header=BB4_105 Depth=2
	s_trap 2
	ds_read_b64 v[11:12], v0
	s_andn2_b32 s42, s42, exec_lo
	s_mov_b32 s41, 0
	s_waitcnt lgkmcnt(0)
	flat_load_dword v11, v[11:12] glc dlc
	s_waitcnt vmcnt(0) lgkmcnt(0)
	buffer_gl1_inv
	buffer_gl0_inv
	v_cmp_eq_u32_e32 vcc_lo, 0, v11
	s_and_b32 s43, vcc_lo, exec_lo
	s_or_b32 s42, s42, s43
	s_mov_b32 s44, -1
	s_or_b32 s40, s40, exec_lo
	s_and_saveexec_b32 s43, s42
	s_cbranch_execz .LBB4_104
.LBB4_108:                              ;   in Loop: Header=BB4_105 Depth=2
	s_sleep 1
	s_trap 2
	ds_read_b64 v[11:12], v0
	s_waitcnt lgkmcnt(0)
	buffer_gl0_inv
	s_andn2_b32 s40, s40, exec_lo
	v_cmp_ge_u64_e32 vcc_lo, v[11:12], v[38:39]
	s_orn2_b32 s44, vcc_lo, exec_lo
	s_branch .LBB4_104
.LBB4_109:                              ;   in Loop: Header=BB4_49 Depth=1
	s_inst_prefetch 0x2
	s_or_b32 exec_lo, exec_lo, s28
	s_and_saveexec_b32 s28, s29
	s_xor_b32 s28, exec_lo, s28
	s_cbranch_execz .LBB4_111
; %bb.110:                              ;   in Loop: Header=BB4_49 Depth=1
	ds_write_b32 v0, v98
	s_trap 2
.LBB4_111:                              ;   in Loop: Header=BB4_49 Depth=1
	s_or_b32 exec_lo, exec_lo, s27
	;;#ASMSTART
	s_wakeup
	;;#ASMEND
.LBB4_112:                              ;   in Loop: Header=BB4_49 Depth=1
	s_or_b32 exec_lo, exec_lo, s26
.LBB4_113:                              ;   in Loop: Header=BB4_49 Depth=1
	s_andn2_saveexec_b32 s14, s14
	s_cbranch_execz .LBB4_115
; %bb.114:                              ;   in Loop: Header=BB4_49 Depth=1
	s_waitcnt vmcnt(0) lgkmcnt(0)
	s_waitcnt_vscnt null, 0x0
	buffer_gl1_inv
	buffer_gl0_inv
	s_barrier
.LBB4_115:                              ;   in Loop: Header=BB4_49 Depth=1
	s_or_b32 exec_lo, exec_lo, s14
.LBB4_116:                              ;   in Loop: Header=BB4_49 Depth=1
	s_or_b32 exec_lo, exec_lo, s13
	s_trap 2
	ds_read_b64 v[66:67], v0
	s_waitcnt lgkmcnt(0)
	v_cmp_eq_u64_e32 vcc_lo, 0, v[66:67]
	s_cbranch_vccnz .LBB4_124
; %bb.117:                              ;   in Loop: Header=BB4_49 Depth=1
	s_trap 2
	ds_read_b64 v[68:69], v0
	s_waitcnt lgkmcnt(0)
	v_cmp_eq_u64_e32 vcc_lo, 0, v[68:69]
	s_cbranch_vccnz .LBB4_124
; %bb.118:                              ;   in Loop: Header=BB4_49 Depth=1
	s_mov_b32 s13, -1
	s_and_saveexec_b32 s14, s11
	s_cbranch_execz .LBB4_120
; %bb.119:                              ;   in Loop: Header=BB4_49 Depth=1
	ds_read_b32 v11, v0 offset:720
	s_waitcnt lgkmcnt(0)
	v_and_b32_e32 v11, 15, v11
	v_cmp_eq_u32_e32 vcc_lo, 0, v11
	s_orn2_b32 s13, vcc_lo, exec_lo
.LBB4_120:                              ;   in Loop: Header=BB4_49 Depth=1
	s_or_b32 exec_lo, exec_lo, s14
	s_and_saveexec_b32 s14, s12
	s_cbranch_execz .LBB4_122
; %bb.121:                              ;   in Loop: Header=BB4_49 Depth=1
	ds_read_b32 v11, v0 offset:784
	s_waitcnt lgkmcnt(0)
	v_and_b32_e32 v11, 15, v11
	v_cmp_eq_u32_e32 vcc_lo, 0, v11
	s_and_b32 s26, s13, vcc_lo
	s_andn2_b32 s13, s13, exec_lo
	s_and_b32 s26, s26, exec_lo
	s_or_b32 s13, s13, s26
.LBB4_122:                              ;   in Loop: Header=BB4_49 Depth=1
	s_or_b32 exec_lo, exec_lo, s14
	v_cmp_eq_u32_e32 vcc_lo, 0, v10
	s_xor_b32 s13, s13, -1
	v_mov_b32_e32 v16, 0
	v_cndmask_b32_e64 v11, 0, 1, s13
	v_mov_b32_e32 v18, v0
	v_cndmask_b32_e32 v53, 0, v65, vcc_lo
	v_mov_b32_e32 v10, v97
	s_mov_b32 s13, -1
	v_cmp_ne_u32_e32 vcc_lo, 0, v11
	v_mov_b32_e32 v17, v53
	s_cbranch_vccz .LBB4_125
; %bb.123:                              ;   in Loop: Header=BB4_49 Depth=1
	s_and_saveexec_b32 s14, s13
	s_cbranch_execnz .LBB4_1290
	s_branch .LBB4_1706
.LBB4_124:                              ;   in Loop: Header=BB4_49 Depth=1
	s_mov_b32 s13, 0
	s_and_saveexec_b32 s14, s6
	s_cbranch_execnz .LBB4_1707
	s_branch .LBB4_1725
.LBB4_125:                              ;   in Loop: Header=BB4_49 Depth=1
	v_lshrrev_b32_e32 v10, 10, v53
	s_mov_b32 s14, exec_lo
	v_sub_nc_u32_e32 v119, v10, v97
	v_cmpx_lt_i32_e32 0, v119
	s_cbranch_execz .LBB4_897
; %bb.126:                              ;   in Loop: Header=BB4_49 Depth=1
	s_trap 2
	ds_read_b64 v[10:11], v0
	v_add_co_u32 v70, vcc_lo, v66, v102
	v_add_co_ci_u32_e64 v71, null, v67, v113, vcc_lo
	s_mov_b32 s26, 0
	s_waitcnt lgkmcnt(0)
	v_add_co_u32 v80, vcc_lo, v10, v102
	v_add_co_ci_u32_e64 v81, null, v11, v113, vcc_lo
	v_add_co_u32 v82, vcc_lo, v68, v102
	v_add_co_ci_u32_e64 v83, null, v69, v113, vcc_lo
	s_branch .LBB4_130
.LBB4_127:                              ;   in Loop: Header=BB4_130 Depth=2
	s_or_b32 exec_lo, exec_lo, s13
	v_lshrrev_b32_e32 v73, 20, v73
	v_min_i32_e32 v74, 15, v17
	v_cmp_gt_i32_e32 vcc_lo, 16, v17
	v_and_b32_sdwa v13, v13, v114 dst_sel:DWORD dst_unused:UNUSED_PAD src0_sel:BYTE_3 src1_sel:DWORD
	v_lshlrev_b32_e32 v74, 3, v74
	v_cndmask_b32_e32 v73, 7, v73, vcc_lo
	v_and_b32_e32 v74, 0xf8, v74
	v_and_b32_e32 v75, 7, v73
	v_or_b32_e32 v17, v17, v73
	v_or3_b32 v13, v13, v74, v75
	v_cmp_ne_u32_e32 vcc_lo, 0, v17
	v_lshlrev_b32_e32 v13, 8, v13
	v_cndmask_b32_e32 v17, 0, v13, vcc_lo
.LBB4_128:                              ;   in Loop: Header=BB4_130 Depth=2
	s_or_b32 exec_lo, exec_lo, s28
.LBB4_129:                              ;   in Loop: Header=BB4_130 Depth=2
	s_or_b32 exec_lo, exec_lo, s27
	v_or_b32_sdwa v13, v19, v44 dst_sel:WORD_1 dst_unused:UNUSED_PAD src0_sel:DWORD src1_sel:DWORD
	v_or_b32_sdwa v18, v18, v42 dst_sel:WORD_1 dst_unused:UNUSED_PAD src0_sel:DWORD src1_sel:DWORD
	;; [unrolled: 1-line block ×5, first 2 shown]
	v_or3_b32 v19, v43, v22, v13
	v_or_b32_sdwa v13, v21, v56 dst_sel:WORD_1 dst_unused:UNUSED_PAD src0_sel:DWORD src1_sel:DWORD
	v_or_b32_sdwa v12, v12, v62 dst_sel:WORD_1 dst_unused:UNUSED_PAD src0_sel:DWORD src1_sel:DWORD
	;; [unrolled: 1-line block ×3, first 2 shown]
	v_or3_b32 v18, v41, v40, v18
	v_or3_b32 v20, v45, v23, v20
	;; [unrolled: 1-line block ×3, first 2 shown]
	v_sub_nc_u32_e32 v119, v119, v87
	v_or3_b32 v11, v59, v14, v11
	v_or3_b32 v10, v57, v25, v10
	v_or3_b32 v12, v61, v15, v12
	v_or3_b32 v13, v63, v16, v17
	v_add_co_u32 v70, vcc_lo, v70, v103
	v_add_co_ci_u32_e64 v71, null, 0, v71, vcc_lo
	v_add_co_u32 v80, vcc_lo, v80, v103
	global_store_dwordx4 v[82:83], v[18:21], off glc slc
	global_store_dwordx4 v[82:83], v[10:13], off offset:512 glc slc
	v_add_co_ci_u32_e64 v81, null, 0, v81, vcc_lo
	v_cmp_gt_i32_e32 vcc_lo, 1, v119
	v_add_co_u32 v82, s13, v82, v103
	v_add_co_ci_u32_e64 v83, null, 0, v83, s13
	s_or_b32 s26, vcc_lo, s26
	s_andn2_b32 exec_lo, exec_lo, s26
	s_cbranch_execz .LBB4_896
.LBB4_130:                              ;   Parent Loop BB4_49 Depth=1
                                        ; =>  This Inner Loop Header: Depth=2
	s_clause 0x1
	global_load_dwordx4 v[22:25], v[70:71], off slc
	global_load_dwordx4 v[14:17], v[70:71], off offset:512 slc
	s_clause 0x1
	global_load_dwordx4 v[18:21], v[80:81], off slc
	global_load_dwordx4 v[10:13], v[80:81], off offset:512 slc
	s_mov_b32 s13, 0
	s_waitcnt vmcnt(3)
	v_cmp_gt_i16_sdwa s27, v22, v101 src0_sel:BYTE_0 src1_sel:DWORD
	s_and_saveexec_b32 s28, s27
	s_xor_b32 s27, exec_lo, s28
	s_cbranch_execz .LBB4_768
; %bb.131:                              ;   in Loop: Header=BB4_130 Depth=2
	v_cmp_eq_u16_sdwa s29, v22, v114 src0_sel:BYTE_0 src1_sel:DWORD
	s_mov_b32 s13, -1
	s_and_saveexec_b32 s28, s29
; %bb.132:                              ;   in Loop: Header=BB4_130 Depth=2
	s_xor_b32 s13, exec_lo, -1
; %bb.133:                              ;   in Loop: Header=BB4_130 Depth=2
	s_or_b32 exec_lo, exec_lo, s28
	s_and_b32 s13, s13, exec_lo
	s_or_saveexec_b32 s27, s27
	v_mov_b32_e32 v40, 0x7f800001
	s_xor_b32 exec_lo, exec_lo, s27
	s_cbranch_execnz .LBB4_769
.LBB4_134:                              ;   in Loop: Header=BB4_130 Depth=2
	s_or_b32 exec_lo, exec_lo, s27
	s_and_saveexec_b32 s27, s13
	s_cbranch_execz .LBB4_136
.LBB4_135:                              ;   in Loop: Header=BB4_130 Depth=2
	v_and_b32_e32 v40, 7, v22
	v_bfe_u32 v43, v22, 3, 4
	v_lshlrev_b32_e32 v44, 24, v22
	v_ffbh_u32_e32 v41, v40
	v_cmp_eq_u32_e32 vcc_lo, 0, v43
	v_min_u32_e32 v41, 32, v41
	v_subrev_nc_u32_e32 v42, 28, v41
	v_sub_nc_u32_e32 v41, 29, v41
	v_lshlrev_b32_e32 v42, v42, v22
	v_cndmask_b32_e32 v41, v43, v41, vcc_lo
	v_and_b32_e32 v42, 7, v42
	v_lshl_add_u32 v41, v41, 23, 0x3b800000
	v_cndmask_b32_e32 v40, v40, v42, vcc_lo
	v_and_b32_e32 v42, 0x80000000, v44
	v_lshlrev_b32_e32 v40, 20, v40
	v_or3_b32 v40, v42, v41, v40
.LBB4_136:                              ;   in Loop: Header=BB4_130 Depth=2
	s_or_b32 exec_lo, exec_lo, s27
	s_waitcnt vmcnt(1)
	v_cmp_gt_i16_sdwa s27, v18, v101 src0_sel:BYTE_0 src1_sel:DWORD
	s_mov_b32 s13, 0
	s_and_saveexec_b32 s28, s27
	s_xor_b32 s27, exec_lo, s28
	s_cbranch_execz .LBB4_770
; %bb.137:                              ;   in Loop: Header=BB4_130 Depth=2
	v_cmp_eq_u16_sdwa s29, v18, v114 src0_sel:BYTE_0 src1_sel:DWORD
	s_mov_b32 s13, -1
	s_and_saveexec_b32 s28, s29
; %bb.138:                              ;   in Loop: Header=BB4_130 Depth=2
	s_xor_b32 s13, exec_lo, -1
; %bb.139:                              ;   in Loop: Header=BB4_130 Depth=2
	s_or_b32 exec_lo, exec_lo, s28
	s_and_b32 s13, s13, exec_lo
	s_or_saveexec_b32 s27, s27
	v_mov_b32_e32 v41, 0x7f800001
	s_xor_b32 exec_lo, exec_lo, s27
	s_cbranch_execnz .LBB4_771
.LBB4_140:                              ;   in Loop: Header=BB4_130 Depth=2
	s_or_b32 exec_lo, exec_lo, s27
	s_and_saveexec_b32 s27, s13
	s_cbranch_execz .LBB4_142
.LBB4_141:                              ;   in Loop: Header=BB4_130 Depth=2
	v_and_b32_e32 v41, 7, v18
	v_bfe_u32 v44, v18, 3, 4
	v_lshlrev_b32_e32 v45, 24, v18
	v_ffbh_u32_e32 v42, v41
	v_cmp_eq_u32_e32 vcc_lo, 0, v44
	v_min_u32_e32 v42, 32, v42
	v_subrev_nc_u32_e32 v43, 28, v42
	v_sub_nc_u32_e32 v42, 29, v42
	v_lshlrev_b32_e32 v43, v43, v18
	v_cndmask_b32_e32 v42, v44, v42, vcc_lo
	v_and_b32_e32 v43, 7, v43
	v_lshl_add_u32 v42, v42, 23, 0x3b800000
	v_cndmask_b32_e32 v41, v41, v43, vcc_lo
	v_and_b32_e32 v43, 0x80000000, v45
	v_lshlrev_b32_e32 v41, 20, v41
	v_or3_b32 v41, v43, v42, v41
.LBB4_142:                              ;   in Loop: Header=BB4_130 Depth=2
	s_or_b32 exec_lo, exec_lo, s27
	v_add_f32_e32 v41, v40, v41
	v_and_b32_e32 v40, 0x7f800000, v41
	v_cmp_ne_u32_e32 vcc_lo, 0x7f800000, v40
	v_mov_b32_e32 v40, 0x80
	s_and_saveexec_b32 s27, vcc_lo
	s_cbranch_execz .LBB4_150
; %bb.143:                              ;   in Loop: Header=BB4_130 Depth=2
	v_mov_b32_e32 v40, 0
	s_mov_b32 s28, exec_lo
	v_cmpx_ne_u32_e32 0, v41
	s_cbranch_execz .LBB4_149
; %bb.144:                              ;   in Loop: Header=BB4_130 Depth=2
	v_bfe_u32 v40, v41, 23, 8
	v_and_b32_e32 v42, 0x7fffff, v41
	v_sub_nc_u32_e32 v43, 0x78, v40
	v_cmp_gt_u32_e32 vcc_lo, 0x79, v40
	v_or_b32_e32 v44, 0x800000, v42
	v_cndmask_b32_e32 v43, 0, v43, vcc_lo
	v_cmp_eq_u32_e32 vcc_lo, 0, v40
	v_add_nc_u32_e32 v40, 0xffffff89, v40
	v_cndmask_b32_e64 v43, v43, 0x77, vcc_lo
	v_cndmask_b32_e32 v42, v44, v42, vcc_lo
	v_cndmask_b32_e64 v40, v40, 0xffffff8a, vcc_lo
	v_lshl_add_u32 v44, 0x100000, v43, -1
	v_lshrrev_b32_e32 v45, v43, v42
	v_lshlrev_b32_e64 v47, v43, 0x80000
	v_add_nc_u32_e32 v43, v43, v40
	v_and_b32_e32 v42, v44, v42
	v_bfe_u32 v46, v45, 20, 1
	v_cmp_eq_u32_e64 s13, v42, v47
	v_add_nc_u32_e32 v44, -1, v46
	v_cndmask_b32_e64 v42, 0, v44, s13
	v_lshrrev_b32_e32 v44, 23, v45
	s_mov_b32 s13, exec_lo
	v_add_nc_u32_e32 v42, v42, v45
	v_xor_b32_e32 v44, 1, v44
	v_and_b32_e32 v40, 0xfffff, v42
	v_add_nc_u32_e32 v42, v40, v45
                                        ; implicit-def: $vgpr40
	v_cmpx_ne_u32_e64 v43, v44
	s_xor_b32 s13, exec_lo, s13
; %bb.145:                              ;   in Loop: Header=BB4_130 Depth=2
	v_cmp_lt_u32_e32 vcc_lo, 0xffffff, v42
	v_sub_nc_u32_e32 v40, v43, v44
	v_cndmask_b32_e64 v43, 0, 1, vcc_lo
	v_add_co_ci_u32_e64 v40, null, 0, v40, vcc_lo
	v_lshrrev_b32_e32 v42, v43, v42
; %bb.146:                              ;   in Loop: Header=BB4_130 Depth=2
	s_andn2_saveexec_b32 s13, s13
; %bb.147:                              ;   in Loop: Header=BB4_130 Depth=2
	v_bfe_u32 v40, v42, 23, 1
; %bb.148:                              ;   in Loop: Header=BB4_130 Depth=2
	s_or_b32 exec_lo, exec_lo, s13
	v_lshrrev_b32_e32 v42, 20, v42
	v_min_i32_e32 v43, 15, v40
	v_cmp_gt_i32_e32 vcc_lo, 16, v40
	v_and_b32_sdwa v41, v41, v114 dst_sel:DWORD dst_unused:UNUSED_PAD src0_sel:BYTE_3 src1_sel:DWORD
	v_lshlrev_b32_e32 v43, 3, v43
	v_cndmask_b32_e32 v42, 7, v42, vcc_lo
	v_and_b32_e32 v43, 0xf8, v43
	v_and_b32_e32 v44, 7, v42
	v_or_b32_e32 v40, v40, v42
	v_or3_b32 v41, v43, v41, v44
	v_cmp_ne_u32_e32 vcc_lo, 0, v40
	v_cndmask_b32_e32 v40, 0, v41, vcc_lo
.LBB4_149:                              ;   in Loop: Header=BB4_130 Depth=2
	s_or_b32 exec_lo, exec_lo, s28
.LBB4_150:                              ;   in Loop: Header=BB4_130 Depth=2
	s_or_b32 exec_lo, exec_lo, s27
	v_cmp_gt_i16_sdwa s27, v22, v101 src0_sel:BYTE_1 src1_sel:DWORD
	s_mov_b32 s13, 0
	s_and_saveexec_b32 s28, s27
	s_xor_b32 s27, exec_lo, s28
	s_cbranch_execz .LBB4_772
; %bb.151:                              ;   in Loop: Header=BB4_130 Depth=2
	v_cmp_eq_u16_sdwa s29, v22, v114 src0_sel:BYTE_1 src1_sel:DWORD
	s_mov_b32 s13, -1
	s_and_saveexec_b32 s28, s29
; %bb.152:                              ;   in Loop: Header=BB4_130 Depth=2
	s_xor_b32 s13, exec_lo, -1
; %bb.153:                              ;   in Loop: Header=BB4_130 Depth=2
	s_or_b32 exec_lo, exec_lo, s28
	s_and_b32 s13, s13, exec_lo
	s_or_saveexec_b32 s27, s27
	v_mov_b32_e32 v41, 0x7f800001
	s_xor_b32 exec_lo, exec_lo, s27
	s_cbranch_execnz .LBB4_773
.LBB4_154:                              ;   in Loop: Header=BB4_130 Depth=2
	s_or_b32 exec_lo, exec_lo, s27
	s_and_saveexec_b32 s27, s13
	s_cbranch_execz .LBB4_156
.LBB4_155:                              ;   in Loop: Header=BB4_130 Depth=2
	v_and_b32_sdwa v41, v115, v22 dst_sel:DWORD dst_unused:UNUSED_PAD src0_sel:DWORD src1_sel:BYTE_1
	v_and_b32_e32 v42, 7, v41
	v_bfe_u32 v45, v41, 3, 4
	v_ffbh_u32_e32 v43, v42
	v_cmp_eq_u32_e32 vcc_lo, 0, v45
	v_min_u32_e32 v43, 32, v43
	v_subrev_nc_u32_e32 v44, 28, v43
	v_sub_nc_u32_e32 v43, 29, v43
	v_lshlrev_b32_e32 v41, v44, v41
	v_lshlrev_b32_sdwa v44, v116, v22 dst_sel:DWORD dst_unused:UNUSED_PAD src0_sel:DWORD src1_sel:BYTE_1
	v_cndmask_b32_e32 v43, v45, v43, vcc_lo
	v_and_b32_e32 v41, 7, v41
	v_lshl_add_u32 v43, v43, 23, 0x3b800000
	v_cndmask_b32_e32 v41, v42, v41, vcc_lo
	v_and_b32_e32 v42, 0x80000000, v44
	v_lshlrev_b32_e32 v41, 20, v41
	v_or3_b32 v41, v42, v43, v41
.LBB4_156:                              ;   in Loop: Header=BB4_130 Depth=2
	s_or_b32 exec_lo, exec_lo, s27
	v_cmp_gt_i16_sdwa s27, v18, v101 src0_sel:BYTE_1 src1_sel:DWORD
	s_mov_b32 s13, 0
	s_and_saveexec_b32 s28, s27
	s_xor_b32 s27, exec_lo, s28
	s_cbranch_execz .LBB4_774
; %bb.157:                              ;   in Loop: Header=BB4_130 Depth=2
	v_cmp_eq_u16_sdwa s29, v18, v114 src0_sel:BYTE_1 src1_sel:DWORD
	s_mov_b32 s13, -1
	s_and_saveexec_b32 s28, s29
; %bb.158:                              ;   in Loop: Header=BB4_130 Depth=2
	s_xor_b32 s13, exec_lo, -1
; %bb.159:                              ;   in Loop: Header=BB4_130 Depth=2
	s_or_b32 exec_lo, exec_lo, s28
	s_and_b32 s13, s13, exec_lo
	s_or_saveexec_b32 s27, s27
	v_mov_b32_e32 v42, 0x7f800001
	s_xor_b32 exec_lo, exec_lo, s27
	s_cbranch_execnz .LBB4_775
.LBB4_160:                              ;   in Loop: Header=BB4_130 Depth=2
	s_or_b32 exec_lo, exec_lo, s27
	s_and_saveexec_b32 s27, s13
	s_cbranch_execz .LBB4_162
.LBB4_161:                              ;   in Loop: Header=BB4_130 Depth=2
	v_and_b32_sdwa v42, v115, v18 dst_sel:DWORD dst_unused:UNUSED_PAD src0_sel:DWORD src1_sel:BYTE_1
	v_and_b32_e32 v43, 7, v42
	v_bfe_u32 v46, v42, 3, 4
	v_ffbh_u32_e32 v44, v43
	v_cmp_eq_u32_e32 vcc_lo, 0, v46
	v_min_u32_e32 v44, 32, v44
	v_subrev_nc_u32_e32 v45, 28, v44
	v_sub_nc_u32_e32 v44, 29, v44
	v_lshlrev_b32_e32 v42, v45, v42
	v_lshlrev_b32_sdwa v45, v116, v18 dst_sel:DWORD dst_unused:UNUSED_PAD src0_sel:DWORD src1_sel:BYTE_1
	v_cndmask_b32_e32 v44, v46, v44, vcc_lo
	v_and_b32_e32 v42, 7, v42
	v_lshl_add_u32 v44, v44, 23, 0x3b800000
	v_cndmask_b32_e32 v42, v43, v42, vcc_lo
	v_and_b32_e32 v43, 0x80000000, v45
	v_lshlrev_b32_e32 v42, 20, v42
	v_or3_b32 v42, v43, v44, v42
.LBB4_162:                              ;   in Loop: Header=BB4_130 Depth=2
	s_or_b32 exec_lo, exec_lo, s27
	v_add_f32_e32 v42, v41, v42
	v_and_b32_e32 v41, 0x7f800000, v42
	v_cmp_ne_u32_e32 vcc_lo, 0x7f800000, v41
	v_mov_b32_e32 v41, 0x8000
	s_and_saveexec_b32 s27, vcc_lo
	s_cbranch_execz .LBB4_170
; %bb.163:                              ;   in Loop: Header=BB4_130 Depth=2
	v_mov_b32_e32 v41, 0
	s_mov_b32 s28, exec_lo
	v_cmpx_ne_u32_e32 0, v42
	s_cbranch_execz .LBB4_169
; %bb.164:                              ;   in Loop: Header=BB4_130 Depth=2
	v_bfe_u32 v41, v42, 23, 8
	v_and_b32_e32 v43, 0x7fffff, v42
	v_sub_nc_u32_e32 v44, 0x78, v41
	v_cmp_gt_u32_e32 vcc_lo, 0x79, v41
	v_or_b32_e32 v45, 0x800000, v43
	v_cndmask_b32_e32 v44, 0, v44, vcc_lo
	v_cmp_eq_u32_e32 vcc_lo, 0, v41
	v_add_nc_u32_e32 v41, 0xffffff89, v41
	v_cndmask_b32_e64 v44, v44, 0x77, vcc_lo
	v_cndmask_b32_e32 v43, v45, v43, vcc_lo
	v_cndmask_b32_e64 v41, v41, 0xffffff8a, vcc_lo
	v_lshl_add_u32 v45, 0x100000, v44, -1
	v_lshrrev_b32_e32 v46, v44, v43
	v_lshlrev_b32_e64 v56, v44, 0x80000
	v_add_nc_u32_e32 v44, v44, v41
	v_and_b32_e32 v43, v45, v43
	v_bfe_u32 v47, v46, 20, 1
	v_cmp_eq_u32_e64 s13, v43, v56
	v_add_nc_u32_e32 v45, -1, v47
	v_cndmask_b32_e64 v43, 0, v45, s13
	v_lshrrev_b32_e32 v45, 23, v46
	s_mov_b32 s13, exec_lo
	v_add_nc_u32_e32 v43, v43, v46
	v_xor_b32_e32 v45, 1, v45
	v_and_b32_e32 v41, 0xfffff, v43
	v_add_nc_u32_e32 v43, v41, v46
                                        ; implicit-def: $vgpr41
	v_cmpx_ne_u32_e64 v44, v45
	s_xor_b32 s13, exec_lo, s13
; %bb.165:                              ;   in Loop: Header=BB4_130 Depth=2
	v_cmp_lt_u32_e32 vcc_lo, 0xffffff, v43
	v_sub_nc_u32_e32 v41, v44, v45
	v_cndmask_b32_e64 v44, 0, 1, vcc_lo
	v_add_co_ci_u32_e64 v41, null, 0, v41, vcc_lo
	v_lshrrev_b32_e32 v43, v44, v43
; %bb.166:                              ;   in Loop: Header=BB4_130 Depth=2
	s_andn2_saveexec_b32 s13, s13
; %bb.167:                              ;   in Loop: Header=BB4_130 Depth=2
	v_bfe_u32 v41, v43, 23, 1
; %bb.168:                              ;   in Loop: Header=BB4_130 Depth=2
	s_or_b32 exec_lo, exec_lo, s13
	v_lshrrev_b32_e32 v43, 20, v43
	v_min_i32_e32 v44, 15, v41
	v_cmp_gt_i32_e32 vcc_lo, 16, v41
	v_and_b32_sdwa v42, v42, v114 dst_sel:DWORD dst_unused:UNUSED_PAD src0_sel:BYTE_3 src1_sel:DWORD
	v_lshlrev_b32_e32 v44, 3, v44
	v_cndmask_b32_e32 v43, 7, v43, vcc_lo
	v_and_b32_e32 v44, 0xf8, v44
	v_and_b32_e32 v45, 7, v43
	v_or_b32_e32 v41, v41, v43
	v_or3_b32 v42, v42, v44, v45
	v_cmp_ne_u32_e32 vcc_lo, 0, v41
	v_lshlrev_b32_e32 v42, 8, v42
	v_cndmask_b32_e32 v41, 0, v42, vcc_lo
.LBB4_169:                              ;   in Loop: Header=BB4_130 Depth=2
	s_or_b32 exec_lo, exec_lo, s28
.LBB4_170:                              ;   in Loop: Header=BB4_130 Depth=2
	s_or_b32 exec_lo, exec_lo, s27
	v_and_b32_sdwa v43, v22, v117 dst_sel:DWORD dst_unused:UNUSED_PAD src0_sel:WORD_1 src1_sel:DWORD
	s_mov_b32 s13, 0
	s_mov_b32 s27, exec_lo
	v_cmpx_lt_i16_e32 0x7f, v43
	s_xor_b32 s27, exec_lo, s27
	s_cbranch_execz .LBB4_776
; %bb.171:                              ;   in Loop: Header=BB4_130 Depth=2
	s_mov_b32 s13, -1
	s_mov_b32 s28, exec_lo
	v_cmpx_eq_u16_e32 0x80, v43
; %bb.172:                              ;   in Loop: Header=BB4_130 Depth=2
	s_xor_b32 s13, exec_lo, -1
; %bb.173:                              ;   in Loop: Header=BB4_130 Depth=2
	s_or_b32 exec_lo, exec_lo, s28
	s_and_b32 s13, s13, exec_lo
                                        ; implicit-def: $vgpr43
	s_or_saveexec_b32 s27, s27
	v_mov_b32_e32 v42, 0x7f800001
	s_xor_b32 exec_lo, exec_lo, s27
	s_cbranch_execnz .LBB4_777
.LBB4_174:                              ;   in Loop: Header=BB4_130 Depth=2
	s_or_b32 exec_lo, exec_lo, s27
	s_and_saveexec_b32 s27, s13
	s_cbranch_execz .LBB4_176
.LBB4_175:                              ;   in Loop: Header=BB4_130 Depth=2
	v_bfe_u32 v42, v22, 16, 3
	v_bfe_u32 v45, v22, 19, 4
	v_lshlrev_b32_e32 v46, 8, v22
	v_ffbh_u32_e32 v43, v42
	v_cmp_eq_u32_e32 vcc_lo, 0, v45
	v_min_u32_e32 v43, 32, v43
	v_subrev_nc_u32_e32 v44, 28, v43
	v_sub_nc_u32_e32 v43, 29, v43
	v_lshlrev_b32_sdwa v44, v44, v22 dst_sel:DWORD dst_unused:UNUSED_PAD src0_sel:DWORD src1_sel:WORD_1
	v_cndmask_b32_e32 v43, v45, v43, vcc_lo
	v_and_b32_e32 v44, 7, v44
	v_lshl_add_u32 v43, v43, 23, 0x3b800000
	v_cndmask_b32_e32 v42, v42, v44, vcc_lo
	v_and_b32_e32 v44, 0x80000000, v46
	v_lshlrev_b32_e32 v42, 20, v42
	v_or3_b32 v42, v44, v43, v42
.LBB4_176:                              ;   in Loop: Header=BB4_130 Depth=2
	s_or_b32 exec_lo, exec_lo, s27
	v_and_b32_sdwa v44, v18, v117 dst_sel:DWORD dst_unused:UNUSED_PAD src0_sel:WORD_1 src1_sel:DWORD
	s_mov_b32 s13, 0
	s_mov_b32 s27, exec_lo
	v_cmpx_lt_i16_e32 0x7f, v44
	s_xor_b32 s27, exec_lo, s27
	s_cbranch_execz .LBB4_778
; %bb.177:                              ;   in Loop: Header=BB4_130 Depth=2
	s_mov_b32 s13, -1
	s_mov_b32 s28, exec_lo
	v_cmpx_eq_u16_e32 0x80, v44
; %bb.178:                              ;   in Loop: Header=BB4_130 Depth=2
	s_xor_b32 s13, exec_lo, -1
; %bb.179:                              ;   in Loop: Header=BB4_130 Depth=2
	s_or_b32 exec_lo, exec_lo, s28
	s_and_b32 s13, s13, exec_lo
                                        ; implicit-def: $vgpr44
	s_or_saveexec_b32 s27, s27
	v_mov_b32_e32 v43, 0x7f800001
	s_xor_b32 exec_lo, exec_lo, s27
	s_cbranch_execnz .LBB4_779
.LBB4_180:                              ;   in Loop: Header=BB4_130 Depth=2
	s_or_b32 exec_lo, exec_lo, s27
	s_and_saveexec_b32 s27, s13
	s_cbranch_execz .LBB4_182
.LBB4_181:                              ;   in Loop: Header=BB4_130 Depth=2
	v_bfe_u32 v43, v18, 16, 3
	v_bfe_u32 v46, v18, 19, 4
	v_lshlrev_b32_e32 v47, 8, v18
	v_ffbh_u32_e32 v44, v43
	v_cmp_eq_u32_e32 vcc_lo, 0, v46
	v_min_u32_e32 v44, 32, v44
	v_subrev_nc_u32_e32 v45, 28, v44
	v_sub_nc_u32_e32 v44, 29, v44
	v_lshlrev_b32_sdwa v45, v45, v18 dst_sel:DWORD dst_unused:UNUSED_PAD src0_sel:DWORD src1_sel:WORD_1
	v_cndmask_b32_e32 v44, v46, v44, vcc_lo
	v_and_b32_e32 v45, 7, v45
	v_lshl_add_u32 v44, v44, 23, 0x3b800000
	v_cndmask_b32_e32 v43, v43, v45, vcc_lo
	v_and_b32_e32 v45, 0x80000000, v47
	v_lshlrev_b32_e32 v43, 20, v43
	v_or3_b32 v43, v45, v44, v43
.LBB4_182:                              ;   in Loop: Header=BB4_130 Depth=2
	s_or_b32 exec_lo, exec_lo, s27
	v_add_f32_e32 v43, v42, v43
	v_and_b32_e32 v42, 0x7f800000, v43
	v_cmp_ne_u32_e32 vcc_lo, 0x7f800000, v42
	v_mov_b32_e32 v42, 0x80
	s_and_saveexec_b32 s27, vcc_lo
	s_cbranch_execz .LBB4_190
; %bb.183:                              ;   in Loop: Header=BB4_130 Depth=2
	v_mov_b32_e32 v42, 0
	s_mov_b32 s28, exec_lo
	v_cmpx_ne_u32_e32 0, v43
	s_cbranch_execz .LBB4_189
; %bb.184:                              ;   in Loop: Header=BB4_130 Depth=2
	v_bfe_u32 v42, v43, 23, 8
	v_and_b32_e32 v44, 0x7fffff, v43
	v_sub_nc_u32_e32 v45, 0x78, v42
	v_cmp_gt_u32_e32 vcc_lo, 0x79, v42
	v_or_b32_e32 v46, 0x800000, v44
	v_cndmask_b32_e32 v45, 0, v45, vcc_lo
	v_cmp_eq_u32_e32 vcc_lo, 0, v42
	v_add_nc_u32_e32 v42, 0xffffff89, v42
	v_cndmask_b32_e64 v45, v45, 0x77, vcc_lo
	v_cndmask_b32_e32 v44, v46, v44, vcc_lo
	v_cndmask_b32_e64 v42, v42, 0xffffff8a, vcc_lo
	v_lshl_add_u32 v46, 0x100000, v45, -1
	v_lshrrev_b32_e32 v47, v45, v44
	v_lshlrev_b32_e64 v57, v45, 0x80000
	v_add_nc_u32_e32 v45, v45, v42
	v_and_b32_e32 v44, v46, v44
	v_bfe_u32 v56, v47, 20, 1
	v_cmp_eq_u32_e64 s13, v44, v57
	v_add_nc_u32_e32 v46, -1, v56
	v_cndmask_b32_e64 v44, 0, v46, s13
	v_lshrrev_b32_e32 v46, 23, v47
	s_mov_b32 s13, exec_lo
	v_add_nc_u32_e32 v44, v44, v47
	v_xor_b32_e32 v46, 1, v46
	v_and_b32_e32 v42, 0xfffff, v44
	v_add_nc_u32_e32 v44, v42, v47
                                        ; implicit-def: $vgpr42
	v_cmpx_ne_u32_e64 v45, v46
	s_xor_b32 s13, exec_lo, s13
; %bb.185:                              ;   in Loop: Header=BB4_130 Depth=2
	v_cmp_lt_u32_e32 vcc_lo, 0xffffff, v44
	v_sub_nc_u32_e32 v42, v45, v46
	v_cndmask_b32_e64 v45, 0, 1, vcc_lo
	v_add_co_ci_u32_e64 v42, null, 0, v42, vcc_lo
	v_lshrrev_b32_e32 v44, v45, v44
; %bb.186:                              ;   in Loop: Header=BB4_130 Depth=2
	s_andn2_saveexec_b32 s13, s13
; %bb.187:                              ;   in Loop: Header=BB4_130 Depth=2
	v_bfe_u32 v42, v44, 23, 1
; %bb.188:                              ;   in Loop: Header=BB4_130 Depth=2
	s_or_b32 exec_lo, exec_lo, s13
	v_lshrrev_b32_e32 v44, 20, v44
	v_min_i32_e32 v45, 15, v42
	v_cmp_gt_i32_e32 vcc_lo, 16, v42
	v_and_b32_sdwa v43, v43, v114 dst_sel:DWORD dst_unused:UNUSED_PAD src0_sel:BYTE_3 src1_sel:DWORD
	v_lshlrev_b32_e32 v45, 3, v45
	v_cndmask_b32_e32 v44, 7, v44, vcc_lo
	v_and_b32_e32 v45, 0xf8, v45
	v_and_b32_e32 v46, 7, v44
	v_or_b32_e32 v42, v42, v44
	v_or3_b32 v43, v45, v43, v46
	v_cmp_ne_u32_e32 vcc_lo, 0, v42
	v_cndmask_b32_e32 v42, 0, v43, vcc_lo
.LBB4_189:                              ;   in Loop: Header=BB4_130 Depth=2
	s_or_b32 exec_lo, exec_lo, s28
.LBB4_190:                              ;   in Loop: Header=BB4_130 Depth=2
	s_or_b32 exec_lo, exec_lo, s27
	v_cmp_gt_i16_sdwa s27, v22, v101 src0_sel:BYTE_3 src1_sel:DWORD
	s_mov_b32 s13, 0
	s_and_saveexec_b32 s28, s27
	s_xor_b32 s27, exec_lo, s28
	s_cbranch_execz .LBB4_780
; %bb.191:                              ;   in Loop: Header=BB4_130 Depth=2
	v_cmp_eq_u16_sdwa s29, v22, v114 src0_sel:BYTE_3 src1_sel:DWORD
	s_mov_b32 s13, -1
	s_and_saveexec_b32 s28, s29
; %bb.192:                              ;   in Loop: Header=BB4_130 Depth=2
	s_xor_b32 s13, exec_lo, -1
; %bb.193:                              ;   in Loop: Header=BB4_130 Depth=2
	s_or_b32 exec_lo, exec_lo, s28
	s_and_b32 s13, s13, exec_lo
	s_or_saveexec_b32 s27, s27
	v_mov_b32_e32 v43, 0x7f800001
	s_xor_b32 exec_lo, exec_lo, s27
	s_cbranch_execnz .LBB4_781
.LBB4_194:                              ;   in Loop: Header=BB4_130 Depth=2
	s_or_b32 exec_lo, exec_lo, s27
	s_and_saveexec_b32 s27, s13
	s_cbranch_execz .LBB4_196
.LBB4_195:                              ;   in Loop: Header=BB4_130 Depth=2
	v_bfe_u32 v43, v22, 24, 3
	v_bfe_u32 v46, v22, 27, 4
	v_ffbh_u32_e32 v44, v43
	v_cmp_eq_u32_e32 vcc_lo, 0, v46
	v_min_u32_e32 v44, 32, v44
	v_subrev_nc_u32_e32 v45, 28, v44
	v_sub_nc_u32_e32 v44, 29, v44
	v_lshlrev_b32_sdwa v45, v45, v22 dst_sel:DWORD dst_unused:UNUSED_PAD src0_sel:DWORD src1_sel:BYTE_3
	v_cndmask_b32_e32 v44, v46, v44, vcc_lo
	v_and_b32_e32 v22, 0x80000000, v22
	v_and_b32_e32 v45, 7, v45
	v_lshl_add_u32 v44, v44, 23, 0x3b800000
	v_cndmask_b32_e32 v43, v43, v45, vcc_lo
	v_lshlrev_b32_e32 v43, 20, v43
	v_or3_b32 v43, v22, v44, v43
.LBB4_196:                              ;   in Loop: Header=BB4_130 Depth=2
	s_or_b32 exec_lo, exec_lo, s27
	v_cmp_gt_i16_sdwa s27, v18, v101 src0_sel:BYTE_3 src1_sel:DWORD
	s_mov_b32 s13, 0
	s_and_saveexec_b32 s28, s27
	s_xor_b32 s27, exec_lo, s28
	s_cbranch_execz .LBB4_782
; %bb.197:                              ;   in Loop: Header=BB4_130 Depth=2
	v_cmp_eq_u16_sdwa s29, v18, v114 src0_sel:BYTE_3 src1_sel:DWORD
	s_mov_b32 s13, -1
	s_and_saveexec_b32 s28, s29
; %bb.198:                              ;   in Loop: Header=BB4_130 Depth=2
	s_xor_b32 s13, exec_lo, -1
; %bb.199:                              ;   in Loop: Header=BB4_130 Depth=2
	s_or_b32 exec_lo, exec_lo, s28
	s_and_b32 s13, s13, exec_lo
	s_or_saveexec_b32 s27, s27
	v_mov_b32_e32 v22, 0x7f800001
	s_xor_b32 exec_lo, exec_lo, s27
	s_cbranch_execnz .LBB4_783
.LBB4_200:                              ;   in Loop: Header=BB4_130 Depth=2
	s_or_b32 exec_lo, exec_lo, s27
	s_and_saveexec_b32 s27, s13
	s_cbranch_execz .LBB4_202
.LBB4_201:                              ;   in Loop: Header=BB4_130 Depth=2
	v_bfe_u32 v22, v18, 24, 3
	v_bfe_u32 v46, v18, 27, 4
	v_ffbh_u32_e32 v44, v22
	v_cmp_eq_u32_e32 vcc_lo, 0, v46
	v_min_u32_e32 v44, 32, v44
	v_subrev_nc_u32_e32 v45, 28, v44
	v_sub_nc_u32_e32 v44, 29, v44
	v_lshlrev_b32_sdwa v45, v45, v18 dst_sel:DWORD dst_unused:UNUSED_PAD src0_sel:DWORD src1_sel:BYTE_3
	v_cndmask_b32_e32 v44, v46, v44, vcc_lo
	v_and_b32_e32 v18, 0x80000000, v18
	v_and_b32_e32 v45, 7, v45
	v_lshl_add_u32 v44, v44, 23, 0x3b800000
	v_cndmask_b32_e32 v22, v22, v45, vcc_lo
	v_lshlrev_b32_e32 v22, 20, v22
	v_or3_b32 v22, v18, v44, v22
.LBB4_202:                              ;   in Loop: Header=BB4_130 Depth=2
	s_or_b32 exec_lo, exec_lo, s27
	v_add_f32_e32 v22, v43, v22
	v_and_b32_e32 v18, 0x7f800000, v22
	v_cmp_ne_u32_e32 vcc_lo, 0x7f800000, v18
	v_mov_b32_e32 v18, 0x8000
	s_and_saveexec_b32 s27, vcc_lo
	s_cbranch_execz .LBB4_210
; %bb.203:                              ;   in Loop: Header=BB4_130 Depth=2
	v_mov_b32_e32 v18, 0
	s_mov_b32 s28, exec_lo
	v_cmpx_ne_u32_e32 0, v22
	s_cbranch_execz .LBB4_209
; %bb.204:                              ;   in Loop: Header=BB4_130 Depth=2
	v_bfe_u32 v18, v22, 23, 8
	v_and_b32_e32 v43, 0x7fffff, v22
	v_sub_nc_u32_e32 v44, 0x78, v18
	v_cmp_gt_u32_e32 vcc_lo, 0x79, v18
	v_or_b32_e32 v45, 0x800000, v43
	v_cndmask_b32_e32 v44, 0, v44, vcc_lo
	v_cmp_eq_u32_e32 vcc_lo, 0, v18
	v_add_nc_u32_e32 v18, 0xffffff89, v18
	v_cndmask_b32_e64 v44, v44, 0x77, vcc_lo
	v_cndmask_b32_e32 v43, v45, v43, vcc_lo
	v_cndmask_b32_e64 v18, v18, 0xffffff8a, vcc_lo
	v_lshl_add_u32 v45, 0x100000, v44, -1
	v_lshrrev_b32_e32 v46, v44, v43
	v_lshlrev_b32_e64 v56, v44, 0x80000
	v_add_nc_u32_e32 v44, v44, v18
	v_and_b32_e32 v43, v45, v43
	v_bfe_u32 v47, v46, 20, 1
	v_cmp_eq_u32_e64 s13, v43, v56
	v_add_nc_u32_e32 v45, -1, v47
	v_cndmask_b32_e64 v43, 0, v45, s13
	v_lshrrev_b32_e32 v45, 23, v46
	s_mov_b32 s13, exec_lo
	v_add_nc_u32_e32 v43, v43, v46
	v_xor_b32_e32 v45, 1, v45
	v_and_b32_e32 v18, 0xfffff, v43
	v_add_nc_u32_e32 v43, v18, v46
                                        ; implicit-def: $vgpr18
	v_cmpx_ne_u32_e64 v44, v45
	s_xor_b32 s13, exec_lo, s13
; %bb.205:                              ;   in Loop: Header=BB4_130 Depth=2
	v_cmp_lt_u32_e32 vcc_lo, 0xffffff, v43
	v_sub_nc_u32_e32 v18, v44, v45
	v_cndmask_b32_e64 v44, 0, 1, vcc_lo
	v_add_co_ci_u32_e64 v18, null, 0, v18, vcc_lo
	v_lshrrev_b32_e32 v43, v44, v43
; %bb.206:                              ;   in Loop: Header=BB4_130 Depth=2
	s_andn2_saveexec_b32 s13, s13
; %bb.207:                              ;   in Loop: Header=BB4_130 Depth=2
	v_bfe_u32 v18, v43, 23, 1
; %bb.208:                              ;   in Loop: Header=BB4_130 Depth=2
	s_or_b32 exec_lo, exec_lo, s13
	v_lshrrev_b32_e32 v43, 20, v43
	v_min_i32_e32 v44, 15, v18
	v_cmp_gt_i32_e32 vcc_lo, 16, v18
	v_and_b32_sdwa v22, v22, v114 dst_sel:DWORD dst_unused:UNUSED_PAD src0_sel:BYTE_3 src1_sel:DWORD
	v_lshlrev_b32_e32 v44, 3, v44
	v_cndmask_b32_e32 v43, 7, v43, vcc_lo
	v_and_b32_e32 v44, 0xf8, v44
	v_and_b32_e32 v45, 7, v43
	v_or_b32_e32 v18, v18, v43
	v_or3_b32 v22, v22, v44, v45
	v_cmp_ne_u32_e32 vcc_lo, 0, v18
	v_lshlrev_b32_e32 v22, 8, v22
	v_cndmask_b32_e32 v18, 0, v22, vcc_lo
.LBB4_209:                              ;   in Loop: Header=BB4_130 Depth=2
	s_or_b32 exec_lo, exec_lo, s28
.LBB4_210:                              ;   in Loop: Header=BB4_130 Depth=2
	s_or_b32 exec_lo, exec_lo, s27
	v_cmp_gt_i16_sdwa s27, v23, v101 src0_sel:BYTE_0 src1_sel:DWORD
	s_mov_b32 s13, 0
	s_and_saveexec_b32 s28, s27
	s_xor_b32 s27, exec_lo, s28
	s_cbranch_execz .LBB4_784
; %bb.211:                              ;   in Loop: Header=BB4_130 Depth=2
	v_cmp_eq_u16_sdwa s29, v23, v114 src0_sel:BYTE_0 src1_sel:DWORD
	s_mov_b32 s13, -1
	s_and_saveexec_b32 s28, s29
; %bb.212:                              ;   in Loop: Header=BB4_130 Depth=2
	s_xor_b32 s13, exec_lo, -1
; %bb.213:                              ;   in Loop: Header=BB4_130 Depth=2
	s_or_b32 exec_lo, exec_lo, s28
	s_and_b32 s13, s13, exec_lo
	s_or_saveexec_b32 s27, s27
	v_mov_b32_e32 v22, 0x7f800001
	s_xor_b32 exec_lo, exec_lo, s27
	s_cbranch_execnz .LBB4_785
.LBB4_214:                              ;   in Loop: Header=BB4_130 Depth=2
	s_or_b32 exec_lo, exec_lo, s27
	s_and_saveexec_b32 s27, s13
	s_cbranch_execz .LBB4_216
.LBB4_215:                              ;   in Loop: Header=BB4_130 Depth=2
	v_and_b32_e32 v22, 7, v23
	v_bfe_u32 v45, v23, 3, 4
	v_lshlrev_b32_e32 v46, 24, v23
	v_ffbh_u32_e32 v43, v22
	v_cmp_eq_u32_e32 vcc_lo, 0, v45
	v_min_u32_e32 v43, 32, v43
	v_subrev_nc_u32_e32 v44, 28, v43
	v_sub_nc_u32_e32 v43, 29, v43
	v_lshlrev_b32_e32 v44, v44, v23
	v_cndmask_b32_e32 v43, v45, v43, vcc_lo
	v_and_b32_e32 v44, 7, v44
	v_lshl_add_u32 v43, v43, 23, 0x3b800000
	v_cndmask_b32_e32 v22, v22, v44, vcc_lo
	v_and_b32_e32 v44, 0x80000000, v46
	v_lshlrev_b32_e32 v22, 20, v22
	v_or3_b32 v22, v44, v43, v22
.LBB4_216:                              ;   in Loop: Header=BB4_130 Depth=2
	s_or_b32 exec_lo, exec_lo, s27
	v_cmp_gt_i16_sdwa s27, v19, v101 src0_sel:BYTE_0 src1_sel:DWORD
	s_mov_b32 s13, 0
	s_and_saveexec_b32 s28, s27
	s_xor_b32 s27, exec_lo, s28
	s_cbranch_execz .LBB4_786
; %bb.217:                              ;   in Loop: Header=BB4_130 Depth=2
	v_cmp_eq_u16_sdwa s29, v19, v114 src0_sel:BYTE_0 src1_sel:DWORD
	s_mov_b32 s13, -1
	s_and_saveexec_b32 s28, s29
; %bb.218:                              ;   in Loop: Header=BB4_130 Depth=2
	s_xor_b32 s13, exec_lo, -1
; %bb.219:                              ;   in Loop: Header=BB4_130 Depth=2
	s_or_b32 exec_lo, exec_lo, s28
	s_and_b32 s13, s13, exec_lo
	s_or_saveexec_b32 s27, s27
	v_mov_b32_e32 v43, 0x7f800001
	s_xor_b32 exec_lo, exec_lo, s27
	s_cbranch_execnz .LBB4_787
.LBB4_220:                              ;   in Loop: Header=BB4_130 Depth=2
	s_or_b32 exec_lo, exec_lo, s27
	s_and_saveexec_b32 s27, s13
	s_cbranch_execz .LBB4_222
.LBB4_221:                              ;   in Loop: Header=BB4_130 Depth=2
	v_and_b32_e32 v43, 7, v19
	v_bfe_u32 v46, v19, 3, 4
	v_lshlrev_b32_e32 v47, 24, v19
	v_ffbh_u32_e32 v44, v43
	v_cmp_eq_u32_e32 vcc_lo, 0, v46
	v_min_u32_e32 v44, 32, v44
	v_subrev_nc_u32_e32 v45, 28, v44
	v_sub_nc_u32_e32 v44, 29, v44
	v_lshlrev_b32_e32 v45, v45, v19
	v_cndmask_b32_e32 v44, v46, v44, vcc_lo
	v_and_b32_e32 v45, 7, v45
	v_lshl_add_u32 v44, v44, 23, 0x3b800000
	v_cndmask_b32_e32 v43, v43, v45, vcc_lo
	v_and_b32_e32 v45, 0x80000000, v47
	v_lshlrev_b32_e32 v43, 20, v43
	v_or3_b32 v43, v45, v44, v43
.LBB4_222:                              ;   in Loop: Header=BB4_130 Depth=2
	s_or_b32 exec_lo, exec_lo, s27
	v_add_f32_e32 v43, v22, v43
	v_and_b32_e32 v22, 0x7f800000, v43
	v_cmp_ne_u32_e32 vcc_lo, 0x7f800000, v22
	v_mov_b32_e32 v22, 0x80
	s_and_saveexec_b32 s27, vcc_lo
	s_cbranch_execz .LBB4_230
; %bb.223:                              ;   in Loop: Header=BB4_130 Depth=2
	v_mov_b32_e32 v22, 0
	s_mov_b32 s28, exec_lo
	v_cmpx_ne_u32_e32 0, v43
	s_cbranch_execz .LBB4_229
; %bb.224:                              ;   in Loop: Header=BB4_130 Depth=2
	v_bfe_u32 v22, v43, 23, 8
	v_and_b32_e32 v44, 0x7fffff, v43
	v_sub_nc_u32_e32 v45, 0x78, v22
	v_cmp_gt_u32_e32 vcc_lo, 0x79, v22
	v_or_b32_e32 v46, 0x800000, v44
	v_cndmask_b32_e32 v45, 0, v45, vcc_lo
	v_cmp_eq_u32_e32 vcc_lo, 0, v22
	v_add_nc_u32_e32 v22, 0xffffff89, v22
	v_cndmask_b32_e64 v45, v45, 0x77, vcc_lo
	v_cndmask_b32_e32 v44, v46, v44, vcc_lo
	v_cndmask_b32_e64 v22, v22, 0xffffff8a, vcc_lo
	v_lshl_add_u32 v46, 0x100000, v45, -1
	v_lshrrev_b32_e32 v47, v45, v44
	v_lshlrev_b32_e64 v57, v45, 0x80000
	v_add_nc_u32_e32 v45, v45, v22
	v_and_b32_e32 v44, v46, v44
	v_bfe_u32 v56, v47, 20, 1
	v_cmp_eq_u32_e64 s13, v44, v57
	v_add_nc_u32_e32 v46, -1, v56
	v_cndmask_b32_e64 v44, 0, v46, s13
	v_lshrrev_b32_e32 v46, 23, v47
	s_mov_b32 s13, exec_lo
	v_add_nc_u32_e32 v44, v44, v47
	v_xor_b32_e32 v46, 1, v46
	v_and_b32_e32 v22, 0xfffff, v44
	v_add_nc_u32_e32 v44, v22, v47
                                        ; implicit-def: $vgpr22
	v_cmpx_ne_u32_e64 v45, v46
	s_xor_b32 s13, exec_lo, s13
; %bb.225:                              ;   in Loop: Header=BB4_130 Depth=2
	v_cmp_lt_u32_e32 vcc_lo, 0xffffff, v44
	v_sub_nc_u32_e32 v22, v45, v46
	v_cndmask_b32_e64 v45, 0, 1, vcc_lo
	v_add_co_ci_u32_e64 v22, null, 0, v22, vcc_lo
	v_lshrrev_b32_e32 v44, v45, v44
; %bb.226:                              ;   in Loop: Header=BB4_130 Depth=2
	s_andn2_saveexec_b32 s13, s13
; %bb.227:                              ;   in Loop: Header=BB4_130 Depth=2
	v_bfe_u32 v22, v44, 23, 1
; %bb.228:                              ;   in Loop: Header=BB4_130 Depth=2
	s_or_b32 exec_lo, exec_lo, s13
	v_lshrrev_b32_e32 v44, 20, v44
	v_min_i32_e32 v45, 15, v22
	v_cmp_gt_i32_e32 vcc_lo, 16, v22
	v_and_b32_sdwa v43, v43, v114 dst_sel:DWORD dst_unused:UNUSED_PAD src0_sel:BYTE_3 src1_sel:DWORD
	v_lshlrev_b32_e32 v45, 3, v45
	v_cndmask_b32_e32 v44, 7, v44, vcc_lo
	v_and_b32_e32 v45, 0xf8, v45
	v_and_b32_e32 v46, 7, v44
	v_or_b32_e32 v22, v22, v44
	v_or3_b32 v43, v45, v43, v46
	v_cmp_ne_u32_e32 vcc_lo, 0, v22
	v_cndmask_b32_e32 v22, 0, v43, vcc_lo
.LBB4_229:                              ;   in Loop: Header=BB4_130 Depth=2
	s_or_b32 exec_lo, exec_lo, s28
.LBB4_230:                              ;   in Loop: Header=BB4_130 Depth=2
	s_or_b32 exec_lo, exec_lo, s27
	v_cmp_gt_i16_sdwa s27, v23, v101 src0_sel:BYTE_1 src1_sel:DWORD
	s_mov_b32 s13, 0
	s_and_saveexec_b32 s28, s27
	s_xor_b32 s27, exec_lo, s28
	s_cbranch_execz .LBB4_788
; %bb.231:                              ;   in Loop: Header=BB4_130 Depth=2
	v_cmp_eq_u16_sdwa s29, v23, v114 src0_sel:BYTE_1 src1_sel:DWORD
	s_mov_b32 s13, -1
	s_and_saveexec_b32 s28, s29
; %bb.232:                              ;   in Loop: Header=BB4_130 Depth=2
	s_xor_b32 s13, exec_lo, -1
; %bb.233:                              ;   in Loop: Header=BB4_130 Depth=2
	s_or_b32 exec_lo, exec_lo, s28
	s_and_b32 s13, s13, exec_lo
	s_or_saveexec_b32 s27, s27
	v_mov_b32_e32 v43, 0x7f800001
	s_xor_b32 exec_lo, exec_lo, s27
	s_cbranch_execnz .LBB4_789
.LBB4_234:                              ;   in Loop: Header=BB4_130 Depth=2
	s_or_b32 exec_lo, exec_lo, s27
	s_and_saveexec_b32 s27, s13
	s_cbranch_execz .LBB4_236
.LBB4_235:                              ;   in Loop: Header=BB4_130 Depth=2
	v_and_b32_sdwa v43, v115, v23 dst_sel:DWORD dst_unused:UNUSED_PAD src0_sel:DWORD src1_sel:BYTE_1
	v_and_b32_e32 v44, 7, v43
	v_bfe_u32 v47, v43, 3, 4
	v_ffbh_u32_e32 v45, v44
	v_cmp_eq_u32_e32 vcc_lo, 0, v47
	v_min_u32_e32 v45, 32, v45
	v_subrev_nc_u32_e32 v46, 28, v45
	v_sub_nc_u32_e32 v45, 29, v45
	v_lshlrev_b32_e32 v43, v46, v43
	v_lshlrev_b32_sdwa v46, v116, v23 dst_sel:DWORD dst_unused:UNUSED_PAD src0_sel:DWORD src1_sel:BYTE_1
	v_cndmask_b32_e32 v45, v47, v45, vcc_lo
	v_and_b32_e32 v43, 7, v43
	v_lshl_add_u32 v45, v45, 23, 0x3b800000
	v_cndmask_b32_e32 v43, v44, v43, vcc_lo
	v_and_b32_e32 v44, 0x80000000, v46
	v_lshlrev_b32_e32 v43, 20, v43
	v_or3_b32 v43, v44, v45, v43
.LBB4_236:                              ;   in Loop: Header=BB4_130 Depth=2
	s_or_b32 exec_lo, exec_lo, s27
	v_cmp_gt_i16_sdwa s27, v19, v101 src0_sel:BYTE_1 src1_sel:DWORD
	s_mov_b32 s13, 0
	s_and_saveexec_b32 s28, s27
	s_xor_b32 s27, exec_lo, s28
	s_cbranch_execz .LBB4_790
; %bb.237:                              ;   in Loop: Header=BB4_130 Depth=2
	v_cmp_eq_u16_sdwa s29, v19, v114 src0_sel:BYTE_1 src1_sel:DWORD
	s_mov_b32 s13, -1
	s_and_saveexec_b32 s28, s29
; %bb.238:                              ;   in Loop: Header=BB4_130 Depth=2
	s_xor_b32 s13, exec_lo, -1
; %bb.239:                              ;   in Loop: Header=BB4_130 Depth=2
	s_or_b32 exec_lo, exec_lo, s28
	s_and_b32 s13, s13, exec_lo
	s_or_saveexec_b32 s27, s27
	v_mov_b32_e32 v44, 0x7f800001
	s_xor_b32 exec_lo, exec_lo, s27
	s_cbranch_execnz .LBB4_791
.LBB4_240:                              ;   in Loop: Header=BB4_130 Depth=2
	s_or_b32 exec_lo, exec_lo, s27
	s_and_saveexec_b32 s27, s13
	s_cbranch_execz .LBB4_242
.LBB4_241:                              ;   in Loop: Header=BB4_130 Depth=2
	v_and_b32_sdwa v44, v115, v19 dst_sel:DWORD dst_unused:UNUSED_PAD src0_sel:DWORD src1_sel:BYTE_1
	v_and_b32_e32 v45, 7, v44
	v_bfe_u32 v56, v44, 3, 4
	v_ffbh_u32_e32 v46, v45
	v_cmp_eq_u32_e32 vcc_lo, 0, v56
	v_min_u32_e32 v46, 32, v46
	v_subrev_nc_u32_e32 v47, 28, v46
	v_sub_nc_u32_e32 v46, 29, v46
	v_lshlrev_b32_e32 v44, v47, v44
	v_lshlrev_b32_sdwa v47, v116, v19 dst_sel:DWORD dst_unused:UNUSED_PAD src0_sel:DWORD src1_sel:BYTE_1
	v_cndmask_b32_e32 v46, v56, v46, vcc_lo
	v_and_b32_e32 v44, 7, v44
	v_lshl_add_u32 v46, v46, 23, 0x3b800000
	v_cndmask_b32_e32 v44, v45, v44, vcc_lo
	v_and_b32_e32 v45, 0x80000000, v47
	v_lshlrev_b32_e32 v44, 20, v44
	v_or3_b32 v44, v45, v46, v44
.LBB4_242:                              ;   in Loop: Header=BB4_130 Depth=2
	s_or_b32 exec_lo, exec_lo, s27
	v_add_f32_e32 v44, v43, v44
	v_and_b32_e32 v43, 0x7f800000, v44
	v_cmp_ne_u32_e32 vcc_lo, 0x7f800000, v43
	v_mov_b32_e32 v43, 0x8000
	s_and_saveexec_b32 s27, vcc_lo
	s_cbranch_execz .LBB4_250
; %bb.243:                              ;   in Loop: Header=BB4_130 Depth=2
	v_mov_b32_e32 v43, 0
	s_mov_b32 s28, exec_lo
	v_cmpx_ne_u32_e32 0, v44
	s_cbranch_execz .LBB4_249
; %bb.244:                              ;   in Loop: Header=BB4_130 Depth=2
	v_bfe_u32 v43, v44, 23, 8
	v_and_b32_e32 v45, 0x7fffff, v44
	v_sub_nc_u32_e32 v46, 0x78, v43
	v_cmp_gt_u32_e32 vcc_lo, 0x79, v43
	v_or_b32_e32 v47, 0x800000, v45
	v_cndmask_b32_e32 v46, 0, v46, vcc_lo
	v_cmp_eq_u32_e32 vcc_lo, 0, v43
	v_add_nc_u32_e32 v43, 0xffffff89, v43
	v_cndmask_b32_e64 v46, v46, 0x77, vcc_lo
	v_cndmask_b32_e32 v45, v47, v45, vcc_lo
	v_cndmask_b32_e64 v43, v43, 0xffffff8a, vcc_lo
	v_lshl_add_u32 v47, 0x100000, v46, -1
	v_lshrrev_b32_e32 v56, v46, v45
	v_lshlrev_b32_e64 v58, v46, 0x80000
	v_add_nc_u32_e32 v46, v46, v43
	v_and_b32_e32 v45, v47, v45
	v_bfe_u32 v57, v56, 20, 1
	v_cmp_eq_u32_e64 s13, v45, v58
	v_add_nc_u32_e32 v47, -1, v57
	v_cndmask_b32_e64 v45, 0, v47, s13
	v_lshrrev_b32_e32 v47, 23, v56
	s_mov_b32 s13, exec_lo
	v_add_nc_u32_e32 v45, v45, v56
	v_xor_b32_e32 v47, 1, v47
	v_and_b32_e32 v43, 0xfffff, v45
	v_add_nc_u32_e32 v45, v43, v56
                                        ; implicit-def: $vgpr43
	v_cmpx_ne_u32_e64 v46, v47
	s_xor_b32 s13, exec_lo, s13
; %bb.245:                              ;   in Loop: Header=BB4_130 Depth=2
	v_cmp_lt_u32_e32 vcc_lo, 0xffffff, v45
	v_sub_nc_u32_e32 v43, v46, v47
	v_cndmask_b32_e64 v46, 0, 1, vcc_lo
	v_add_co_ci_u32_e64 v43, null, 0, v43, vcc_lo
	v_lshrrev_b32_e32 v45, v46, v45
; %bb.246:                              ;   in Loop: Header=BB4_130 Depth=2
	s_andn2_saveexec_b32 s13, s13
; %bb.247:                              ;   in Loop: Header=BB4_130 Depth=2
	v_bfe_u32 v43, v45, 23, 1
; %bb.248:                              ;   in Loop: Header=BB4_130 Depth=2
	s_or_b32 exec_lo, exec_lo, s13
	v_lshrrev_b32_e32 v45, 20, v45
	v_min_i32_e32 v46, 15, v43
	v_cmp_gt_i32_e32 vcc_lo, 16, v43
	v_and_b32_sdwa v44, v44, v114 dst_sel:DWORD dst_unused:UNUSED_PAD src0_sel:BYTE_3 src1_sel:DWORD
	v_lshlrev_b32_e32 v46, 3, v46
	v_cndmask_b32_e32 v45, 7, v45, vcc_lo
	v_and_b32_e32 v46, 0xf8, v46
	v_and_b32_e32 v47, 7, v45
	v_or_b32_e32 v43, v43, v45
	v_or3_b32 v44, v44, v46, v47
	v_cmp_ne_u32_e32 vcc_lo, 0, v43
	v_lshlrev_b32_e32 v44, 8, v44
	v_cndmask_b32_e32 v43, 0, v44, vcc_lo
.LBB4_249:                              ;   in Loop: Header=BB4_130 Depth=2
	s_or_b32 exec_lo, exec_lo, s28
.LBB4_250:                              ;   in Loop: Header=BB4_130 Depth=2
	s_or_b32 exec_lo, exec_lo, s27
	v_and_b32_sdwa v45, v23, v117 dst_sel:DWORD dst_unused:UNUSED_PAD src0_sel:WORD_1 src1_sel:DWORD
	s_mov_b32 s13, 0
	s_mov_b32 s27, exec_lo
	v_cmpx_lt_i16_e32 0x7f, v45
	s_xor_b32 s27, exec_lo, s27
	s_cbranch_execz .LBB4_792
; %bb.251:                              ;   in Loop: Header=BB4_130 Depth=2
	s_mov_b32 s13, -1
	s_mov_b32 s28, exec_lo
	v_cmpx_eq_u16_e32 0x80, v45
; %bb.252:                              ;   in Loop: Header=BB4_130 Depth=2
	s_xor_b32 s13, exec_lo, -1
; %bb.253:                              ;   in Loop: Header=BB4_130 Depth=2
	s_or_b32 exec_lo, exec_lo, s28
	s_and_b32 s13, s13, exec_lo
                                        ; implicit-def: $vgpr45
	s_or_saveexec_b32 s27, s27
	v_mov_b32_e32 v44, 0x7f800001
	s_xor_b32 exec_lo, exec_lo, s27
	s_cbranch_execnz .LBB4_793
.LBB4_254:                              ;   in Loop: Header=BB4_130 Depth=2
	s_or_b32 exec_lo, exec_lo, s27
	s_and_saveexec_b32 s27, s13
	s_cbranch_execz .LBB4_256
.LBB4_255:                              ;   in Loop: Header=BB4_130 Depth=2
	v_bfe_u32 v44, v23, 16, 3
	v_bfe_u32 v47, v23, 19, 4
	v_lshlrev_b32_e32 v56, 8, v23
	v_ffbh_u32_e32 v45, v44
	v_cmp_eq_u32_e32 vcc_lo, 0, v47
	v_min_u32_e32 v45, 32, v45
	v_subrev_nc_u32_e32 v46, 28, v45
	v_sub_nc_u32_e32 v45, 29, v45
	v_lshlrev_b32_sdwa v46, v46, v23 dst_sel:DWORD dst_unused:UNUSED_PAD src0_sel:DWORD src1_sel:WORD_1
	v_cndmask_b32_e32 v45, v47, v45, vcc_lo
	v_and_b32_e32 v46, 7, v46
	v_lshl_add_u32 v45, v45, 23, 0x3b800000
	v_cndmask_b32_e32 v44, v44, v46, vcc_lo
	v_and_b32_e32 v46, 0x80000000, v56
	v_lshlrev_b32_e32 v44, 20, v44
	v_or3_b32 v44, v46, v45, v44
.LBB4_256:                              ;   in Loop: Header=BB4_130 Depth=2
	s_or_b32 exec_lo, exec_lo, s27
	v_and_b32_sdwa v46, v19, v117 dst_sel:DWORD dst_unused:UNUSED_PAD src0_sel:WORD_1 src1_sel:DWORD
	s_mov_b32 s13, 0
	s_mov_b32 s27, exec_lo
	v_cmpx_lt_i16_e32 0x7f, v46
	s_xor_b32 s27, exec_lo, s27
	s_cbranch_execz .LBB4_794
; %bb.257:                              ;   in Loop: Header=BB4_130 Depth=2
	s_mov_b32 s13, -1
	s_mov_b32 s28, exec_lo
	v_cmpx_eq_u16_e32 0x80, v46
; %bb.258:                              ;   in Loop: Header=BB4_130 Depth=2
	s_xor_b32 s13, exec_lo, -1
; %bb.259:                              ;   in Loop: Header=BB4_130 Depth=2
	s_or_b32 exec_lo, exec_lo, s28
	s_and_b32 s13, s13, exec_lo
                                        ; implicit-def: $vgpr46
	s_or_saveexec_b32 s27, s27
	v_mov_b32_e32 v45, 0x7f800001
	s_xor_b32 exec_lo, exec_lo, s27
	s_cbranch_execnz .LBB4_795
.LBB4_260:                              ;   in Loop: Header=BB4_130 Depth=2
	s_or_b32 exec_lo, exec_lo, s27
	s_and_saveexec_b32 s27, s13
	s_cbranch_execz .LBB4_262
.LBB4_261:                              ;   in Loop: Header=BB4_130 Depth=2
	v_bfe_u32 v45, v19, 16, 3
	v_bfe_u32 v56, v19, 19, 4
	v_lshlrev_b32_e32 v57, 8, v19
	v_ffbh_u32_e32 v46, v45
	v_cmp_eq_u32_e32 vcc_lo, 0, v56
	v_min_u32_e32 v46, 32, v46
	v_subrev_nc_u32_e32 v47, 28, v46
	v_sub_nc_u32_e32 v46, 29, v46
	v_lshlrev_b32_sdwa v47, v47, v19 dst_sel:DWORD dst_unused:UNUSED_PAD src0_sel:DWORD src1_sel:WORD_1
	v_cndmask_b32_e32 v46, v56, v46, vcc_lo
	v_and_b32_e32 v47, 7, v47
	v_lshl_add_u32 v46, v46, 23, 0x3b800000
	v_cndmask_b32_e32 v45, v45, v47, vcc_lo
	v_and_b32_e32 v47, 0x80000000, v57
	v_lshlrev_b32_e32 v45, 20, v45
	v_or3_b32 v45, v47, v46, v45
.LBB4_262:                              ;   in Loop: Header=BB4_130 Depth=2
	s_or_b32 exec_lo, exec_lo, s27
	v_add_f32_e32 v45, v44, v45
	v_and_b32_e32 v44, 0x7f800000, v45
	v_cmp_ne_u32_e32 vcc_lo, 0x7f800000, v44
	v_mov_b32_e32 v44, 0x80
	s_and_saveexec_b32 s27, vcc_lo
	s_cbranch_execz .LBB4_270
; %bb.263:                              ;   in Loop: Header=BB4_130 Depth=2
	v_mov_b32_e32 v44, 0
	s_mov_b32 s28, exec_lo
	v_cmpx_ne_u32_e32 0, v45
	s_cbranch_execz .LBB4_269
; %bb.264:                              ;   in Loop: Header=BB4_130 Depth=2
	v_bfe_u32 v44, v45, 23, 8
	v_and_b32_e32 v46, 0x7fffff, v45
	v_sub_nc_u32_e32 v47, 0x78, v44
	v_cmp_gt_u32_e32 vcc_lo, 0x79, v44
	v_or_b32_e32 v56, 0x800000, v46
	v_cndmask_b32_e32 v47, 0, v47, vcc_lo
	v_cmp_eq_u32_e32 vcc_lo, 0, v44
	v_add_nc_u32_e32 v44, 0xffffff89, v44
	v_cndmask_b32_e64 v47, v47, 0x77, vcc_lo
	v_cndmask_b32_e32 v46, v56, v46, vcc_lo
	v_cndmask_b32_e64 v44, v44, 0xffffff8a, vcc_lo
	v_lshl_add_u32 v56, 0x100000, v47, -1
	v_lshrrev_b32_e32 v57, v47, v46
	v_lshlrev_b32_e64 v59, v47, 0x80000
	v_add_nc_u32_e32 v47, v47, v44
	v_and_b32_e32 v46, v56, v46
	v_bfe_u32 v58, v57, 20, 1
	v_cmp_eq_u32_e64 s13, v46, v59
	v_add_nc_u32_e32 v56, -1, v58
	v_cndmask_b32_e64 v46, 0, v56, s13
	v_lshrrev_b32_e32 v56, 23, v57
	s_mov_b32 s13, exec_lo
	v_add_nc_u32_e32 v46, v46, v57
	v_xor_b32_e32 v56, 1, v56
	v_and_b32_e32 v44, 0xfffff, v46
	v_add_nc_u32_e32 v46, v44, v57
                                        ; implicit-def: $vgpr44
	v_cmpx_ne_u32_e64 v47, v56
	s_xor_b32 s13, exec_lo, s13
; %bb.265:                              ;   in Loop: Header=BB4_130 Depth=2
	v_cmp_lt_u32_e32 vcc_lo, 0xffffff, v46
	v_sub_nc_u32_e32 v44, v47, v56
	v_cndmask_b32_e64 v47, 0, 1, vcc_lo
	v_add_co_ci_u32_e64 v44, null, 0, v44, vcc_lo
	v_lshrrev_b32_e32 v46, v47, v46
; %bb.266:                              ;   in Loop: Header=BB4_130 Depth=2
	s_andn2_saveexec_b32 s13, s13
; %bb.267:                              ;   in Loop: Header=BB4_130 Depth=2
	v_bfe_u32 v44, v46, 23, 1
; %bb.268:                              ;   in Loop: Header=BB4_130 Depth=2
	s_or_b32 exec_lo, exec_lo, s13
	v_lshrrev_b32_e32 v46, 20, v46
	v_min_i32_e32 v47, 15, v44
	v_cmp_gt_i32_e32 vcc_lo, 16, v44
	v_and_b32_sdwa v45, v45, v114 dst_sel:DWORD dst_unused:UNUSED_PAD src0_sel:BYTE_3 src1_sel:DWORD
	v_lshlrev_b32_e32 v47, 3, v47
	v_cndmask_b32_e32 v46, 7, v46, vcc_lo
	v_and_b32_e32 v47, 0xf8, v47
	v_and_b32_e32 v56, 7, v46
	v_or_b32_e32 v44, v44, v46
	v_or3_b32 v45, v47, v45, v56
	v_cmp_ne_u32_e32 vcc_lo, 0, v44
	v_cndmask_b32_e32 v44, 0, v45, vcc_lo
.LBB4_269:                              ;   in Loop: Header=BB4_130 Depth=2
	s_or_b32 exec_lo, exec_lo, s28
.LBB4_270:                              ;   in Loop: Header=BB4_130 Depth=2
	s_or_b32 exec_lo, exec_lo, s27
	v_cmp_gt_i16_sdwa s27, v23, v101 src0_sel:BYTE_3 src1_sel:DWORD
	s_mov_b32 s13, 0
	s_and_saveexec_b32 s28, s27
	s_xor_b32 s27, exec_lo, s28
	s_cbranch_execz .LBB4_796
; %bb.271:                              ;   in Loop: Header=BB4_130 Depth=2
	v_cmp_eq_u16_sdwa s29, v23, v114 src0_sel:BYTE_3 src1_sel:DWORD
	s_mov_b32 s13, -1
	s_and_saveexec_b32 s28, s29
; %bb.272:                              ;   in Loop: Header=BB4_130 Depth=2
	s_xor_b32 s13, exec_lo, -1
; %bb.273:                              ;   in Loop: Header=BB4_130 Depth=2
	s_or_b32 exec_lo, exec_lo, s28
	s_and_b32 s13, s13, exec_lo
	s_or_saveexec_b32 s27, s27
	v_mov_b32_e32 v45, 0x7f800001
	s_xor_b32 exec_lo, exec_lo, s27
	s_cbranch_execnz .LBB4_797
.LBB4_274:                              ;   in Loop: Header=BB4_130 Depth=2
	s_or_b32 exec_lo, exec_lo, s27
	s_and_saveexec_b32 s27, s13
	s_cbranch_execz .LBB4_276
.LBB4_275:                              ;   in Loop: Header=BB4_130 Depth=2
	v_bfe_u32 v45, v23, 24, 3
	v_bfe_u32 v56, v23, 27, 4
	v_ffbh_u32_e32 v46, v45
	v_cmp_eq_u32_e32 vcc_lo, 0, v56
	v_min_u32_e32 v46, 32, v46
	v_subrev_nc_u32_e32 v47, 28, v46
	v_sub_nc_u32_e32 v46, 29, v46
	v_lshlrev_b32_sdwa v47, v47, v23 dst_sel:DWORD dst_unused:UNUSED_PAD src0_sel:DWORD src1_sel:BYTE_3
	v_cndmask_b32_e32 v46, v56, v46, vcc_lo
	v_and_b32_e32 v23, 0x80000000, v23
	v_and_b32_e32 v47, 7, v47
	v_lshl_add_u32 v46, v46, 23, 0x3b800000
	v_cndmask_b32_e32 v45, v45, v47, vcc_lo
	v_lshlrev_b32_e32 v45, 20, v45
	v_or3_b32 v45, v23, v46, v45
.LBB4_276:                              ;   in Loop: Header=BB4_130 Depth=2
	s_or_b32 exec_lo, exec_lo, s27
	v_cmp_gt_i16_sdwa s27, v19, v101 src0_sel:BYTE_3 src1_sel:DWORD
	s_mov_b32 s13, 0
	s_and_saveexec_b32 s28, s27
	s_xor_b32 s27, exec_lo, s28
	s_cbranch_execz .LBB4_798
; %bb.277:                              ;   in Loop: Header=BB4_130 Depth=2
	v_cmp_eq_u16_sdwa s29, v19, v114 src0_sel:BYTE_3 src1_sel:DWORD
	s_mov_b32 s13, -1
	s_and_saveexec_b32 s28, s29
; %bb.278:                              ;   in Loop: Header=BB4_130 Depth=2
	s_xor_b32 s13, exec_lo, -1
; %bb.279:                              ;   in Loop: Header=BB4_130 Depth=2
	s_or_b32 exec_lo, exec_lo, s28
	s_and_b32 s13, s13, exec_lo
	s_or_saveexec_b32 s27, s27
	v_mov_b32_e32 v23, 0x7f800001
	s_xor_b32 exec_lo, exec_lo, s27
	s_cbranch_execnz .LBB4_799
.LBB4_280:                              ;   in Loop: Header=BB4_130 Depth=2
	s_or_b32 exec_lo, exec_lo, s27
	s_and_saveexec_b32 s27, s13
	s_cbranch_execz .LBB4_282
.LBB4_281:                              ;   in Loop: Header=BB4_130 Depth=2
	v_bfe_u32 v23, v19, 24, 3
	v_bfe_u32 v56, v19, 27, 4
	v_ffbh_u32_e32 v46, v23
	v_cmp_eq_u32_e32 vcc_lo, 0, v56
	v_min_u32_e32 v46, 32, v46
	v_subrev_nc_u32_e32 v47, 28, v46
	v_sub_nc_u32_e32 v46, 29, v46
	v_lshlrev_b32_sdwa v47, v47, v19 dst_sel:DWORD dst_unused:UNUSED_PAD src0_sel:DWORD src1_sel:BYTE_3
	v_cndmask_b32_e32 v46, v56, v46, vcc_lo
	v_and_b32_e32 v19, 0x80000000, v19
	v_and_b32_e32 v47, 7, v47
	v_lshl_add_u32 v46, v46, 23, 0x3b800000
	v_cndmask_b32_e32 v23, v23, v47, vcc_lo
	v_lshlrev_b32_e32 v23, 20, v23
	v_or3_b32 v23, v19, v46, v23
.LBB4_282:                              ;   in Loop: Header=BB4_130 Depth=2
	s_or_b32 exec_lo, exec_lo, s27
	v_add_f32_e32 v23, v45, v23
	v_and_b32_e32 v19, 0x7f800000, v23
	v_cmp_ne_u32_e32 vcc_lo, 0x7f800000, v19
	v_mov_b32_e32 v19, 0x8000
	s_and_saveexec_b32 s27, vcc_lo
	s_cbranch_execz .LBB4_290
; %bb.283:                              ;   in Loop: Header=BB4_130 Depth=2
	v_mov_b32_e32 v19, 0
	s_mov_b32 s28, exec_lo
	v_cmpx_ne_u32_e32 0, v23
	s_cbranch_execz .LBB4_289
; %bb.284:                              ;   in Loop: Header=BB4_130 Depth=2
	v_bfe_u32 v19, v23, 23, 8
	v_and_b32_e32 v45, 0x7fffff, v23
	v_sub_nc_u32_e32 v46, 0x78, v19
	v_cmp_gt_u32_e32 vcc_lo, 0x79, v19
	v_or_b32_e32 v47, 0x800000, v45
	v_cndmask_b32_e32 v46, 0, v46, vcc_lo
	v_cmp_eq_u32_e32 vcc_lo, 0, v19
	v_add_nc_u32_e32 v19, 0xffffff89, v19
	v_cndmask_b32_e64 v46, v46, 0x77, vcc_lo
	v_cndmask_b32_e32 v45, v47, v45, vcc_lo
	v_cndmask_b32_e64 v19, v19, 0xffffff8a, vcc_lo
	v_lshl_add_u32 v47, 0x100000, v46, -1
	v_lshrrev_b32_e32 v56, v46, v45
	v_lshlrev_b32_e64 v58, v46, 0x80000
	v_add_nc_u32_e32 v46, v46, v19
	v_and_b32_e32 v45, v47, v45
	v_bfe_u32 v57, v56, 20, 1
	v_cmp_eq_u32_e64 s13, v45, v58
	v_add_nc_u32_e32 v47, -1, v57
	v_cndmask_b32_e64 v45, 0, v47, s13
	v_lshrrev_b32_e32 v47, 23, v56
	s_mov_b32 s13, exec_lo
	v_add_nc_u32_e32 v45, v45, v56
	v_xor_b32_e32 v47, 1, v47
	v_and_b32_e32 v19, 0xfffff, v45
	v_add_nc_u32_e32 v45, v19, v56
                                        ; implicit-def: $vgpr19
	v_cmpx_ne_u32_e64 v46, v47
	s_xor_b32 s13, exec_lo, s13
; %bb.285:                              ;   in Loop: Header=BB4_130 Depth=2
	v_cmp_lt_u32_e32 vcc_lo, 0xffffff, v45
	v_sub_nc_u32_e32 v19, v46, v47
	v_cndmask_b32_e64 v46, 0, 1, vcc_lo
	v_add_co_ci_u32_e64 v19, null, 0, v19, vcc_lo
	v_lshrrev_b32_e32 v45, v46, v45
; %bb.286:                              ;   in Loop: Header=BB4_130 Depth=2
	s_andn2_saveexec_b32 s13, s13
; %bb.287:                              ;   in Loop: Header=BB4_130 Depth=2
	v_bfe_u32 v19, v45, 23, 1
; %bb.288:                              ;   in Loop: Header=BB4_130 Depth=2
	s_or_b32 exec_lo, exec_lo, s13
	v_lshrrev_b32_e32 v45, 20, v45
	v_min_i32_e32 v46, 15, v19
	v_cmp_gt_i32_e32 vcc_lo, 16, v19
	v_and_b32_sdwa v23, v23, v114 dst_sel:DWORD dst_unused:UNUSED_PAD src0_sel:BYTE_3 src1_sel:DWORD
	v_lshlrev_b32_e32 v46, 3, v46
	v_cndmask_b32_e32 v45, 7, v45, vcc_lo
	v_and_b32_e32 v46, 0xf8, v46
	v_and_b32_e32 v47, 7, v45
	v_or_b32_e32 v19, v19, v45
	v_or3_b32 v23, v23, v46, v47
	v_cmp_ne_u32_e32 vcc_lo, 0, v19
	v_lshlrev_b32_e32 v23, 8, v23
	v_cndmask_b32_e32 v19, 0, v23, vcc_lo
.LBB4_289:                              ;   in Loop: Header=BB4_130 Depth=2
	s_or_b32 exec_lo, exec_lo, s28
.LBB4_290:                              ;   in Loop: Header=BB4_130 Depth=2
	s_or_b32 exec_lo, exec_lo, s27
	v_cmp_gt_i16_sdwa s27, v24, v101 src0_sel:BYTE_0 src1_sel:DWORD
	s_mov_b32 s13, 0
	s_and_saveexec_b32 s28, s27
	s_xor_b32 s27, exec_lo, s28
	s_cbranch_execz .LBB4_800
; %bb.291:                              ;   in Loop: Header=BB4_130 Depth=2
	v_cmp_eq_u16_sdwa s29, v24, v114 src0_sel:BYTE_0 src1_sel:DWORD
	s_mov_b32 s13, -1
	s_and_saveexec_b32 s28, s29
; %bb.292:                              ;   in Loop: Header=BB4_130 Depth=2
	s_xor_b32 s13, exec_lo, -1
; %bb.293:                              ;   in Loop: Header=BB4_130 Depth=2
	s_or_b32 exec_lo, exec_lo, s28
	s_and_b32 s13, s13, exec_lo
	s_or_saveexec_b32 s27, s27
	v_mov_b32_e32 v23, 0x7f800001
	s_xor_b32 exec_lo, exec_lo, s27
	s_cbranch_execnz .LBB4_801
.LBB4_294:                              ;   in Loop: Header=BB4_130 Depth=2
	s_or_b32 exec_lo, exec_lo, s27
	s_and_saveexec_b32 s27, s13
	s_cbranch_execz .LBB4_296
.LBB4_295:                              ;   in Loop: Header=BB4_130 Depth=2
	v_and_b32_e32 v23, 7, v24
	v_bfe_u32 v47, v24, 3, 4
	v_lshlrev_b32_e32 v56, 24, v24
	v_ffbh_u32_e32 v45, v23
	v_cmp_eq_u32_e32 vcc_lo, 0, v47
	v_min_u32_e32 v45, 32, v45
	v_subrev_nc_u32_e32 v46, 28, v45
	v_sub_nc_u32_e32 v45, 29, v45
	v_lshlrev_b32_e32 v46, v46, v24
	v_cndmask_b32_e32 v45, v47, v45, vcc_lo
	v_and_b32_e32 v46, 7, v46
	v_lshl_add_u32 v45, v45, 23, 0x3b800000
	v_cndmask_b32_e32 v23, v23, v46, vcc_lo
	v_and_b32_e32 v46, 0x80000000, v56
	v_lshlrev_b32_e32 v23, 20, v23
	v_or3_b32 v23, v46, v45, v23
.LBB4_296:                              ;   in Loop: Header=BB4_130 Depth=2
	s_or_b32 exec_lo, exec_lo, s27
	v_cmp_gt_i16_sdwa s27, v20, v101 src0_sel:BYTE_0 src1_sel:DWORD
	s_mov_b32 s13, 0
	s_and_saveexec_b32 s28, s27
	s_xor_b32 s27, exec_lo, s28
	s_cbranch_execz .LBB4_802
; %bb.297:                              ;   in Loop: Header=BB4_130 Depth=2
	v_cmp_eq_u16_sdwa s29, v20, v114 src0_sel:BYTE_0 src1_sel:DWORD
	s_mov_b32 s13, -1
	s_and_saveexec_b32 s28, s29
; %bb.298:                              ;   in Loop: Header=BB4_130 Depth=2
	s_xor_b32 s13, exec_lo, -1
; %bb.299:                              ;   in Loop: Header=BB4_130 Depth=2
	s_or_b32 exec_lo, exec_lo, s28
	s_and_b32 s13, s13, exec_lo
	s_or_saveexec_b32 s27, s27
	v_mov_b32_e32 v45, 0x7f800001
	s_xor_b32 exec_lo, exec_lo, s27
	s_cbranch_execnz .LBB4_803
.LBB4_300:                              ;   in Loop: Header=BB4_130 Depth=2
	s_or_b32 exec_lo, exec_lo, s27
	s_and_saveexec_b32 s27, s13
	s_cbranch_execz .LBB4_302
.LBB4_301:                              ;   in Loop: Header=BB4_130 Depth=2
	v_and_b32_e32 v45, 7, v20
	v_bfe_u32 v56, v20, 3, 4
	v_lshlrev_b32_e32 v57, 24, v20
	v_ffbh_u32_e32 v46, v45
	v_cmp_eq_u32_e32 vcc_lo, 0, v56
	v_min_u32_e32 v46, 32, v46
	v_subrev_nc_u32_e32 v47, 28, v46
	v_sub_nc_u32_e32 v46, 29, v46
	v_lshlrev_b32_e32 v47, v47, v20
	v_cndmask_b32_e32 v46, v56, v46, vcc_lo
	v_and_b32_e32 v47, 7, v47
	v_lshl_add_u32 v46, v46, 23, 0x3b800000
	v_cndmask_b32_e32 v45, v45, v47, vcc_lo
	v_and_b32_e32 v47, 0x80000000, v57
	v_lshlrev_b32_e32 v45, 20, v45
	v_or3_b32 v45, v47, v46, v45
.LBB4_302:                              ;   in Loop: Header=BB4_130 Depth=2
	s_or_b32 exec_lo, exec_lo, s27
	v_add_f32_e32 v45, v23, v45
	v_and_b32_e32 v23, 0x7f800000, v45
	v_cmp_ne_u32_e32 vcc_lo, 0x7f800000, v23
	v_mov_b32_e32 v23, 0x80
	s_and_saveexec_b32 s27, vcc_lo
	s_cbranch_execz .LBB4_310
; %bb.303:                              ;   in Loop: Header=BB4_130 Depth=2
	v_mov_b32_e32 v23, 0
	s_mov_b32 s28, exec_lo
	v_cmpx_ne_u32_e32 0, v45
	s_cbranch_execz .LBB4_309
; %bb.304:                              ;   in Loop: Header=BB4_130 Depth=2
	v_bfe_u32 v23, v45, 23, 8
	v_and_b32_e32 v46, 0x7fffff, v45
	v_sub_nc_u32_e32 v47, 0x78, v23
	v_cmp_gt_u32_e32 vcc_lo, 0x79, v23
	v_or_b32_e32 v56, 0x800000, v46
	v_cndmask_b32_e32 v47, 0, v47, vcc_lo
	v_cmp_eq_u32_e32 vcc_lo, 0, v23
	v_add_nc_u32_e32 v23, 0xffffff89, v23
	v_cndmask_b32_e64 v47, v47, 0x77, vcc_lo
	v_cndmask_b32_e32 v46, v56, v46, vcc_lo
	v_cndmask_b32_e64 v23, v23, 0xffffff8a, vcc_lo
	v_lshl_add_u32 v56, 0x100000, v47, -1
	v_lshrrev_b32_e32 v57, v47, v46
	v_lshlrev_b32_e64 v59, v47, 0x80000
	v_add_nc_u32_e32 v47, v47, v23
	v_and_b32_e32 v46, v56, v46
	v_bfe_u32 v58, v57, 20, 1
	v_cmp_eq_u32_e64 s13, v46, v59
	v_add_nc_u32_e32 v56, -1, v58
	v_cndmask_b32_e64 v46, 0, v56, s13
	v_lshrrev_b32_e32 v56, 23, v57
	s_mov_b32 s13, exec_lo
	v_add_nc_u32_e32 v46, v46, v57
	v_xor_b32_e32 v56, 1, v56
	v_and_b32_e32 v23, 0xfffff, v46
	v_add_nc_u32_e32 v46, v23, v57
                                        ; implicit-def: $vgpr23
	v_cmpx_ne_u32_e64 v47, v56
	s_xor_b32 s13, exec_lo, s13
; %bb.305:                              ;   in Loop: Header=BB4_130 Depth=2
	v_cmp_lt_u32_e32 vcc_lo, 0xffffff, v46
	v_sub_nc_u32_e32 v23, v47, v56
	v_cndmask_b32_e64 v47, 0, 1, vcc_lo
	v_add_co_ci_u32_e64 v23, null, 0, v23, vcc_lo
	v_lshrrev_b32_e32 v46, v47, v46
; %bb.306:                              ;   in Loop: Header=BB4_130 Depth=2
	s_andn2_saveexec_b32 s13, s13
; %bb.307:                              ;   in Loop: Header=BB4_130 Depth=2
	v_bfe_u32 v23, v46, 23, 1
; %bb.308:                              ;   in Loop: Header=BB4_130 Depth=2
	s_or_b32 exec_lo, exec_lo, s13
	v_lshrrev_b32_e32 v46, 20, v46
	v_min_i32_e32 v47, 15, v23
	v_cmp_gt_i32_e32 vcc_lo, 16, v23
	v_and_b32_sdwa v45, v45, v114 dst_sel:DWORD dst_unused:UNUSED_PAD src0_sel:BYTE_3 src1_sel:DWORD
	v_lshlrev_b32_e32 v47, 3, v47
	v_cndmask_b32_e32 v46, 7, v46, vcc_lo
	v_and_b32_e32 v47, 0xf8, v47
	v_and_b32_e32 v56, 7, v46
	v_or_b32_e32 v23, v23, v46
	v_or3_b32 v45, v47, v45, v56
	v_cmp_ne_u32_e32 vcc_lo, 0, v23
	v_cndmask_b32_e32 v23, 0, v45, vcc_lo
.LBB4_309:                              ;   in Loop: Header=BB4_130 Depth=2
	s_or_b32 exec_lo, exec_lo, s28
.LBB4_310:                              ;   in Loop: Header=BB4_130 Depth=2
	s_or_b32 exec_lo, exec_lo, s27
	v_cmp_gt_i16_sdwa s27, v24, v101 src0_sel:BYTE_1 src1_sel:DWORD
	s_mov_b32 s13, 0
	s_and_saveexec_b32 s28, s27
	s_xor_b32 s27, exec_lo, s28
	s_cbranch_execz .LBB4_804
; %bb.311:                              ;   in Loop: Header=BB4_130 Depth=2
	v_cmp_eq_u16_sdwa s29, v24, v114 src0_sel:BYTE_1 src1_sel:DWORD
	s_mov_b32 s13, -1
	s_and_saveexec_b32 s28, s29
; %bb.312:                              ;   in Loop: Header=BB4_130 Depth=2
	s_xor_b32 s13, exec_lo, -1
; %bb.313:                              ;   in Loop: Header=BB4_130 Depth=2
	s_or_b32 exec_lo, exec_lo, s28
	s_and_b32 s13, s13, exec_lo
	s_or_saveexec_b32 s27, s27
	v_mov_b32_e32 v45, 0x7f800001
	s_xor_b32 exec_lo, exec_lo, s27
	s_cbranch_execnz .LBB4_805
.LBB4_314:                              ;   in Loop: Header=BB4_130 Depth=2
	s_or_b32 exec_lo, exec_lo, s27
	s_and_saveexec_b32 s27, s13
	s_cbranch_execz .LBB4_316
.LBB4_315:                              ;   in Loop: Header=BB4_130 Depth=2
	v_and_b32_sdwa v45, v115, v24 dst_sel:DWORD dst_unused:UNUSED_PAD src0_sel:DWORD src1_sel:BYTE_1
	v_and_b32_e32 v46, 7, v45
	v_bfe_u32 v57, v45, 3, 4
	v_ffbh_u32_e32 v47, v46
	v_cmp_eq_u32_e32 vcc_lo, 0, v57
	v_min_u32_e32 v47, 32, v47
	v_subrev_nc_u32_e32 v56, 28, v47
	v_sub_nc_u32_e32 v47, 29, v47
	v_lshlrev_b32_e32 v45, v56, v45
	v_lshlrev_b32_sdwa v56, v116, v24 dst_sel:DWORD dst_unused:UNUSED_PAD src0_sel:DWORD src1_sel:BYTE_1
	v_cndmask_b32_e32 v47, v57, v47, vcc_lo
	v_and_b32_e32 v45, 7, v45
	v_lshl_add_u32 v47, v47, 23, 0x3b800000
	v_cndmask_b32_e32 v45, v46, v45, vcc_lo
	v_and_b32_e32 v46, 0x80000000, v56
	v_lshlrev_b32_e32 v45, 20, v45
	v_or3_b32 v45, v46, v47, v45
.LBB4_316:                              ;   in Loop: Header=BB4_130 Depth=2
	s_or_b32 exec_lo, exec_lo, s27
	v_cmp_gt_i16_sdwa s27, v20, v101 src0_sel:BYTE_1 src1_sel:DWORD
	s_mov_b32 s13, 0
	s_and_saveexec_b32 s28, s27
	s_xor_b32 s27, exec_lo, s28
	s_cbranch_execz .LBB4_806
; %bb.317:                              ;   in Loop: Header=BB4_130 Depth=2
	v_cmp_eq_u16_sdwa s29, v20, v114 src0_sel:BYTE_1 src1_sel:DWORD
	s_mov_b32 s13, -1
	s_and_saveexec_b32 s28, s29
; %bb.318:                              ;   in Loop: Header=BB4_130 Depth=2
	s_xor_b32 s13, exec_lo, -1
; %bb.319:                              ;   in Loop: Header=BB4_130 Depth=2
	s_or_b32 exec_lo, exec_lo, s28
	s_and_b32 s13, s13, exec_lo
	s_or_saveexec_b32 s27, s27
	v_mov_b32_e32 v46, 0x7f800001
	s_xor_b32 exec_lo, exec_lo, s27
	s_cbranch_execnz .LBB4_807
.LBB4_320:                              ;   in Loop: Header=BB4_130 Depth=2
	s_or_b32 exec_lo, exec_lo, s27
	s_and_saveexec_b32 s27, s13
	s_cbranch_execz .LBB4_322
.LBB4_321:                              ;   in Loop: Header=BB4_130 Depth=2
	v_and_b32_sdwa v46, v115, v20 dst_sel:DWORD dst_unused:UNUSED_PAD src0_sel:DWORD src1_sel:BYTE_1
	v_and_b32_e32 v47, 7, v46
	v_bfe_u32 v58, v46, 3, 4
	v_ffbh_u32_e32 v56, v47
	v_cmp_eq_u32_e32 vcc_lo, 0, v58
	v_min_u32_e32 v56, 32, v56
	v_subrev_nc_u32_e32 v57, 28, v56
	v_sub_nc_u32_e32 v56, 29, v56
	v_lshlrev_b32_e32 v46, v57, v46
	v_lshlrev_b32_sdwa v57, v116, v20 dst_sel:DWORD dst_unused:UNUSED_PAD src0_sel:DWORD src1_sel:BYTE_1
	v_cndmask_b32_e32 v56, v58, v56, vcc_lo
	v_and_b32_e32 v46, 7, v46
	v_lshl_add_u32 v56, v56, 23, 0x3b800000
	v_cndmask_b32_e32 v46, v47, v46, vcc_lo
	v_and_b32_e32 v47, 0x80000000, v57
	v_lshlrev_b32_e32 v46, 20, v46
	v_or3_b32 v46, v47, v56, v46
.LBB4_322:                              ;   in Loop: Header=BB4_130 Depth=2
	s_or_b32 exec_lo, exec_lo, s27
	v_add_f32_e32 v46, v45, v46
	v_and_b32_e32 v45, 0x7f800000, v46
	v_cmp_ne_u32_e32 vcc_lo, 0x7f800000, v45
	v_mov_b32_e32 v45, 0x8000
	s_and_saveexec_b32 s27, vcc_lo
	s_cbranch_execz .LBB4_330
; %bb.323:                              ;   in Loop: Header=BB4_130 Depth=2
	v_mov_b32_e32 v45, 0
	s_mov_b32 s28, exec_lo
	v_cmpx_ne_u32_e32 0, v46
	s_cbranch_execz .LBB4_329
; %bb.324:                              ;   in Loop: Header=BB4_130 Depth=2
	v_bfe_u32 v45, v46, 23, 8
	v_and_b32_e32 v47, 0x7fffff, v46
	v_sub_nc_u32_e32 v56, 0x78, v45
	v_cmp_gt_u32_e32 vcc_lo, 0x79, v45
	v_or_b32_e32 v57, 0x800000, v47
	v_cndmask_b32_e32 v56, 0, v56, vcc_lo
	v_cmp_eq_u32_e32 vcc_lo, 0, v45
	v_add_nc_u32_e32 v45, 0xffffff89, v45
	v_cndmask_b32_e64 v56, v56, 0x77, vcc_lo
	v_cndmask_b32_e32 v47, v57, v47, vcc_lo
	v_cndmask_b32_e64 v45, v45, 0xffffff8a, vcc_lo
	v_lshl_add_u32 v57, 0x100000, v56, -1
	v_lshrrev_b32_e32 v58, v56, v47
	v_lshlrev_b32_e64 v60, v56, 0x80000
	v_add_nc_u32_e32 v56, v56, v45
	v_and_b32_e32 v47, v57, v47
	v_bfe_u32 v59, v58, 20, 1
	v_cmp_eq_u32_e64 s13, v47, v60
	v_add_nc_u32_e32 v57, -1, v59
	v_cndmask_b32_e64 v47, 0, v57, s13
	v_lshrrev_b32_e32 v57, 23, v58
	s_mov_b32 s13, exec_lo
	v_add_nc_u32_e32 v47, v47, v58
	v_xor_b32_e32 v57, 1, v57
	v_and_b32_e32 v45, 0xfffff, v47
	v_add_nc_u32_e32 v47, v45, v58
                                        ; implicit-def: $vgpr45
	v_cmpx_ne_u32_e64 v56, v57
	s_xor_b32 s13, exec_lo, s13
; %bb.325:                              ;   in Loop: Header=BB4_130 Depth=2
	v_cmp_lt_u32_e32 vcc_lo, 0xffffff, v47
	v_sub_nc_u32_e32 v45, v56, v57
	v_cndmask_b32_e64 v56, 0, 1, vcc_lo
	v_add_co_ci_u32_e64 v45, null, 0, v45, vcc_lo
	v_lshrrev_b32_e32 v47, v56, v47
; %bb.326:                              ;   in Loop: Header=BB4_130 Depth=2
	s_andn2_saveexec_b32 s13, s13
; %bb.327:                              ;   in Loop: Header=BB4_130 Depth=2
	v_bfe_u32 v45, v47, 23, 1
; %bb.328:                              ;   in Loop: Header=BB4_130 Depth=2
	s_or_b32 exec_lo, exec_lo, s13
	v_lshrrev_b32_e32 v47, 20, v47
	v_min_i32_e32 v56, 15, v45
	v_cmp_gt_i32_e32 vcc_lo, 16, v45
	v_and_b32_sdwa v46, v46, v114 dst_sel:DWORD dst_unused:UNUSED_PAD src0_sel:BYTE_3 src1_sel:DWORD
	v_lshlrev_b32_e32 v56, 3, v56
	v_cndmask_b32_e32 v47, 7, v47, vcc_lo
	v_and_b32_e32 v56, 0xf8, v56
	v_and_b32_e32 v57, 7, v47
	v_or_b32_e32 v45, v45, v47
	v_or3_b32 v46, v46, v56, v57
	v_cmp_ne_u32_e32 vcc_lo, 0, v45
	v_lshlrev_b32_e32 v46, 8, v46
	v_cndmask_b32_e32 v45, 0, v46, vcc_lo
.LBB4_329:                              ;   in Loop: Header=BB4_130 Depth=2
	s_or_b32 exec_lo, exec_lo, s28
.LBB4_330:                              ;   in Loop: Header=BB4_130 Depth=2
	s_or_b32 exec_lo, exec_lo, s27
	v_and_b32_sdwa v47, v24, v117 dst_sel:DWORD dst_unused:UNUSED_PAD src0_sel:WORD_1 src1_sel:DWORD
	s_mov_b32 s13, 0
	s_mov_b32 s27, exec_lo
	v_cmpx_lt_i16_e32 0x7f, v47
	s_xor_b32 s27, exec_lo, s27
	s_cbranch_execz .LBB4_808
; %bb.331:                              ;   in Loop: Header=BB4_130 Depth=2
	s_mov_b32 s13, -1
	s_mov_b32 s28, exec_lo
	v_cmpx_eq_u16_e32 0x80, v47
; %bb.332:                              ;   in Loop: Header=BB4_130 Depth=2
	s_xor_b32 s13, exec_lo, -1
; %bb.333:                              ;   in Loop: Header=BB4_130 Depth=2
	s_or_b32 exec_lo, exec_lo, s28
	s_and_b32 s13, s13, exec_lo
                                        ; implicit-def: $vgpr47
	s_or_saveexec_b32 s27, s27
	v_mov_b32_e32 v46, 0x7f800001
	s_xor_b32 exec_lo, exec_lo, s27
	s_cbranch_execnz .LBB4_809
.LBB4_334:                              ;   in Loop: Header=BB4_130 Depth=2
	s_or_b32 exec_lo, exec_lo, s27
	s_and_saveexec_b32 s27, s13
	s_cbranch_execz .LBB4_336
.LBB4_335:                              ;   in Loop: Header=BB4_130 Depth=2
	v_bfe_u32 v46, v24, 16, 3
	v_bfe_u32 v57, v24, 19, 4
	v_lshlrev_b32_e32 v58, 8, v24
	v_ffbh_u32_e32 v47, v46
	v_cmp_eq_u32_e32 vcc_lo, 0, v57
	v_min_u32_e32 v47, 32, v47
	v_subrev_nc_u32_e32 v56, 28, v47
	v_sub_nc_u32_e32 v47, 29, v47
	v_lshlrev_b32_sdwa v56, v56, v24 dst_sel:DWORD dst_unused:UNUSED_PAD src0_sel:DWORD src1_sel:WORD_1
	v_cndmask_b32_e32 v47, v57, v47, vcc_lo
	v_and_b32_e32 v56, 7, v56
	v_lshl_add_u32 v47, v47, 23, 0x3b800000
	v_cndmask_b32_e32 v46, v46, v56, vcc_lo
	v_and_b32_e32 v56, 0x80000000, v58
	v_lshlrev_b32_e32 v46, 20, v46
	v_or3_b32 v46, v56, v47, v46
.LBB4_336:                              ;   in Loop: Header=BB4_130 Depth=2
	s_or_b32 exec_lo, exec_lo, s27
	v_and_b32_sdwa v56, v20, v117 dst_sel:DWORD dst_unused:UNUSED_PAD src0_sel:WORD_1 src1_sel:DWORD
	s_mov_b32 s13, 0
	s_mov_b32 s27, exec_lo
	v_cmpx_lt_i16_e32 0x7f, v56
	s_xor_b32 s27, exec_lo, s27
	s_cbranch_execz .LBB4_810
; %bb.337:                              ;   in Loop: Header=BB4_130 Depth=2
	s_mov_b32 s13, -1
	s_mov_b32 s28, exec_lo
	v_cmpx_eq_u16_e32 0x80, v56
; %bb.338:                              ;   in Loop: Header=BB4_130 Depth=2
	s_xor_b32 s13, exec_lo, -1
; %bb.339:                              ;   in Loop: Header=BB4_130 Depth=2
	s_or_b32 exec_lo, exec_lo, s28
	s_and_b32 s13, s13, exec_lo
                                        ; implicit-def: $vgpr56
	s_or_saveexec_b32 s27, s27
	v_mov_b32_e32 v47, 0x7f800001
	s_xor_b32 exec_lo, exec_lo, s27
	s_cbranch_execnz .LBB4_811
.LBB4_340:                              ;   in Loop: Header=BB4_130 Depth=2
	s_or_b32 exec_lo, exec_lo, s27
	s_and_saveexec_b32 s27, s13
	s_cbranch_execz .LBB4_342
.LBB4_341:                              ;   in Loop: Header=BB4_130 Depth=2
	v_bfe_u32 v47, v20, 16, 3
	v_bfe_u32 v58, v20, 19, 4
	v_lshlrev_b32_e32 v59, 8, v20
	v_ffbh_u32_e32 v56, v47
	v_cmp_eq_u32_e32 vcc_lo, 0, v58
	v_min_u32_e32 v56, 32, v56
	v_subrev_nc_u32_e32 v57, 28, v56
	v_sub_nc_u32_e32 v56, 29, v56
	v_lshlrev_b32_sdwa v57, v57, v20 dst_sel:DWORD dst_unused:UNUSED_PAD src0_sel:DWORD src1_sel:WORD_1
	v_cndmask_b32_e32 v56, v58, v56, vcc_lo
	v_and_b32_e32 v57, 7, v57
	v_lshl_add_u32 v56, v56, 23, 0x3b800000
	v_cndmask_b32_e32 v47, v47, v57, vcc_lo
	v_and_b32_e32 v57, 0x80000000, v59
	v_lshlrev_b32_e32 v47, 20, v47
	v_or3_b32 v47, v57, v56, v47
.LBB4_342:                              ;   in Loop: Header=BB4_130 Depth=2
	s_or_b32 exec_lo, exec_lo, s27
	v_add_f32_e32 v47, v46, v47
	v_and_b32_e32 v46, 0x7f800000, v47
	v_cmp_ne_u32_e32 vcc_lo, 0x7f800000, v46
	v_mov_b32_e32 v46, 0x80
	s_and_saveexec_b32 s27, vcc_lo
	s_cbranch_execz .LBB4_350
; %bb.343:                              ;   in Loop: Header=BB4_130 Depth=2
	v_mov_b32_e32 v46, 0
	s_mov_b32 s28, exec_lo
	v_cmpx_ne_u32_e32 0, v47
	s_cbranch_execz .LBB4_349
; %bb.344:                              ;   in Loop: Header=BB4_130 Depth=2
	v_bfe_u32 v46, v47, 23, 8
	v_and_b32_e32 v56, 0x7fffff, v47
	v_sub_nc_u32_e32 v57, 0x78, v46
	v_cmp_gt_u32_e32 vcc_lo, 0x79, v46
	v_or_b32_e32 v58, 0x800000, v56
	v_cndmask_b32_e32 v57, 0, v57, vcc_lo
	v_cmp_eq_u32_e32 vcc_lo, 0, v46
	v_add_nc_u32_e32 v46, 0xffffff89, v46
	v_cndmask_b32_e64 v57, v57, 0x77, vcc_lo
	v_cndmask_b32_e32 v56, v58, v56, vcc_lo
	v_cndmask_b32_e64 v46, v46, 0xffffff8a, vcc_lo
	v_lshl_add_u32 v58, 0x100000, v57, -1
	v_lshrrev_b32_e32 v59, v57, v56
	v_lshlrev_b32_e64 v61, v57, 0x80000
	v_add_nc_u32_e32 v57, v57, v46
	v_and_b32_e32 v56, v58, v56
	v_bfe_u32 v60, v59, 20, 1
	v_cmp_eq_u32_e64 s13, v56, v61
	v_add_nc_u32_e32 v58, -1, v60
	v_cndmask_b32_e64 v56, 0, v58, s13
	v_lshrrev_b32_e32 v58, 23, v59
	s_mov_b32 s13, exec_lo
	v_add_nc_u32_e32 v56, v56, v59
	v_xor_b32_e32 v58, 1, v58
	v_and_b32_e32 v46, 0xfffff, v56
	v_add_nc_u32_e32 v56, v46, v59
                                        ; implicit-def: $vgpr46
	v_cmpx_ne_u32_e64 v57, v58
	s_xor_b32 s13, exec_lo, s13
; %bb.345:                              ;   in Loop: Header=BB4_130 Depth=2
	v_cmp_lt_u32_e32 vcc_lo, 0xffffff, v56
	v_sub_nc_u32_e32 v46, v57, v58
	v_cndmask_b32_e64 v57, 0, 1, vcc_lo
	v_add_co_ci_u32_e64 v46, null, 0, v46, vcc_lo
	v_lshrrev_b32_e32 v56, v57, v56
; %bb.346:                              ;   in Loop: Header=BB4_130 Depth=2
	s_andn2_saveexec_b32 s13, s13
; %bb.347:                              ;   in Loop: Header=BB4_130 Depth=2
	v_bfe_u32 v46, v56, 23, 1
; %bb.348:                              ;   in Loop: Header=BB4_130 Depth=2
	s_or_b32 exec_lo, exec_lo, s13
	v_lshrrev_b32_e32 v56, 20, v56
	v_min_i32_e32 v57, 15, v46
	v_cmp_gt_i32_e32 vcc_lo, 16, v46
	v_and_b32_sdwa v47, v47, v114 dst_sel:DWORD dst_unused:UNUSED_PAD src0_sel:BYTE_3 src1_sel:DWORD
	v_lshlrev_b32_e32 v57, 3, v57
	v_cndmask_b32_e32 v56, 7, v56, vcc_lo
	v_and_b32_e32 v57, 0xf8, v57
	v_and_b32_e32 v58, 7, v56
	v_or_b32_e32 v46, v46, v56
	v_or3_b32 v47, v57, v47, v58
	v_cmp_ne_u32_e32 vcc_lo, 0, v46
	v_cndmask_b32_e32 v46, 0, v47, vcc_lo
.LBB4_349:                              ;   in Loop: Header=BB4_130 Depth=2
	s_or_b32 exec_lo, exec_lo, s28
.LBB4_350:                              ;   in Loop: Header=BB4_130 Depth=2
	s_or_b32 exec_lo, exec_lo, s27
	v_cmp_gt_i16_sdwa s27, v24, v101 src0_sel:BYTE_3 src1_sel:DWORD
	s_mov_b32 s13, 0
	s_and_saveexec_b32 s28, s27
	s_xor_b32 s27, exec_lo, s28
	s_cbranch_execz .LBB4_812
; %bb.351:                              ;   in Loop: Header=BB4_130 Depth=2
	v_cmp_eq_u16_sdwa s29, v24, v114 src0_sel:BYTE_3 src1_sel:DWORD
	s_mov_b32 s13, -1
	s_and_saveexec_b32 s28, s29
; %bb.352:                              ;   in Loop: Header=BB4_130 Depth=2
	s_xor_b32 s13, exec_lo, -1
; %bb.353:                              ;   in Loop: Header=BB4_130 Depth=2
	s_or_b32 exec_lo, exec_lo, s28
	s_and_b32 s13, s13, exec_lo
	s_or_saveexec_b32 s27, s27
	v_mov_b32_e32 v47, 0x7f800001
	s_xor_b32 exec_lo, exec_lo, s27
	s_cbranch_execnz .LBB4_813
.LBB4_354:                              ;   in Loop: Header=BB4_130 Depth=2
	s_or_b32 exec_lo, exec_lo, s27
	s_and_saveexec_b32 s27, s13
	s_cbranch_execz .LBB4_356
.LBB4_355:                              ;   in Loop: Header=BB4_130 Depth=2
	v_bfe_u32 v47, v24, 24, 3
	v_bfe_u32 v58, v24, 27, 4
	v_ffbh_u32_e32 v56, v47
	v_cmp_eq_u32_e32 vcc_lo, 0, v58
	v_min_u32_e32 v56, 32, v56
	v_subrev_nc_u32_e32 v57, 28, v56
	v_sub_nc_u32_e32 v56, 29, v56
	v_lshlrev_b32_sdwa v57, v57, v24 dst_sel:DWORD dst_unused:UNUSED_PAD src0_sel:DWORD src1_sel:BYTE_3
	v_cndmask_b32_e32 v56, v58, v56, vcc_lo
	v_and_b32_e32 v24, 0x80000000, v24
	v_and_b32_e32 v57, 7, v57
	v_lshl_add_u32 v56, v56, 23, 0x3b800000
	v_cndmask_b32_e32 v47, v47, v57, vcc_lo
	v_lshlrev_b32_e32 v47, 20, v47
	v_or3_b32 v47, v24, v56, v47
.LBB4_356:                              ;   in Loop: Header=BB4_130 Depth=2
	s_or_b32 exec_lo, exec_lo, s27
	v_cmp_gt_i16_sdwa s27, v20, v101 src0_sel:BYTE_3 src1_sel:DWORD
	s_mov_b32 s13, 0
	s_and_saveexec_b32 s28, s27
	s_xor_b32 s27, exec_lo, s28
	s_cbranch_execz .LBB4_814
; %bb.357:                              ;   in Loop: Header=BB4_130 Depth=2
	v_cmp_eq_u16_sdwa s29, v20, v114 src0_sel:BYTE_3 src1_sel:DWORD
	s_mov_b32 s13, -1
	s_and_saveexec_b32 s28, s29
; %bb.358:                              ;   in Loop: Header=BB4_130 Depth=2
	s_xor_b32 s13, exec_lo, -1
; %bb.359:                              ;   in Loop: Header=BB4_130 Depth=2
	s_or_b32 exec_lo, exec_lo, s28
	s_and_b32 s13, s13, exec_lo
	s_or_saveexec_b32 s27, s27
	v_mov_b32_e32 v24, 0x7f800001
	s_xor_b32 exec_lo, exec_lo, s27
	s_cbranch_execnz .LBB4_815
.LBB4_360:                              ;   in Loop: Header=BB4_130 Depth=2
	s_or_b32 exec_lo, exec_lo, s27
	s_and_saveexec_b32 s27, s13
	s_cbranch_execz .LBB4_362
.LBB4_361:                              ;   in Loop: Header=BB4_130 Depth=2
	v_bfe_u32 v24, v20, 24, 3
	v_bfe_u32 v58, v20, 27, 4
	v_ffbh_u32_e32 v56, v24
	v_cmp_eq_u32_e32 vcc_lo, 0, v58
	v_min_u32_e32 v56, 32, v56
	v_subrev_nc_u32_e32 v57, 28, v56
	v_sub_nc_u32_e32 v56, 29, v56
	v_lshlrev_b32_sdwa v57, v57, v20 dst_sel:DWORD dst_unused:UNUSED_PAD src0_sel:DWORD src1_sel:BYTE_3
	v_cndmask_b32_e32 v56, v58, v56, vcc_lo
	v_and_b32_e32 v20, 0x80000000, v20
	v_and_b32_e32 v57, 7, v57
	v_lshl_add_u32 v56, v56, 23, 0x3b800000
	v_cndmask_b32_e32 v24, v24, v57, vcc_lo
	v_lshlrev_b32_e32 v24, 20, v24
	v_or3_b32 v24, v20, v56, v24
.LBB4_362:                              ;   in Loop: Header=BB4_130 Depth=2
	s_or_b32 exec_lo, exec_lo, s27
	v_add_f32_e32 v24, v47, v24
	v_and_b32_e32 v20, 0x7f800000, v24
	v_cmp_ne_u32_e32 vcc_lo, 0x7f800000, v20
	v_mov_b32_e32 v20, 0x8000
	s_and_saveexec_b32 s27, vcc_lo
	s_cbranch_execz .LBB4_370
; %bb.363:                              ;   in Loop: Header=BB4_130 Depth=2
	v_mov_b32_e32 v20, 0
	s_mov_b32 s28, exec_lo
	v_cmpx_ne_u32_e32 0, v24
	s_cbranch_execz .LBB4_369
; %bb.364:                              ;   in Loop: Header=BB4_130 Depth=2
	v_bfe_u32 v20, v24, 23, 8
	v_and_b32_e32 v47, 0x7fffff, v24
	v_sub_nc_u32_e32 v56, 0x78, v20
	v_cmp_gt_u32_e32 vcc_lo, 0x79, v20
	v_or_b32_e32 v57, 0x800000, v47
	v_cndmask_b32_e32 v56, 0, v56, vcc_lo
	v_cmp_eq_u32_e32 vcc_lo, 0, v20
	v_add_nc_u32_e32 v20, 0xffffff89, v20
	v_cndmask_b32_e64 v56, v56, 0x77, vcc_lo
	v_cndmask_b32_e32 v47, v57, v47, vcc_lo
	v_cndmask_b32_e64 v20, v20, 0xffffff8a, vcc_lo
	v_lshl_add_u32 v57, 0x100000, v56, -1
	v_lshrrev_b32_e32 v58, v56, v47
	v_lshlrev_b32_e64 v60, v56, 0x80000
	v_add_nc_u32_e32 v56, v56, v20
	v_and_b32_e32 v47, v57, v47
	v_bfe_u32 v59, v58, 20, 1
	v_cmp_eq_u32_e64 s13, v47, v60
	v_add_nc_u32_e32 v57, -1, v59
	v_cndmask_b32_e64 v47, 0, v57, s13
	v_lshrrev_b32_e32 v57, 23, v58
	s_mov_b32 s13, exec_lo
	v_add_nc_u32_e32 v47, v47, v58
	v_xor_b32_e32 v57, 1, v57
	v_and_b32_e32 v20, 0xfffff, v47
	v_add_nc_u32_e32 v47, v20, v58
                                        ; implicit-def: $vgpr20
	v_cmpx_ne_u32_e64 v56, v57
	s_xor_b32 s13, exec_lo, s13
; %bb.365:                              ;   in Loop: Header=BB4_130 Depth=2
	v_cmp_lt_u32_e32 vcc_lo, 0xffffff, v47
	v_sub_nc_u32_e32 v20, v56, v57
	v_cndmask_b32_e64 v56, 0, 1, vcc_lo
	v_add_co_ci_u32_e64 v20, null, 0, v20, vcc_lo
	v_lshrrev_b32_e32 v47, v56, v47
; %bb.366:                              ;   in Loop: Header=BB4_130 Depth=2
	s_andn2_saveexec_b32 s13, s13
; %bb.367:                              ;   in Loop: Header=BB4_130 Depth=2
	v_bfe_u32 v20, v47, 23, 1
; %bb.368:                              ;   in Loop: Header=BB4_130 Depth=2
	s_or_b32 exec_lo, exec_lo, s13
	v_lshrrev_b32_e32 v47, 20, v47
	v_min_i32_e32 v56, 15, v20
	v_cmp_gt_i32_e32 vcc_lo, 16, v20
	v_and_b32_sdwa v24, v24, v114 dst_sel:DWORD dst_unused:UNUSED_PAD src0_sel:BYTE_3 src1_sel:DWORD
	v_lshlrev_b32_e32 v56, 3, v56
	v_cndmask_b32_e32 v47, 7, v47, vcc_lo
	v_and_b32_e32 v56, 0xf8, v56
	v_and_b32_e32 v57, 7, v47
	v_or_b32_e32 v20, v20, v47
	v_or3_b32 v24, v24, v56, v57
	v_cmp_ne_u32_e32 vcc_lo, 0, v20
	v_lshlrev_b32_e32 v24, 8, v24
	v_cndmask_b32_e32 v20, 0, v24, vcc_lo
.LBB4_369:                              ;   in Loop: Header=BB4_130 Depth=2
	s_or_b32 exec_lo, exec_lo, s28
.LBB4_370:                              ;   in Loop: Header=BB4_130 Depth=2
	s_or_b32 exec_lo, exec_lo, s27
	v_cmp_gt_i16_sdwa s27, v25, v101 src0_sel:BYTE_0 src1_sel:DWORD
	s_mov_b32 s13, 0
	s_and_saveexec_b32 s28, s27
	s_xor_b32 s27, exec_lo, s28
	s_cbranch_execz .LBB4_816
; %bb.371:                              ;   in Loop: Header=BB4_130 Depth=2
	v_cmp_eq_u16_sdwa s29, v25, v114 src0_sel:BYTE_0 src1_sel:DWORD
	s_mov_b32 s13, -1
	s_and_saveexec_b32 s28, s29
; %bb.372:                              ;   in Loop: Header=BB4_130 Depth=2
	s_xor_b32 s13, exec_lo, -1
; %bb.373:                              ;   in Loop: Header=BB4_130 Depth=2
	s_or_b32 exec_lo, exec_lo, s28
	s_and_b32 s13, s13, exec_lo
	s_or_saveexec_b32 s27, s27
	v_mov_b32_e32 v24, 0x7f800001
	s_xor_b32 exec_lo, exec_lo, s27
	s_cbranch_execnz .LBB4_817
.LBB4_374:                              ;   in Loop: Header=BB4_130 Depth=2
	s_or_b32 exec_lo, exec_lo, s27
	s_and_saveexec_b32 s27, s13
	s_cbranch_execz .LBB4_376
.LBB4_375:                              ;   in Loop: Header=BB4_130 Depth=2
	v_and_b32_e32 v24, 7, v25
	v_bfe_u32 v57, v25, 3, 4
	v_lshlrev_b32_e32 v58, 24, v25
	v_ffbh_u32_e32 v47, v24
	v_cmp_eq_u32_e32 vcc_lo, 0, v57
	v_min_u32_e32 v47, 32, v47
	v_subrev_nc_u32_e32 v56, 28, v47
	v_sub_nc_u32_e32 v47, 29, v47
	v_lshlrev_b32_e32 v56, v56, v25
	v_cndmask_b32_e32 v47, v57, v47, vcc_lo
	v_and_b32_e32 v56, 7, v56
	v_lshl_add_u32 v47, v47, 23, 0x3b800000
	v_cndmask_b32_e32 v24, v24, v56, vcc_lo
	v_and_b32_e32 v56, 0x80000000, v58
	v_lshlrev_b32_e32 v24, 20, v24
	v_or3_b32 v24, v56, v47, v24
.LBB4_376:                              ;   in Loop: Header=BB4_130 Depth=2
	s_or_b32 exec_lo, exec_lo, s27
	v_cmp_gt_i16_sdwa s27, v21, v101 src0_sel:BYTE_0 src1_sel:DWORD
	s_mov_b32 s13, 0
	s_and_saveexec_b32 s28, s27
	s_xor_b32 s27, exec_lo, s28
	s_cbranch_execz .LBB4_818
; %bb.377:                              ;   in Loop: Header=BB4_130 Depth=2
	v_cmp_eq_u16_sdwa s29, v21, v114 src0_sel:BYTE_0 src1_sel:DWORD
	s_mov_b32 s13, -1
	s_and_saveexec_b32 s28, s29
; %bb.378:                              ;   in Loop: Header=BB4_130 Depth=2
	s_xor_b32 s13, exec_lo, -1
; %bb.379:                              ;   in Loop: Header=BB4_130 Depth=2
	s_or_b32 exec_lo, exec_lo, s28
	s_and_b32 s13, s13, exec_lo
	s_or_saveexec_b32 s27, s27
	v_mov_b32_e32 v47, 0x7f800001
	s_xor_b32 exec_lo, exec_lo, s27
	s_cbranch_execnz .LBB4_819
.LBB4_380:                              ;   in Loop: Header=BB4_130 Depth=2
	s_or_b32 exec_lo, exec_lo, s27
	s_and_saveexec_b32 s27, s13
	s_cbranch_execz .LBB4_382
.LBB4_381:                              ;   in Loop: Header=BB4_130 Depth=2
	v_and_b32_e32 v47, 7, v21
	v_bfe_u32 v58, v21, 3, 4
	v_lshlrev_b32_e32 v59, 24, v21
	v_ffbh_u32_e32 v56, v47
	v_cmp_eq_u32_e32 vcc_lo, 0, v58
	v_min_u32_e32 v56, 32, v56
	v_subrev_nc_u32_e32 v57, 28, v56
	v_sub_nc_u32_e32 v56, 29, v56
	v_lshlrev_b32_e32 v57, v57, v21
	v_cndmask_b32_e32 v56, v58, v56, vcc_lo
	v_and_b32_e32 v57, 7, v57
	v_lshl_add_u32 v56, v56, 23, 0x3b800000
	v_cndmask_b32_e32 v47, v47, v57, vcc_lo
	v_and_b32_e32 v57, 0x80000000, v59
	v_lshlrev_b32_e32 v47, 20, v47
	v_or3_b32 v47, v57, v56, v47
.LBB4_382:                              ;   in Loop: Header=BB4_130 Depth=2
	s_or_b32 exec_lo, exec_lo, s27
	v_add_f32_e32 v47, v24, v47
	v_and_b32_e32 v24, 0x7f800000, v47
	v_cmp_ne_u32_e32 vcc_lo, 0x7f800000, v24
	v_mov_b32_e32 v24, 0x80
	s_and_saveexec_b32 s27, vcc_lo
	s_cbranch_execz .LBB4_390
; %bb.383:                              ;   in Loop: Header=BB4_130 Depth=2
	v_mov_b32_e32 v24, 0
	s_mov_b32 s28, exec_lo
	v_cmpx_ne_u32_e32 0, v47
	s_cbranch_execz .LBB4_389
; %bb.384:                              ;   in Loop: Header=BB4_130 Depth=2
	v_bfe_u32 v24, v47, 23, 8
	v_and_b32_e32 v56, 0x7fffff, v47
	v_sub_nc_u32_e32 v57, 0x78, v24
	v_cmp_gt_u32_e32 vcc_lo, 0x79, v24
	v_or_b32_e32 v58, 0x800000, v56
	v_cndmask_b32_e32 v57, 0, v57, vcc_lo
	v_cmp_eq_u32_e32 vcc_lo, 0, v24
	v_add_nc_u32_e32 v24, 0xffffff89, v24
	v_cndmask_b32_e64 v57, v57, 0x77, vcc_lo
	v_cndmask_b32_e32 v56, v58, v56, vcc_lo
	v_cndmask_b32_e64 v24, v24, 0xffffff8a, vcc_lo
	v_lshl_add_u32 v58, 0x100000, v57, -1
	v_lshrrev_b32_e32 v59, v57, v56
	v_lshlrev_b32_e64 v61, v57, 0x80000
	v_add_nc_u32_e32 v57, v57, v24
	v_and_b32_e32 v56, v58, v56
	v_bfe_u32 v60, v59, 20, 1
	v_cmp_eq_u32_e64 s13, v56, v61
	v_add_nc_u32_e32 v58, -1, v60
	v_cndmask_b32_e64 v56, 0, v58, s13
	v_lshrrev_b32_e32 v58, 23, v59
	s_mov_b32 s13, exec_lo
	v_add_nc_u32_e32 v56, v56, v59
	v_xor_b32_e32 v58, 1, v58
	v_and_b32_e32 v24, 0xfffff, v56
	v_add_nc_u32_e32 v56, v24, v59
                                        ; implicit-def: $vgpr24
	v_cmpx_ne_u32_e64 v57, v58
	s_xor_b32 s13, exec_lo, s13
; %bb.385:                              ;   in Loop: Header=BB4_130 Depth=2
	v_cmp_lt_u32_e32 vcc_lo, 0xffffff, v56
	v_sub_nc_u32_e32 v24, v57, v58
	v_cndmask_b32_e64 v57, 0, 1, vcc_lo
	v_add_co_ci_u32_e64 v24, null, 0, v24, vcc_lo
	v_lshrrev_b32_e32 v56, v57, v56
; %bb.386:                              ;   in Loop: Header=BB4_130 Depth=2
	s_andn2_saveexec_b32 s13, s13
; %bb.387:                              ;   in Loop: Header=BB4_130 Depth=2
	v_bfe_u32 v24, v56, 23, 1
; %bb.388:                              ;   in Loop: Header=BB4_130 Depth=2
	s_or_b32 exec_lo, exec_lo, s13
	v_lshrrev_b32_e32 v56, 20, v56
	v_min_i32_e32 v57, 15, v24
	v_cmp_gt_i32_e32 vcc_lo, 16, v24
	v_and_b32_sdwa v47, v47, v114 dst_sel:DWORD dst_unused:UNUSED_PAD src0_sel:BYTE_3 src1_sel:DWORD
	v_lshlrev_b32_e32 v57, 3, v57
	v_cndmask_b32_e32 v56, 7, v56, vcc_lo
	v_and_b32_e32 v57, 0xf8, v57
	v_and_b32_e32 v58, 7, v56
	v_or_b32_e32 v24, v24, v56
	v_or3_b32 v47, v57, v47, v58
	v_cmp_ne_u32_e32 vcc_lo, 0, v24
	v_cndmask_b32_e32 v24, 0, v47, vcc_lo
.LBB4_389:                              ;   in Loop: Header=BB4_130 Depth=2
	s_or_b32 exec_lo, exec_lo, s28
.LBB4_390:                              ;   in Loop: Header=BB4_130 Depth=2
	s_or_b32 exec_lo, exec_lo, s27
	v_cmp_gt_i16_sdwa s27, v25, v101 src0_sel:BYTE_1 src1_sel:DWORD
	s_mov_b32 s13, 0
	s_and_saveexec_b32 s28, s27
	s_xor_b32 s27, exec_lo, s28
	s_cbranch_execz .LBB4_820
; %bb.391:                              ;   in Loop: Header=BB4_130 Depth=2
	v_cmp_eq_u16_sdwa s29, v25, v114 src0_sel:BYTE_1 src1_sel:DWORD
	s_mov_b32 s13, -1
	s_and_saveexec_b32 s28, s29
; %bb.392:                              ;   in Loop: Header=BB4_130 Depth=2
	s_xor_b32 s13, exec_lo, -1
; %bb.393:                              ;   in Loop: Header=BB4_130 Depth=2
	s_or_b32 exec_lo, exec_lo, s28
	s_and_b32 s13, s13, exec_lo
	s_or_saveexec_b32 s27, s27
	v_mov_b32_e32 v47, 0x7f800001
	s_xor_b32 exec_lo, exec_lo, s27
	s_cbranch_execnz .LBB4_821
.LBB4_394:                              ;   in Loop: Header=BB4_130 Depth=2
	s_or_b32 exec_lo, exec_lo, s27
	s_and_saveexec_b32 s27, s13
	s_cbranch_execz .LBB4_396
.LBB4_395:                              ;   in Loop: Header=BB4_130 Depth=2
	v_and_b32_sdwa v47, v115, v25 dst_sel:DWORD dst_unused:UNUSED_PAD src0_sel:DWORD src1_sel:BYTE_1
	v_and_b32_e32 v56, 7, v47
	v_bfe_u32 v59, v47, 3, 4
	v_ffbh_u32_e32 v57, v56
	v_cmp_eq_u32_e32 vcc_lo, 0, v59
	v_min_u32_e32 v57, 32, v57
	v_subrev_nc_u32_e32 v58, 28, v57
	v_sub_nc_u32_e32 v57, 29, v57
	v_lshlrev_b32_e32 v47, v58, v47
	v_lshlrev_b32_sdwa v58, v116, v25 dst_sel:DWORD dst_unused:UNUSED_PAD src0_sel:DWORD src1_sel:BYTE_1
	v_cndmask_b32_e32 v57, v59, v57, vcc_lo
	v_and_b32_e32 v47, 7, v47
	v_lshl_add_u32 v57, v57, 23, 0x3b800000
	v_cndmask_b32_e32 v47, v56, v47, vcc_lo
	v_and_b32_e32 v56, 0x80000000, v58
	v_lshlrev_b32_e32 v47, 20, v47
	v_or3_b32 v47, v56, v57, v47
.LBB4_396:                              ;   in Loop: Header=BB4_130 Depth=2
	s_or_b32 exec_lo, exec_lo, s27
	v_cmp_gt_i16_sdwa s27, v21, v101 src0_sel:BYTE_1 src1_sel:DWORD
	s_mov_b32 s13, 0
	s_and_saveexec_b32 s28, s27
	s_xor_b32 s27, exec_lo, s28
	s_cbranch_execz .LBB4_822
; %bb.397:                              ;   in Loop: Header=BB4_130 Depth=2
	v_cmp_eq_u16_sdwa s29, v21, v114 src0_sel:BYTE_1 src1_sel:DWORD
	s_mov_b32 s13, -1
	s_and_saveexec_b32 s28, s29
; %bb.398:                              ;   in Loop: Header=BB4_130 Depth=2
	s_xor_b32 s13, exec_lo, -1
; %bb.399:                              ;   in Loop: Header=BB4_130 Depth=2
	s_or_b32 exec_lo, exec_lo, s28
	s_and_b32 s13, s13, exec_lo
	s_or_saveexec_b32 s27, s27
	v_mov_b32_e32 v56, 0x7f800001
	s_xor_b32 exec_lo, exec_lo, s27
	s_cbranch_execnz .LBB4_823
.LBB4_400:                              ;   in Loop: Header=BB4_130 Depth=2
	s_or_b32 exec_lo, exec_lo, s27
	s_and_saveexec_b32 s27, s13
	s_cbranch_execz .LBB4_402
.LBB4_401:                              ;   in Loop: Header=BB4_130 Depth=2
	v_and_b32_sdwa v56, v115, v21 dst_sel:DWORD dst_unused:UNUSED_PAD src0_sel:DWORD src1_sel:BYTE_1
	v_and_b32_e32 v57, 7, v56
	v_bfe_u32 v60, v56, 3, 4
	v_ffbh_u32_e32 v58, v57
	v_cmp_eq_u32_e32 vcc_lo, 0, v60
	v_min_u32_e32 v58, 32, v58
	v_subrev_nc_u32_e32 v59, 28, v58
	v_sub_nc_u32_e32 v58, 29, v58
	v_lshlrev_b32_e32 v56, v59, v56
	v_lshlrev_b32_sdwa v59, v116, v21 dst_sel:DWORD dst_unused:UNUSED_PAD src0_sel:DWORD src1_sel:BYTE_1
	v_cndmask_b32_e32 v58, v60, v58, vcc_lo
	v_and_b32_e32 v56, 7, v56
	v_lshl_add_u32 v58, v58, 23, 0x3b800000
	v_cndmask_b32_e32 v56, v57, v56, vcc_lo
	v_and_b32_e32 v57, 0x80000000, v59
	v_lshlrev_b32_e32 v56, 20, v56
	v_or3_b32 v56, v57, v58, v56
.LBB4_402:                              ;   in Loop: Header=BB4_130 Depth=2
	s_or_b32 exec_lo, exec_lo, s27
	v_add_f32_e32 v56, v47, v56
	v_and_b32_e32 v47, 0x7f800000, v56
	v_cmp_ne_u32_e32 vcc_lo, 0x7f800000, v47
	v_mov_b32_e32 v47, 0x8000
	s_and_saveexec_b32 s27, vcc_lo
	s_cbranch_execz .LBB4_410
; %bb.403:                              ;   in Loop: Header=BB4_130 Depth=2
	v_mov_b32_e32 v47, 0
	s_mov_b32 s28, exec_lo
	v_cmpx_ne_u32_e32 0, v56
	s_cbranch_execz .LBB4_409
; %bb.404:                              ;   in Loop: Header=BB4_130 Depth=2
	v_bfe_u32 v47, v56, 23, 8
	v_and_b32_e32 v57, 0x7fffff, v56
	v_sub_nc_u32_e32 v58, 0x78, v47
	v_cmp_gt_u32_e32 vcc_lo, 0x79, v47
	v_or_b32_e32 v59, 0x800000, v57
	v_cndmask_b32_e32 v58, 0, v58, vcc_lo
	v_cmp_eq_u32_e32 vcc_lo, 0, v47
	v_add_nc_u32_e32 v47, 0xffffff89, v47
	v_cndmask_b32_e64 v58, v58, 0x77, vcc_lo
	v_cndmask_b32_e32 v57, v59, v57, vcc_lo
	v_cndmask_b32_e64 v47, v47, 0xffffff8a, vcc_lo
	v_lshl_add_u32 v59, 0x100000, v58, -1
	v_lshrrev_b32_e32 v60, v58, v57
	v_lshlrev_b32_e64 v62, v58, 0x80000
	v_add_nc_u32_e32 v58, v58, v47
	v_and_b32_e32 v57, v59, v57
	v_bfe_u32 v61, v60, 20, 1
	v_cmp_eq_u32_e64 s13, v57, v62
	v_add_nc_u32_e32 v59, -1, v61
	v_cndmask_b32_e64 v57, 0, v59, s13
	v_lshrrev_b32_e32 v59, 23, v60
	s_mov_b32 s13, exec_lo
	v_add_nc_u32_e32 v57, v57, v60
	v_xor_b32_e32 v59, 1, v59
	v_and_b32_e32 v47, 0xfffff, v57
	v_add_nc_u32_e32 v57, v47, v60
                                        ; implicit-def: $vgpr47
	v_cmpx_ne_u32_e64 v58, v59
	s_xor_b32 s13, exec_lo, s13
; %bb.405:                              ;   in Loop: Header=BB4_130 Depth=2
	v_cmp_lt_u32_e32 vcc_lo, 0xffffff, v57
	v_sub_nc_u32_e32 v47, v58, v59
	v_cndmask_b32_e64 v58, 0, 1, vcc_lo
	v_add_co_ci_u32_e64 v47, null, 0, v47, vcc_lo
	v_lshrrev_b32_e32 v57, v58, v57
; %bb.406:                              ;   in Loop: Header=BB4_130 Depth=2
	s_andn2_saveexec_b32 s13, s13
; %bb.407:                              ;   in Loop: Header=BB4_130 Depth=2
	v_bfe_u32 v47, v57, 23, 1
; %bb.408:                              ;   in Loop: Header=BB4_130 Depth=2
	s_or_b32 exec_lo, exec_lo, s13
	v_lshrrev_b32_e32 v57, 20, v57
	v_min_i32_e32 v58, 15, v47
	v_cmp_gt_i32_e32 vcc_lo, 16, v47
	v_and_b32_sdwa v56, v56, v114 dst_sel:DWORD dst_unused:UNUSED_PAD src0_sel:BYTE_3 src1_sel:DWORD
	v_lshlrev_b32_e32 v58, 3, v58
	v_cndmask_b32_e32 v57, 7, v57, vcc_lo
	v_and_b32_e32 v58, 0xf8, v58
	v_and_b32_e32 v59, 7, v57
	v_or_b32_e32 v47, v47, v57
	v_or3_b32 v56, v56, v58, v59
	v_cmp_ne_u32_e32 vcc_lo, 0, v47
	v_lshlrev_b32_e32 v56, 8, v56
	v_cndmask_b32_e32 v47, 0, v56, vcc_lo
.LBB4_409:                              ;   in Loop: Header=BB4_130 Depth=2
	s_or_b32 exec_lo, exec_lo, s28
.LBB4_410:                              ;   in Loop: Header=BB4_130 Depth=2
	s_or_b32 exec_lo, exec_lo, s27
	v_and_b32_sdwa v57, v25, v117 dst_sel:DWORD dst_unused:UNUSED_PAD src0_sel:WORD_1 src1_sel:DWORD
	s_mov_b32 s13, 0
	s_mov_b32 s27, exec_lo
	v_cmpx_lt_i16_e32 0x7f, v57
	s_xor_b32 s27, exec_lo, s27
	s_cbranch_execz .LBB4_824
; %bb.411:                              ;   in Loop: Header=BB4_130 Depth=2
	s_mov_b32 s13, -1
	s_mov_b32 s28, exec_lo
	v_cmpx_eq_u16_e32 0x80, v57
; %bb.412:                              ;   in Loop: Header=BB4_130 Depth=2
	s_xor_b32 s13, exec_lo, -1
; %bb.413:                              ;   in Loop: Header=BB4_130 Depth=2
	s_or_b32 exec_lo, exec_lo, s28
	s_and_b32 s13, s13, exec_lo
                                        ; implicit-def: $vgpr57
	s_or_saveexec_b32 s27, s27
	v_mov_b32_e32 v56, 0x7f800001
	s_xor_b32 exec_lo, exec_lo, s27
	s_cbranch_execnz .LBB4_825
.LBB4_414:                              ;   in Loop: Header=BB4_130 Depth=2
	s_or_b32 exec_lo, exec_lo, s27
	s_and_saveexec_b32 s27, s13
	s_cbranch_execz .LBB4_416
.LBB4_415:                              ;   in Loop: Header=BB4_130 Depth=2
	v_bfe_u32 v56, v25, 16, 3
	v_bfe_u32 v59, v25, 19, 4
	v_lshlrev_b32_e32 v60, 8, v25
	v_ffbh_u32_e32 v57, v56
	v_cmp_eq_u32_e32 vcc_lo, 0, v59
	v_min_u32_e32 v57, 32, v57
	v_subrev_nc_u32_e32 v58, 28, v57
	v_sub_nc_u32_e32 v57, 29, v57
	v_lshlrev_b32_sdwa v58, v58, v25 dst_sel:DWORD dst_unused:UNUSED_PAD src0_sel:DWORD src1_sel:WORD_1
	v_cndmask_b32_e32 v57, v59, v57, vcc_lo
	v_and_b32_e32 v58, 7, v58
	v_lshl_add_u32 v57, v57, 23, 0x3b800000
	v_cndmask_b32_e32 v56, v56, v58, vcc_lo
	v_and_b32_e32 v58, 0x80000000, v60
	v_lshlrev_b32_e32 v56, 20, v56
	v_or3_b32 v56, v58, v57, v56
.LBB4_416:                              ;   in Loop: Header=BB4_130 Depth=2
	s_or_b32 exec_lo, exec_lo, s27
	v_and_b32_sdwa v58, v21, v117 dst_sel:DWORD dst_unused:UNUSED_PAD src0_sel:WORD_1 src1_sel:DWORD
	s_mov_b32 s13, 0
	s_mov_b32 s27, exec_lo
	v_cmpx_lt_i16_e32 0x7f, v58
	s_xor_b32 s27, exec_lo, s27
	s_cbranch_execz .LBB4_826
; %bb.417:                              ;   in Loop: Header=BB4_130 Depth=2
	s_mov_b32 s13, -1
	s_mov_b32 s28, exec_lo
	v_cmpx_eq_u16_e32 0x80, v58
; %bb.418:                              ;   in Loop: Header=BB4_130 Depth=2
	s_xor_b32 s13, exec_lo, -1
; %bb.419:                              ;   in Loop: Header=BB4_130 Depth=2
	s_or_b32 exec_lo, exec_lo, s28
	s_and_b32 s13, s13, exec_lo
                                        ; implicit-def: $vgpr58
	s_or_saveexec_b32 s27, s27
	v_mov_b32_e32 v57, 0x7f800001
	s_xor_b32 exec_lo, exec_lo, s27
	s_cbranch_execnz .LBB4_827
.LBB4_420:                              ;   in Loop: Header=BB4_130 Depth=2
	s_or_b32 exec_lo, exec_lo, s27
	s_and_saveexec_b32 s27, s13
	s_cbranch_execz .LBB4_422
.LBB4_421:                              ;   in Loop: Header=BB4_130 Depth=2
	v_bfe_u32 v57, v21, 16, 3
	v_bfe_u32 v60, v21, 19, 4
	v_lshlrev_b32_e32 v61, 8, v21
	v_ffbh_u32_e32 v58, v57
	v_cmp_eq_u32_e32 vcc_lo, 0, v60
	v_min_u32_e32 v58, 32, v58
	v_subrev_nc_u32_e32 v59, 28, v58
	v_sub_nc_u32_e32 v58, 29, v58
	v_lshlrev_b32_sdwa v59, v59, v21 dst_sel:DWORD dst_unused:UNUSED_PAD src0_sel:DWORD src1_sel:WORD_1
	v_cndmask_b32_e32 v58, v60, v58, vcc_lo
	v_and_b32_e32 v59, 7, v59
	v_lshl_add_u32 v58, v58, 23, 0x3b800000
	v_cndmask_b32_e32 v57, v57, v59, vcc_lo
	v_and_b32_e32 v59, 0x80000000, v61
	v_lshlrev_b32_e32 v57, 20, v57
	v_or3_b32 v57, v59, v58, v57
.LBB4_422:                              ;   in Loop: Header=BB4_130 Depth=2
	s_or_b32 exec_lo, exec_lo, s27
	v_add_f32_e32 v57, v56, v57
	v_and_b32_e32 v56, 0x7f800000, v57
	v_cmp_ne_u32_e32 vcc_lo, 0x7f800000, v56
	v_mov_b32_e32 v56, 0x80
	s_and_saveexec_b32 s27, vcc_lo
	s_cbranch_execz .LBB4_430
; %bb.423:                              ;   in Loop: Header=BB4_130 Depth=2
	v_mov_b32_e32 v56, 0
	s_mov_b32 s28, exec_lo
	v_cmpx_ne_u32_e32 0, v57
	s_cbranch_execz .LBB4_429
; %bb.424:                              ;   in Loop: Header=BB4_130 Depth=2
	v_bfe_u32 v56, v57, 23, 8
	v_and_b32_e32 v58, 0x7fffff, v57
	v_sub_nc_u32_e32 v59, 0x78, v56
	v_cmp_gt_u32_e32 vcc_lo, 0x79, v56
	v_or_b32_e32 v60, 0x800000, v58
	v_cndmask_b32_e32 v59, 0, v59, vcc_lo
	v_cmp_eq_u32_e32 vcc_lo, 0, v56
	v_add_nc_u32_e32 v56, 0xffffff89, v56
	v_cndmask_b32_e64 v59, v59, 0x77, vcc_lo
	v_cndmask_b32_e32 v58, v60, v58, vcc_lo
	v_cndmask_b32_e64 v56, v56, 0xffffff8a, vcc_lo
	v_lshl_add_u32 v60, 0x100000, v59, -1
	v_lshrrev_b32_e32 v61, v59, v58
	v_lshlrev_b32_e64 v63, v59, 0x80000
	v_add_nc_u32_e32 v59, v59, v56
	v_and_b32_e32 v58, v60, v58
	v_bfe_u32 v62, v61, 20, 1
	v_cmp_eq_u32_e64 s13, v58, v63
	v_add_nc_u32_e32 v60, -1, v62
	v_cndmask_b32_e64 v58, 0, v60, s13
	v_lshrrev_b32_e32 v60, 23, v61
	s_mov_b32 s13, exec_lo
	v_add_nc_u32_e32 v58, v58, v61
	v_xor_b32_e32 v60, 1, v60
	v_and_b32_e32 v56, 0xfffff, v58
	v_add_nc_u32_e32 v58, v56, v61
                                        ; implicit-def: $vgpr56
	v_cmpx_ne_u32_e64 v59, v60
	s_xor_b32 s13, exec_lo, s13
; %bb.425:                              ;   in Loop: Header=BB4_130 Depth=2
	v_cmp_lt_u32_e32 vcc_lo, 0xffffff, v58
	v_sub_nc_u32_e32 v56, v59, v60
	v_cndmask_b32_e64 v59, 0, 1, vcc_lo
	v_add_co_ci_u32_e64 v56, null, 0, v56, vcc_lo
	v_lshrrev_b32_e32 v58, v59, v58
; %bb.426:                              ;   in Loop: Header=BB4_130 Depth=2
	s_andn2_saveexec_b32 s13, s13
; %bb.427:                              ;   in Loop: Header=BB4_130 Depth=2
	v_bfe_u32 v56, v58, 23, 1
; %bb.428:                              ;   in Loop: Header=BB4_130 Depth=2
	s_or_b32 exec_lo, exec_lo, s13
	v_lshrrev_b32_e32 v58, 20, v58
	v_min_i32_e32 v59, 15, v56
	v_cmp_gt_i32_e32 vcc_lo, 16, v56
	v_and_b32_sdwa v57, v57, v114 dst_sel:DWORD dst_unused:UNUSED_PAD src0_sel:BYTE_3 src1_sel:DWORD
	v_lshlrev_b32_e32 v59, 3, v59
	v_cndmask_b32_e32 v58, 7, v58, vcc_lo
	v_and_b32_e32 v59, 0xf8, v59
	v_and_b32_e32 v60, 7, v58
	v_or_b32_e32 v56, v56, v58
	v_or3_b32 v57, v59, v57, v60
	v_cmp_ne_u32_e32 vcc_lo, 0, v56
	v_cndmask_b32_e32 v56, 0, v57, vcc_lo
.LBB4_429:                              ;   in Loop: Header=BB4_130 Depth=2
	s_or_b32 exec_lo, exec_lo, s28
.LBB4_430:                              ;   in Loop: Header=BB4_130 Depth=2
	s_or_b32 exec_lo, exec_lo, s27
	v_cmp_gt_i16_sdwa s27, v25, v101 src0_sel:BYTE_3 src1_sel:DWORD
	s_mov_b32 s13, 0
	s_and_saveexec_b32 s28, s27
	s_xor_b32 s27, exec_lo, s28
	s_cbranch_execz .LBB4_828
; %bb.431:                              ;   in Loop: Header=BB4_130 Depth=2
	v_cmp_eq_u16_sdwa s29, v25, v114 src0_sel:BYTE_3 src1_sel:DWORD
	s_mov_b32 s13, -1
	s_and_saveexec_b32 s28, s29
; %bb.432:                              ;   in Loop: Header=BB4_130 Depth=2
	s_xor_b32 s13, exec_lo, -1
; %bb.433:                              ;   in Loop: Header=BB4_130 Depth=2
	s_or_b32 exec_lo, exec_lo, s28
	s_and_b32 s13, s13, exec_lo
	s_or_saveexec_b32 s27, s27
	v_mov_b32_e32 v57, 0x7f800001
	s_xor_b32 exec_lo, exec_lo, s27
	s_cbranch_execnz .LBB4_829
.LBB4_434:                              ;   in Loop: Header=BB4_130 Depth=2
	s_or_b32 exec_lo, exec_lo, s27
	s_and_saveexec_b32 s27, s13
	s_cbranch_execz .LBB4_436
.LBB4_435:                              ;   in Loop: Header=BB4_130 Depth=2
	v_bfe_u32 v57, v25, 24, 3
	v_bfe_u32 v60, v25, 27, 4
	v_ffbh_u32_e32 v58, v57
	v_cmp_eq_u32_e32 vcc_lo, 0, v60
	v_min_u32_e32 v58, 32, v58
	v_subrev_nc_u32_e32 v59, 28, v58
	v_sub_nc_u32_e32 v58, 29, v58
	v_lshlrev_b32_sdwa v59, v59, v25 dst_sel:DWORD dst_unused:UNUSED_PAD src0_sel:DWORD src1_sel:BYTE_3
	v_cndmask_b32_e32 v58, v60, v58, vcc_lo
	v_and_b32_e32 v25, 0x80000000, v25
	v_and_b32_e32 v59, 7, v59
	v_lshl_add_u32 v58, v58, 23, 0x3b800000
	v_cndmask_b32_e32 v57, v57, v59, vcc_lo
	v_lshlrev_b32_e32 v57, 20, v57
	v_or3_b32 v57, v25, v58, v57
.LBB4_436:                              ;   in Loop: Header=BB4_130 Depth=2
	s_or_b32 exec_lo, exec_lo, s27
	v_cmp_gt_i16_sdwa s27, v21, v101 src0_sel:BYTE_3 src1_sel:DWORD
	s_mov_b32 s13, 0
	s_and_saveexec_b32 s28, s27
	s_xor_b32 s27, exec_lo, s28
	s_cbranch_execz .LBB4_830
; %bb.437:                              ;   in Loop: Header=BB4_130 Depth=2
	v_cmp_eq_u16_sdwa s29, v21, v114 src0_sel:BYTE_3 src1_sel:DWORD
	s_mov_b32 s13, -1
	s_and_saveexec_b32 s28, s29
; %bb.438:                              ;   in Loop: Header=BB4_130 Depth=2
	s_xor_b32 s13, exec_lo, -1
; %bb.439:                              ;   in Loop: Header=BB4_130 Depth=2
	s_or_b32 exec_lo, exec_lo, s28
	s_and_b32 s13, s13, exec_lo
	s_or_saveexec_b32 s27, s27
	v_mov_b32_e32 v25, 0x7f800001
	s_xor_b32 exec_lo, exec_lo, s27
	s_cbranch_execnz .LBB4_831
.LBB4_440:                              ;   in Loop: Header=BB4_130 Depth=2
	s_or_b32 exec_lo, exec_lo, s27
	s_and_saveexec_b32 s27, s13
	s_cbranch_execz .LBB4_442
.LBB4_441:                              ;   in Loop: Header=BB4_130 Depth=2
	v_bfe_u32 v25, v21, 24, 3
	v_bfe_u32 v60, v21, 27, 4
	v_ffbh_u32_e32 v58, v25
	v_cmp_eq_u32_e32 vcc_lo, 0, v60
	v_min_u32_e32 v58, 32, v58
	v_subrev_nc_u32_e32 v59, 28, v58
	v_sub_nc_u32_e32 v58, 29, v58
	v_lshlrev_b32_sdwa v59, v59, v21 dst_sel:DWORD dst_unused:UNUSED_PAD src0_sel:DWORD src1_sel:BYTE_3
	v_cndmask_b32_e32 v58, v60, v58, vcc_lo
	v_and_b32_e32 v21, 0x80000000, v21
	v_and_b32_e32 v59, 7, v59
	v_lshl_add_u32 v58, v58, 23, 0x3b800000
	v_cndmask_b32_e32 v25, v25, v59, vcc_lo
	v_lshlrev_b32_e32 v25, 20, v25
	v_or3_b32 v25, v21, v58, v25
.LBB4_442:                              ;   in Loop: Header=BB4_130 Depth=2
	s_or_b32 exec_lo, exec_lo, s27
	v_add_f32_e32 v25, v57, v25
	v_and_b32_e32 v21, 0x7f800000, v25
	v_cmp_ne_u32_e32 vcc_lo, 0x7f800000, v21
	v_mov_b32_e32 v21, 0x8000
	s_and_saveexec_b32 s27, vcc_lo
	s_cbranch_execz .LBB4_450
; %bb.443:                              ;   in Loop: Header=BB4_130 Depth=2
	v_mov_b32_e32 v21, 0
	s_mov_b32 s28, exec_lo
	v_cmpx_ne_u32_e32 0, v25
	s_cbranch_execz .LBB4_449
; %bb.444:                              ;   in Loop: Header=BB4_130 Depth=2
	v_bfe_u32 v21, v25, 23, 8
	v_and_b32_e32 v57, 0x7fffff, v25
	v_sub_nc_u32_e32 v58, 0x78, v21
	v_cmp_gt_u32_e32 vcc_lo, 0x79, v21
	v_or_b32_e32 v59, 0x800000, v57
	v_cndmask_b32_e32 v58, 0, v58, vcc_lo
	v_cmp_eq_u32_e32 vcc_lo, 0, v21
	v_add_nc_u32_e32 v21, 0xffffff89, v21
	v_cndmask_b32_e64 v58, v58, 0x77, vcc_lo
	v_cndmask_b32_e32 v57, v59, v57, vcc_lo
	v_cndmask_b32_e64 v21, v21, 0xffffff8a, vcc_lo
	v_lshl_add_u32 v59, 0x100000, v58, -1
	v_lshrrev_b32_e32 v60, v58, v57
	v_lshlrev_b32_e64 v62, v58, 0x80000
	v_add_nc_u32_e32 v58, v58, v21
	v_and_b32_e32 v57, v59, v57
	v_bfe_u32 v61, v60, 20, 1
	v_cmp_eq_u32_e64 s13, v57, v62
	v_add_nc_u32_e32 v59, -1, v61
	v_cndmask_b32_e64 v57, 0, v59, s13
	v_lshrrev_b32_e32 v59, 23, v60
	s_mov_b32 s13, exec_lo
	v_add_nc_u32_e32 v57, v57, v60
	v_xor_b32_e32 v59, 1, v59
	v_and_b32_e32 v21, 0xfffff, v57
	v_add_nc_u32_e32 v57, v21, v60
                                        ; implicit-def: $vgpr21
	v_cmpx_ne_u32_e64 v58, v59
	s_xor_b32 s13, exec_lo, s13
; %bb.445:                              ;   in Loop: Header=BB4_130 Depth=2
	v_cmp_lt_u32_e32 vcc_lo, 0xffffff, v57
	v_sub_nc_u32_e32 v21, v58, v59
	v_cndmask_b32_e64 v58, 0, 1, vcc_lo
	v_add_co_ci_u32_e64 v21, null, 0, v21, vcc_lo
	v_lshrrev_b32_e32 v57, v58, v57
; %bb.446:                              ;   in Loop: Header=BB4_130 Depth=2
	s_andn2_saveexec_b32 s13, s13
; %bb.447:                              ;   in Loop: Header=BB4_130 Depth=2
	v_bfe_u32 v21, v57, 23, 1
; %bb.448:                              ;   in Loop: Header=BB4_130 Depth=2
	s_or_b32 exec_lo, exec_lo, s13
	v_lshrrev_b32_e32 v57, 20, v57
	v_min_i32_e32 v58, 15, v21
	v_cmp_gt_i32_e32 vcc_lo, 16, v21
	v_and_b32_sdwa v25, v25, v114 dst_sel:DWORD dst_unused:UNUSED_PAD src0_sel:BYTE_3 src1_sel:DWORD
	v_lshlrev_b32_e32 v58, 3, v58
	v_cndmask_b32_e32 v57, 7, v57, vcc_lo
	v_and_b32_e32 v58, 0xf8, v58
	v_and_b32_e32 v59, 7, v57
	v_or_b32_e32 v21, v21, v57
	v_or3_b32 v25, v25, v58, v59
	v_cmp_ne_u32_e32 vcc_lo, 0, v21
	v_lshlrev_b32_e32 v25, 8, v25
	v_cndmask_b32_e32 v21, 0, v25, vcc_lo
.LBB4_449:                              ;   in Loop: Header=BB4_130 Depth=2
	s_or_b32 exec_lo, exec_lo, s28
.LBB4_450:                              ;   in Loop: Header=BB4_130 Depth=2
	s_or_b32 exec_lo, exec_lo, s27
	v_cmp_gt_i16_sdwa s27, v14, v101 src0_sel:BYTE_0 src1_sel:DWORD
	s_mov_b32 s13, 0
	s_and_saveexec_b32 s28, s27
	s_xor_b32 s27, exec_lo, s28
	s_cbranch_execz .LBB4_832
; %bb.451:                              ;   in Loop: Header=BB4_130 Depth=2
	v_cmp_eq_u16_sdwa s29, v14, v114 src0_sel:BYTE_0 src1_sel:DWORD
	s_mov_b32 s13, -1
	s_and_saveexec_b32 s28, s29
; %bb.452:                              ;   in Loop: Header=BB4_130 Depth=2
	s_xor_b32 s13, exec_lo, -1
; %bb.453:                              ;   in Loop: Header=BB4_130 Depth=2
	s_or_b32 exec_lo, exec_lo, s28
	s_and_b32 s13, s13, exec_lo
	s_or_saveexec_b32 s27, s27
	v_mov_b32_e32 v25, 0x7f800001
	s_xor_b32 exec_lo, exec_lo, s27
	s_cbranch_execnz .LBB4_833
.LBB4_454:                              ;   in Loop: Header=BB4_130 Depth=2
	s_or_b32 exec_lo, exec_lo, s27
	s_and_saveexec_b32 s27, s13
	s_cbranch_execz .LBB4_456
.LBB4_455:                              ;   in Loop: Header=BB4_130 Depth=2
	v_and_b32_e32 v25, 7, v14
	v_bfe_u32 v59, v14, 3, 4
	v_lshlrev_b32_e32 v60, 24, v14
	v_ffbh_u32_e32 v57, v25
	v_cmp_eq_u32_e32 vcc_lo, 0, v59
	v_min_u32_e32 v57, 32, v57
	v_subrev_nc_u32_e32 v58, 28, v57
	v_sub_nc_u32_e32 v57, 29, v57
	v_lshlrev_b32_e32 v58, v58, v14
	v_cndmask_b32_e32 v57, v59, v57, vcc_lo
	v_and_b32_e32 v58, 7, v58
	v_lshl_add_u32 v57, v57, 23, 0x3b800000
	v_cndmask_b32_e32 v25, v25, v58, vcc_lo
	v_and_b32_e32 v58, 0x80000000, v60
	v_lshlrev_b32_e32 v25, 20, v25
	v_or3_b32 v25, v58, v57, v25
.LBB4_456:                              ;   in Loop: Header=BB4_130 Depth=2
	s_or_b32 exec_lo, exec_lo, s27
	s_waitcnt vmcnt(0)
	v_cmp_gt_i16_sdwa s27, v10, v101 src0_sel:BYTE_0 src1_sel:DWORD
	s_mov_b32 s13, 0
	s_and_saveexec_b32 s28, s27
	s_xor_b32 s27, exec_lo, s28
	s_cbranch_execz .LBB4_834
; %bb.457:                              ;   in Loop: Header=BB4_130 Depth=2
	v_cmp_eq_u16_sdwa s29, v10, v114 src0_sel:BYTE_0 src1_sel:DWORD
	s_mov_b32 s13, -1
	s_and_saveexec_b32 s28, s29
; %bb.458:                              ;   in Loop: Header=BB4_130 Depth=2
	s_xor_b32 s13, exec_lo, -1
; %bb.459:                              ;   in Loop: Header=BB4_130 Depth=2
	s_or_b32 exec_lo, exec_lo, s28
	s_and_b32 s13, s13, exec_lo
	s_or_saveexec_b32 s27, s27
	v_mov_b32_e32 v57, 0x7f800001
	s_xor_b32 exec_lo, exec_lo, s27
	s_cbranch_execnz .LBB4_835
.LBB4_460:                              ;   in Loop: Header=BB4_130 Depth=2
	s_or_b32 exec_lo, exec_lo, s27
	s_and_saveexec_b32 s27, s13
	s_cbranch_execz .LBB4_462
.LBB4_461:                              ;   in Loop: Header=BB4_130 Depth=2
	v_and_b32_e32 v57, 7, v10
	v_bfe_u32 v60, v10, 3, 4
	v_lshlrev_b32_e32 v61, 24, v10
	v_ffbh_u32_e32 v58, v57
	v_cmp_eq_u32_e32 vcc_lo, 0, v60
	v_min_u32_e32 v58, 32, v58
	v_subrev_nc_u32_e32 v59, 28, v58
	v_sub_nc_u32_e32 v58, 29, v58
	v_lshlrev_b32_e32 v59, v59, v10
	v_cndmask_b32_e32 v58, v60, v58, vcc_lo
	v_and_b32_e32 v59, 7, v59
	v_lshl_add_u32 v58, v58, 23, 0x3b800000
	v_cndmask_b32_e32 v57, v57, v59, vcc_lo
	v_and_b32_e32 v59, 0x80000000, v61
	v_lshlrev_b32_e32 v57, 20, v57
	v_or3_b32 v57, v59, v58, v57
.LBB4_462:                              ;   in Loop: Header=BB4_130 Depth=2
	s_or_b32 exec_lo, exec_lo, s27
	v_add_f32_e32 v57, v25, v57
	v_and_b32_e32 v25, 0x7f800000, v57
	v_cmp_ne_u32_e32 vcc_lo, 0x7f800000, v25
	v_mov_b32_e32 v25, 0x80
	s_and_saveexec_b32 s27, vcc_lo
	s_cbranch_execz .LBB4_470
; %bb.463:                              ;   in Loop: Header=BB4_130 Depth=2
	v_mov_b32_e32 v25, 0
	s_mov_b32 s28, exec_lo
	v_cmpx_ne_u32_e32 0, v57
	s_cbranch_execz .LBB4_469
; %bb.464:                              ;   in Loop: Header=BB4_130 Depth=2
	v_bfe_u32 v25, v57, 23, 8
	v_and_b32_e32 v58, 0x7fffff, v57
	v_sub_nc_u32_e32 v59, 0x78, v25
	v_cmp_gt_u32_e32 vcc_lo, 0x79, v25
	v_or_b32_e32 v60, 0x800000, v58
	v_cndmask_b32_e32 v59, 0, v59, vcc_lo
	v_cmp_eq_u32_e32 vcc_lo, 0, v25
	v_add_nc_u32_e32 v25, 0xffffff89, v25
	v_cndmask_b32_e64 v59, v59, 0x77, vcc_lo
	v_cndmask_b32_e32 v58, v60, v58, vcc_lo
	v_cndmask_b32_e64 v25, v25, 0xffffff8a, vcc_lo
	v_lshl_add_u32 v60, 0x100000, v59, -1
	v_lshrrev_b32_e32 v61, v59, v58
	v_lshlrev_b32_e64 v63, v59, 0x80000
	v_add_nc_u32_e32 v59, v59, v25
	v_and_b32_e32 v58, v60, v58
	v_bfe_u32 v62, v61, 20, 1
	v_cmp_eq_u32_e64 s13, v58, v63
	v_add_nc_u32_e32 v60, -1, v62
	v_cndmask_b32_e64 v58, 0, v60, s13
	v_lshrrev_b32_e32 v60, 23, v61
	s_mov_b32 s13, exec_lo
	v_add_nc_u32_e32 v58, v58, v61
	v_xor_b32_e32 v60, 1, v60
	v_and_b32_e32 v25, 0xfffff, v58
	v_add_nc_u32_e32 v58, v25, v61
                                        ; implicit-def: $vgpr25
	v_cmpx_ne_u32_e64 v59, v60
	s_xor_b32 s13, exec_lo, s13
; %bb.465:                              ;   in Loop: Header=BB4_130 Depth=2
	v_cmp_lt_u32_e32 vcc_lo, 0xffffff, v58
	v_sub_nc_u32_e32 v25, v59, v60
	v_cndmask_b32_e64 v59, 0, 1, vcc_lo
	v_add_co_ci_u32_e64 v25, null, 0, v25, vcc_lo
	v_lshrrev_b32_e32 v58, v59, v58
; %bb.466:                              ;   in Loop: Header=BB4_130 Depth=2
	s_andn2_saveexec_b32 s13, s13
; %bb.467:                              ;   in Loop: Header=BB4_130 Depth=2
	v_bfe_u32 v25, v58, 23, 1
; %bb.468:                              ;   in Loop: Header=BB4_130 Depth=2
	s_or_b32 exec_lo, exec_lo, s13
	v_lshrrev_b32_e32 v58, 20, v58
	v_min_i32_e32 v59, 15, v25
	v_cmp_gt_i32_e32 vcc_lo, 16, v25
	v_and_b32_sdwa v57, v57, v114 dst_sel:DWORD dst_unused:UNUSED_PAD src0_sel:BYTE_3 src1_sel:DWORD
	v_lshlrev_b32_e32 v59, 3, v59
	v_cndmask_b32_e32 v58, 7, v58, vcc_lo
	v_and_b32_e32 v59, 0xf8, v59
	v_and_b32_e32 v60, 7, v58
	v_or_b32_e32 v25, v25, v58
	v_or3_b32 v57, v59, v57, v60
	v_cmp_ne_u32_e32 vcc_lo, 0, v25
	v_cndmask_b32_e32 v25, 0, v57, vcc_lo
.LBB4_469:                              ;   in Loop: Header=BB4_130 Depth=2
	s_or_b32 exec_lo, exec_lo, s28
.LBB4_470:                              ;   in Loop: Header=BB4_130 Depth=2
	s_or_b32 exec_lo, exec_lo, s27
	v_cmp_gt_i16_sdwa s27, v14, v101 src0_sel:BYTE_1 src1_sel:DWORD
	s_mov_b32 s13, 0
	s_and_saveexec_b32 s28, s27
	s_xor_b32 s27, exec_lo, s28
	s_cbranch_execz .LBB4_836
; %bb.471:                              ;   in Loop: Header=BB4_130 Depth=2
	v_cmp_eq_u16_sdwa s29, v14, v114 src0_sel:BYTE_1 src1_sel:DWORD
	s_mov_b32 s13, -1
	s_and_saveexec_b32 s28, s29
; %bb.472:                              ;   in Loop: Header=BB4_130 Depth=2
	s_xor_b32 s13, exec_lo, -1
; %bb.473:                              ;   in Loop: Header=BB4_130 Depth=2
	s_or_b32 exec_lo, exec_lo, s28
	s_and_b32 s13, s13, exec_lo
	s_or_saveexec_b32 s27, s27
	v_mov_b32_e32 v57, 0x7f800001
	s_xor_b32 exec_lo, exec_lo, s27
	s_cbranch_execnz .LBB4_837
.LBB4_474:                              ;   in Loop: Header=BB4_130 Depth=2
	s_or_b32 exec_lo, exec_lo, s27
	s_and_saveexec_b32 s27, s13
	s_cbranch_execz .LBB4_476
.LBB4_475:                              ;   in Loop: Header=BB4_130 Depth=2
	v_and_b32_sdwa v57, v115, v14 dst_sel:DWORD dst_unused:UNUSED_PAD src0_sel:DWORD src1_sel:BYTE_1
	v_and_b32_e32 v58, 7, v57
	v_bfe_u32 v61, v57, 3, 4
	v_ffbh_u32_e32 v59, v58
	v_cmp_eq_u32_e32 vcc_lo, 0, v61
	v_min_u32_e32 v59, 32, v59
	v_subrev_nc_u32_e32 v60, 28, v59
	v_sub_nc_u32_e32 v59, 29, v59
	v_lshlrev_b32_e32 v57, v60, v57
	v_lshlrev_b32_sdwa v60, v116, v14 dst_sel:DWORD dst_unused:UNUSED_PAD src0_sel:DWORD src1_sel:BYTE_1
	v_cndmask_b32_e32 v59, v61, v59, vcc_lo
	v_and_b32_e32 v57, 7, v57
	v_lshl_add_u32 v59, v59, 23, 0x3b800000
	v_cndmask_b32_e32 v57, v58, v57, vcc_lo
	v_and_b32_e32 v58, 0x80000000, v60
	v_lshlrev_b32_e32 v57, 20, v57
	v_or3_b32 v57, v58, v59, v57
.LBB4_476:                              ;   in Loop: Header=BB4_130 Depth=2
	s_or_b32 exec_lo, exec_lo, s27
	v_cmp_gt_i16_sdwa s27, v10, v101 src0_sel:BYTE_1 src1_sel:DWORD
	s_mov_b32 s13, 0
	s_and_saveexec_b32 s28, s27
	s_xor_b32 s27, exec_lo, s28
	s_cbranch_execz .LBB4_838
; %bb.477:                              ;   in Loop: Header=BB4_130 Depth=2
	v_cmp_eq_u16_sdwa s29, v10, v114 src0_sel:BYTE_1 src1_sel:DWORD
	s_mov_b32 s13, -1
	s_and_saveexec_b32 s28, s29
; %bb.478:                              ;   in Loop: Header=BB4_130 Depth=2
	s_xor_b32 s13, exec_lo, -1
; %bb.479:                              ;   in Loop: Header=BB4_130 Depth=2
	s_or_b32 exec_lo, exec_lo, s28
	s_and_b32 s13, s13, exec_lo
	s_or_saveexec_b32 s27, s27
	v_mov_b32_e32 v58, 0x7f800001
	s_xor_b32 exec_lo, exec_lo, s27
	s_cbranch_execnz .LBB4_839
.LBB4_480:                              ;   in Loop: Header=BB4_130 Depth=2
	s_or_b32 exec_lo, exec_lo, s27
	s_and_saveexec_b32 s27, s13
	s_cbranch_execz .LBB4_482
.LBB4_481:                              ;   in Loop: Header=BB4_130 Depth=2
	v_and_b32_sdwa v58, v115, v10 dst_sel:DWORD dst_unused:UNUSED_PAD src0_sel:DWORD src1_sel:BYTE_1
	v_and_b32_e32 v59, 7, v58
	v_bfe_u32 v62, v58, 3, 4
	v_ffbh_u32_e32 v60, v59
	v_cmp_eq_u32_e32 vcc_lo, 0, v62
	v_min_u32_e32 v60, 32, v60
	v_subrev_nc_u32_e32 v61, 28, v60
	v_sub_nc_u32_e32 v60, 29, v60
	v_lshlrev_b32_e32 v58, v61, v58
	v_lshlrev_b32_sdwa v61, v116, v10 dst_sel:DWORD dst_unused:UNUSED_PAD src0_sel:DWORD src1_sel:BYTE_1
	v_cndmask_b32_e32 v60, v62, v60, vcc_lo
	v_and_b32_e32 v58, 7, v58
	v_lshl_add_u32 v60, v60, 23, 0x3b800000
	v_cndmask_b32_e32 v58, v59, v58, vcc_lo
	v_and_b32_e32 v59, 0x80000000, v61
	v_lshlrev_b32_e32 v58, 20, v58
	v_or3_b32 v58, v59, v60, v58
.LBB4_482:                              ;   in Loop: Header=BB4_130 Depth=2
	s_or_b32 exec_lo, exec_lo, s27
	v_add_f32_e32 v58, v57, v58
	v_and_b32_e32 v57, 0x7f800000, v58
	v_cmp_ne_u32_e32 vcc_lo, 0x7f800000, v57
	v_mov_b32_e32 v57, 0x8000
	s_and_saveexec_b32 s27, vcc_lo
	s_cbranch_execz .LBB4_490
; %bb.483:                              ;   in Loop: Header=BB4_130 Depth=2
	v_mov_b32_e32 v57, 0
	s_mov_b32 s28, exec_lo
	v_cmpx_ne_u32_e32 0, v58
	s_cbranch_execz .LBB4_489
; %bb.484:                              ;   in Loop: Header=BB4_130 Depth=2
	v_bfe_u32 v57, v58, 23, 8
	v_and_b32_e32 v59, 0x7fffff, v58
	v_sub_nc_u32_e32 v60, 0x78, v57
	v_cmp_gt_u32_e32 vcc_lo, 0x79, v57
	v_or_b32_e32 v61, 0x800000, v59
	v_cndmask_b32_e32 v60, 0, v60, vcc_lo
	v_cmp_eq_u32_e32 vcc_lo, 0, v57
	v_add_nc_u32_e32 v57, 0xffffff89, v57
	v_cndmask_b32_e64 v60, v60, 0x77, vcc_lo
	v_cndmask_b32_e32 v59, v61, v59, vcc_lo
	v_cndmask_b32_e64 v57, v57, 0xffffff8a, vcc_lo
	v_lshl_add_u32 v61, 0x100000, v60, -1
	v_lshrrev_b32_e32 v62, v60, v59
	v_lshlrev_b32_e64 v72, v60, 0x80000
	v_add_nc_u32_e32 v60, v60, v57
	v_and_b32_e32 v59, v61, v59
	v_bfe_u32 v63, v62, 20, 1
	v_cmp_eq_u32_e64 s13, v59, v72
	v_add_nc_u32_e32 v61, -1, v63
	v_cndmask_b32_e64 v59, 0, v61, s13
	v_lshrrev_b32_e32 v61, 23, v62
	s_mov_b32 s13, exec_lo
	v_add_nc_u32_e32 v59, v59, v62
	v_xor_b32_e32 v61, 1, v61
	v_and_b32_e32 v57, 0xfffff, v59
	v_add_nc_u32_e32 v59, v57, v62
                                        ; implicit-def: $vgpr57
	v_cmpx_ne_u32_e64 v60, v61
	s_xor_b32 s13, exec_lo, s13
; %bb.485:                              ;   in Loop: Header=BB4_130 Depth=2
	v_cmp_lt_u32_e32 vcc_lo, 0xffffff, v59
	v_sub_nc_u32_e32 v57, v60, v61
	v_cndmask_b32_e64 v60, 0, 1, vcc_lo
	v_add_co_ci_u32_e64 v57, null, 0, v57, vcc_lo
	v_lshrrev_b32_e32 v59, v60, v59
; %bb.486:                              ;   in Loop: Header=BB4_130 Depth=2
	s_andn2_saveexec_b32 s13, s13
; %bb.487:                              ;   in Loop: Header=BB4_130 Depth=2
	v_bfe_u32 v57, v59, 23, 1
; %bb.488:                              ;   in Loop: Header=BB4_130 Depth=2
	s_or_b32 exec_lo, exec_lo, s13
	v_lshrrev_b32_e32 v59, 20, v59
	v_min_i32_e32 v60, 15, v57
	v_cmp_gt_i32_e32 vcc_lo, 16, v57
	v_and_b32_sdwa v58, v58, v114 dst_sel:DWORD dst_unused:UNUSED_PAD src0_sel:BYTE_3 src1_sel:DWORD
	v_lshlrev_b32_e32 v60, 3, v60
	v_cndmask_b32_e32 v59, 7, v59, vcc_lo
	v_and_b32_e32 v60, 0xf8, v60
	v_and_b32_e32 v61, 7, v59
	v_or_b32_e32 v57, v57, v59
	v_or3_b32 v58, v58, v60, v61
	v_cmp_ne_u32_e32 vcc_lo, 0, v57
	v_lshlrev_b32_e32 v58, 8, v58
	v_cndmask_b32_e32 v57, 0, v58, vcc_lo
.LBB4_489:                              ;   in Loop: Header=BB4_130 Depth=2
	s_or_b32 exec_lo, exec_lo, s28
.LBB4_490:                              ;   in Loop: Header=BB4_130 Depth=2
	s_or_b32 exec_lo, exec_lo, s27
	v_and_b32_sdwa v59, v14, v117 dst_sel:DWORD dst_unused:UNUSED_PAD src0_sel:WORD_1 src1_sel:DWORD
	s_mov_b32 s13, 0
	s_mov_b32 s27, exec_lo
	v_cmpx_lt_i16_e32 0x7f, v59
	s_xor_b32 s27, exec_lo, s27
	s_cbranch_execz .LBB4_840
; %bb.491:                              ;   in Loop: Header=BB4_130 Depth=2
	s_mov_b32 s13, -1
	s_mov_b32 s28, exec_lo
	v_cmpx_eq_u16_e32 0x80, v59
; %bb.492:                              ;   in Loop: Header=BB4_130 Depth=2
	s_xor_b32 s13, exec_lo, -1
; %bb.493:                              ;   in Loop: Header=BB4_130 Depth=2
	s_or_b32 exec_lo, exec_lo, s28
	s_and_b32 s13, s13, exec_lo
                                        ; implicit-def: $vgpr59
	s_or_saveexec_b32 s27, s27
	v_mov_b32_e32 v58, 0x7f800001
	s_xor_b32 exec_lo, exec_lo, s27
	s_cbranch_execnz .LBB4_841
.LBB4_494:                              ;   in Loop: Header=BB4_130 Depth=2
	s_or_b32 exec_lo, exec_lo, s27
	s_and_saveexec_b32 s27, s13
	s_cbranch_execz .LBB4_496
.LBB4_495:                              ;   in Loop: Header=BB4_130 Depth=2
	v_bfe_u32 v58, v14, 16, 3
	v_bfe_u32 v61, v14, 19, 4
	v_lshlrev_b32_e32 v62, 8, v14
	v_ffbh_u32_e32 v59, v58
	v_cmp_eq_u32_e32 vcc_lo, 0, v61
	v_min_u32_e32 v59, 32, v59
	v_subrev_nc_u32_e32 v60, 28, v59
	v_sub_nc_u32_e32 v59, 29, v59
	v_lshlrev_b32_sdwa v60, v60, v14 dst_sel:DWORD dst_unused:UNUSED_PAD src0_sel:DWORD src1_sel:WORD_1
	v_cndmask_b32_e32 v59, v61, v59, vcc_lo
	v_and_b32_e32 v60, 7, v60
	v_lshl_add_u32 v59, v59, 23, 0x3b800000
	v_cndmask_b32_e32 v58, v58, v60, vcc_lo
	v_and_b32_e32 v60, 0x80000000, v62
	v_lshlrev_b32_e32 v58, 20, v58
	v_or3_b32 v58, v60, v59, v58
.LBB4_496:                              ;   in Loop: Header=BB4_130 Depth=2
	s_or_b32 exec_lo, exec_lo, s27
	v_and_b32_sdwa v60, v10, v117 dst_sel:DWORD dst_unused:UNUSED_PAD src0_sel:WORD_1 src1_sel:DWORD
	s_mov_b32 s13, 0
	s_mov_b32 s27, exec_lo
	v_cmpx_lt_i16_e32 0x7f, v60
	s_xor_b32 s27, exec_lo, s27
	s_cbranch_execz .LBB4_842
; %bb.497:                              ;   in Loop: Header=BB4_130 Depth=2
	s_mov_b32 s13, -1
	s_mov_b32 s28, exec_lo
	v_cmpx_eq_u16_e32 0x80, v60
; %bb.498:                              ;   in Loop: Header=BB4_130 Depth=2
	s_xor_b32 s13, exec_lo, -1
; %bb.499:                              ;   in Loop: Header=BB4_130 Depth=2
	s_or_b32 exec_lo, exec_lo, s28
	s_and_b32 s13, s13, exec_lo
                                        ; implicit-def: $vgpr60
	s_or_saveexec_b32 s27, s27
	v_mov_b32_e32 v59, 0x7f800001
	s_xor_b32 exec_lo, exec_lo, s27
	s_cbranch_execnz .LBB4_843
.LBB4_500:                              ;   in Loop: Header=BB4_130 Depth=2
	s_or_b32 exec_lo, exec_lo, s27
	s_and_saveexec_b32 s27, s13
	s_cbranch_execz .LBB4_502
.LBB4_501:                              ;   in Loop: Header=BB4_130 Depth=2
	v_bfe_u32 v59, v10, 16, 3
	v_bfe_u32 v62, v10, 19, 4
	v_lshlrev_b32_e32 v63, 8, v10
	v_ffbh_u32_e32 v60, v59
	v_cmp_eq_u32_e32 vcc_lo, 0, v62
	v_min_u32_e32 v60, 32, v60
	v_subrev_nc_u32_e32 v61, 28, v60
	v_sub_nc_u32_e32 v60, 29, v60
	v_lshlrev_b32_sdwa v61, v61, v10 dst_sel:DWORD dst_unused:UNUSED_PAD src0_sel:DWORD src1_sel:WORD_1
	v_cndmask_b32_e32 v60, v62, v60, vcc_lo
	v_and_b32_e32 v61, 7, v61
	v_lshl_add_u32 v60, v60, 23, 0x3b800000
	v_cndmask_b32_e32 v59, v59, v61, vcc_lo
	v_and_b32_e32 v61, 0x80000000, v63
	v_lshlrev_b32_e32 v59, 20, v59
	v_or3_b32 v59, v61, v60, v59
.LBB4_502:                              ;   in Loop: Header=BB4_130 Depth=2
	s_or_b32 exec_lo, exec_lo, s27
	v_add_f32_e32 v59, v58, v59
	v_and_b32_e32 v58, 0x7f800000, v59
	v_cmp_ne_u32_e32 vcc_lo, 0x7f800000, v58
	v_mov_b32_e32 v58, 0x80
	s_and_saveexec_b32 s27, vcc_lo
	s_cbranch_execz .LBB4_510
; %bb.503:                              ;   in Loop: Header=BB4_130 Depth=2
	v_mov_b32_e32 v58, 0
	s_mov_b32 s28, exec_lo
	v_cmpx_ne_u32_e32 0, v59
	s_cbranch_execz .LBB4_509
; %bb.504:                              ;   in Loop: Header=BB4_130 Depth=2
	v_bfe_u32 v58, v59, 23, 8
	v_and_b32_e32 v60, 0x7fffff, v59
	v_sub_nc_u32_e32 v61, 0x78, v58
	v_cmp_gt_u32_e32 vcc_lo, 0x79, v58
	v_or_b32_e32 v62, 0x800000, v60
	v_cndmask_b32_e32 v61, 0, v61, vcc_lo
	v_cmp_eq_u32_e32 vcc_lo, 0, v58
	v_add_nc_u32_e32 v58, 0xffffff89, v58
	v_cndmask_b32_e64 v61, v61, 0x77, vcc_lo
	v_cndmask_b32_e32 v60, v62, v60, vcc_lo
	v_cndmask_b32_e64 v58, v58, 0xffffff8a, vcc_lo
	v_lshl_add_u32 v62, 0x100000, v61, -1
	v_lshrrev_b32_e32 v63, v61, v60
	v_lshlrev_b32_e64 v73, v61, 0x80000
	v_add_nc_u32_e32 v61, v61, v58
	v_and_b32_e32 v60, v62, v60
	v_bfe_u32 v72, v63, 20, 1
	v_cmp_eq_u32_e64 s13, v60, v73
	v_add_nc_u32_e32 v62, -1, v72
	v_cndmask_b32_e64 v60, 0, v62, s13
	v_lshrrev_b32_e32 v62, 23, v63
	s_mov_b32 s13, exec_lo
	v_add_nc_u32_e32 v60, v60, v63
	v_xor_b32_e32 v62, 1, v62
	v_and_b32_e32 v58, 0xfffff, v60
	v_add_nc_u32_e32 v60, v58, v63
                                        ; implicit-def: $vgpr58
	v_cmpx_ne_u32_e64 v61, v62
	s_xor_b32 s13, exec_lo, s13
; %bb.505:                              ;   in Loop: Header=BB4_130 Depth=2
	v_cmp_lt_u32_e32 vcc_lo, 0xffffff, v60
	v_sub_nc_u32_e32 v58, v61, v62
	v_cndmask_b32_e64 v61, 0, 1, vcc_lo
	v_add_co_ci_u32_e64 v58, null, 0, v58, vcc_lo
	v_lshrrev_b32_e32 v60, v61, v60
; %bb.506:                              ;   in Loop: Header=BB4_130 Depth=2
	s_andn2_saveexec_b32 s13, s13
; %bb.507:                              ;   in Loop: Header=BB4_130 Depth=2
	v_bfe_u32 v58, v60, 23, 1
; %bb.508:                              ;   in Loop: Header=BB4_130 Depth=2
	s_or_b32 exec_lo, exec_lo, s13
	v_lshrrev_b32_e32 v60, 20, v60
	v_min_i32_e32 v61, 15, v58
	v_cmp_gt_i32_e32 vcc_lo, 16, v58
	v_and_b32_sdwa v59, v59, v114 dst_sel:DWORD dst_unused:UNUSED_PAD src0_sel:BYTE_3 src1_sel:DWORD
	v_lshlrev_b32_e32 v61, 3, v61
	v_cndmask_b32_e32 v60, 7, v60, vcc_lo
	v_and_b32_e32 v61, 0xf8, v61
	v_and_b32_e32 v62, 7, v60
	v_or_b32_e32 v58, v58, v60
	v_or3_b32 v59, v61, v59, v62
	v_cmp_ne_u32_e32 vcc_lo, 0, v58
	v_cndmask_b32_e32 v58, 0, v59, vcc_lo
.LBB4_509:                              ;   in Loop: Header=BB4_130 Depth=2
	s_or_b32 exec_lo, exec_lo, s28
.LBB4_510:                              ;   in Loop: Header=BB4_130 Depth=2
	s_or_b32 exec_lo, exec_lo, s27
	v_cmp_gt_i16_sdwa s27, v14, v101 src0_sel:BYTE_3 src1_sel:DWORD
	s_mov_b32 s13, 0
	s_and_saveexec_b32 s28, s27
	s_xor_b32 s27, exec_lo, s28
	s_cbranch_execz .LBB4_844
; %bb.511:                              ;   in Loop: Header=BB4_130 Depth=2
	v_cmp_eq_u16_sdwa s29, v14, v114 src0_sel:BYTE_3 src1_sel:DWORD
	s_mov_b32 s13, -1
	s_and_saveexec_b32 s28, s29
; %bb.512:                              ;   in Loop: Header=BB4_130 Depth=2
	s_xor_b32 s13, exec_lo, -1
; %bb.513:                              ;   in Loop: Header=BB4_130 Depth=2
	s_or_b32 exec_lo, exec_lo, s28
	s_and_b32 s13, s13, exec_lo
	s_or_saveexec_b32 s27, s27
	v_mov_b32_e32 v59, 0x7f800001
	s_xor_b32 exec_lo, exec_lo, s27
	s_cbranch_execnz .LBB4_845
.LBB4_514:                              ;   in Loop: Header=BB4_130 Depth=2
	s_or_b32 exec_lo, exec_lo, s27
	s_and_saveexec_b32 s27, s13
	s_cbranch_execz .LBB4_516
.LBB4_515:                              ;   in Loop: Header=BB4_130 Depth=2
	v_bfe_u32 v59, v14, 24, 3
	v_bfe_u32 v62, v14, 27, 4
	v_ffbh_u32_e32 v60, v59
	v_cmp_eq_u32_e32 vcc_lo, 0, v62
	v_min_u32_e32 v60, 32, v60
	v_subrev_nc_u32_e32 v61, 28, v60
	v_sub_nc_u32_e32 v60, 29, v60
	v_lshlrev_b32_sdwa v61, v61, v14 dst_sel:DWORD dst_unused:UNUSED_PAD src0_sel:DWORD src1_sel:BYTE_3
	v_cndmask_b32_e32 v60, v62, v60, vcc_lo
	v_and_b32_e32 v14, 0x80000000, v14
	v_and_b32_e32 v61, 7, v61
	v_lshl_add_u32 v60, v60, 23, 0x3b800000
	v_cndmask_b32_e32 v59, v59, v61, vcc_lo
	v_lshlrev_b32_e32 v59, 20, v59
	v_or3_b32 v59, v14, v60, v59
.LBB4_516:                              ;   in Loop: Header=BB4_130 Depth=2
	s_or_b32 exec_lo, exec_lo, s27
	v_cmp_gt_i16_sdwa s27, v10, v101 src0_sel:BYTE_3 src1_sel:DWORD
	s_mov_b32 s13, 0
	s_and_saveexec_b32 s28, s27
	s_xor_b32 s27, exec_lo, s28
	s_cbranch_execz .LBB4_846
; %bb.517:                              ;   in Loop: Header=BB4_130 Depth=2
	v_cmp_eq_u16_sdwa s29, v10, v114 src0_sel:BYTE_3 src1_sel:DWORD
	s_mov_b32 s13, -1
	s_and_saveexec_b32 s28, s29
; %bb.518:                              ;   in Loop: Header=BB4_130 Depth=2
	s_xor_b32 s13, exec_lo, -1
; %bb.519:                              ;   in Loop: Header=BB4_130 Depth=2
	s_or_b32 exec_lo, exec_lo, s28
	s_and_b32 s13, s13, exec_lo
	s_or_saveexec_b32 s27, s27
	v_mov_b32_e32 v14, 0x7f800001
	s_xor_b32 exec_lo, exec_lo, s27
	s_cbranch_execnz .LBB4_847
.LBB4_520:                              ;   in Loop: Header=BB4_130 Depth=2
	s_or_b32 exec_lo, exec_lo, s27
	s_and_saveexec_b32 s27, s13
	s_cbranch_execz .LBB4_522
.LBB4_521:                              ;   in Loop: Header=BB4_130 Depth=2
	v_bfe_u32 v14, v10, 24, 3
	v_bfe_u32 v62, v10, 27, 4
	v_ffbh_u32_e32 v60, v14
	v_cmp_eq_u32_e32 vcc_lo, 0, v62
	v_min_u32_e32 v60, 32, v60
	v_subrev_nc_u32_e32 v61, 28, v60
	v_sub_nc_u32_e32 v60, 29, v60
	v_lshlrev_b32_sdwa v61, v61, v10 dst_sel:DWORD dst_unused:UNUSED_PAD src0_sel:DWORD src1_sel:BYTE_3
	v_cndmask_b32_e32 v60, v62, v60, vcc_lo
	v_and_b32_e32 v10, 0x80000000, v10
	v_and_b32_e32 v61, 7, v61
	v_lshl_add_u32 v60, v60, 23, 0x3b800000
	v_cndmask_b32_e32 v14, v14, v61, vcc_lo
	v_lshlrev_b32_e32 v14, 20, v14
	v_or3_b32 v14, v10, v60, v14
.LBB4_522:                              ;   in Loop: Header=BB4_130 Depth=2
	s_or_b32 exec_lo, exec_lo, s27
	v_add_f32_e32 v14, v59, v14
	v_and_b32_e32 v10, 0x7f800000, v14
	v_cmp_ne_u32_e32 vcc_lo, 0x7f800000, v10
	v_mov_b32_e32 v10, 0x8000
	s_and_saveexec_b32 s27, vcc_lo
	s_cbranch_execz .LBB4_530
; %bb.523:                              ;   in Loop: Header=BB4_130 Depth=2
	v_mov_b32_e32 v10, 0
	s_mov_b32 s28, exec_lo
	v_cmpx_ne_u32_e32 0, v14
	s_cbranch_execz .LBB4_529
; %bb.524:                              ;   in Loop: Header=BB4_130 Depth=2
	v_bfe_u32 v10, v14, 23, 8
	v_and_b32_e32 v59, 0x7fffff, v14
	v_sub_nc_u32_e32 v60, 0x78, v10
	v_cmp_gt_u32_e32 vcc_lo, 0x79, v10
	v_or_b32_e32 v61, 0x800000, v59
	v_cndmask_b32_e32 v60, 0, v60, vcc_lo
	v_cmp_eq_u32_e32 vcc_lo, 0, v10
	v_add_nc_u32_e32 v10, 0xffffff89, v10
	v_cndmask_b32_e64 v60, v60, 0x77, vcc_lo
	v_cndmask_b32_e32 v59, v61, v59, vcc_lo
	v_cndmask_b32_e64 v10, v10, 0xffffff8a, vcc_lo
	v_lshl_add_u32 v61, 0x100000, v60, -1
	v_lshrrev_b32_e32 v62, v60, v59
	v_lshlrev_b32_e64 v72, v60, 0x80000
	v_add_nc_u32_e32 v60, v60, v10
	v_and_b32_e32 v59, v61, v59
	v_bfe_u32 v63, v62, 20, 1
	v_cmp_eq_u32_e64 s13, v59, v72
	v_add_nc_u32_e32 v61, -1, v63
	v_cndmask_b32_e64 v59, 0, v61, s13
	v_lshrrev_b32_e32 v61, 23, v62
	s_mov_b32 s13, exec_lo
	v_add_nc_u32_e32 v59, v59, v62
	v_xor_b32_e32 v61, 1, v61
	v_and_b32_e32 v10, 0xfffff, v59
	v_add_nc_u32_e32 v59, v10, v62
                                        ; implicit-def: $vgpr10
	v_cmpx_ne_u32_e64 v60, v61
	s_xor_b32 s13, exec_lo, s13
; %bb.525:                              ;   in Loop: Header=BB4_130 Depth=2
	v_cmp_lt_u32_e32 vcc_lo, 0xffffff, v59
	v_sub_nc_u32_e32 v10, v60, v61
	v_cndmask_b32_e64 v60, 0, 1, vcc_lo
	v_add_co_ci_u32_e64 v10, null, 0, v10, vcc_lo
	v_lshrrev_b32_e32 v59, v60, v59
; %bb.526:                              ;   in Loop: Header=BB4_130 Depth=2
	s_andn2_saveexec_b32 s13, s13
; %bb.527:                              ;   in Loop: Header=BB4_130 Depth=2
	v_bfe_u32 v10, v59, 23, 1
; %bb.528:                              ;   in Loop: Header=BB4_130 Depth=2
	s_or_b32 exec_lo, exec_lo, s13
	v_lshrrev_b32_e32 v59, 20, v59
	v_min_i32_e32 v60, 15, v10
	v_cmp_gt_i32_e32 vcc_lo, 16, v10
	v_and_b32_sdwa v14, v14, v114 dst_sel:DWORD dst_unused:UNUSED_PAD src0_sel:BYTE_3 src1_sel:DWORD
	v_lshlrev_b32_e32 v60, 3, v60
	v_cndmask_b32_e32 v59, 7, v59, vcc_lo
	v_and_b32_e32 v60, 0xf8, v60
	v_and_b32_e32 v61, 7, v59
	v_or_b32_e32 v10, v10, v59
	v_or3_b32 v14, v14, v60, v61
	v_cmp_ne_u32_e32 vcc_lo, 0, v10
	v_lshlrev_b32_e32 v14, 8, v14
	v_cndmask_b32_e32 v10, 0, v14, vcc_lo
.LBB4_529:                              ;   in Loop: Header=BB4_130 Depth=2
	s_or_b32 exec_lo, exec_lo, s28
.LBB4_530:                              ;   in Loop: Header=BB4_130 Depth=2
	s_or_b32 exec_lo, exec_lo, s27
	v_cmp_gt_i16_sdwa s27, v15, v101 src0_sel:BYTE_0 src1_sel:DWORD
	s_mov_b32 s13, 0
	s_and_saveexec_b32 s28, s27
	s_xor_b32 s27, exec_lo, s28
	s_cbranch_execz .LBB4_848
; %bb.531:                              ;   in Loop: Header=BB4_130 Depth=2
	v_cmp_eq_u16_sdwa s29, v15, v114 src0_sel:BYTE_0 src1_sel:DWORD
	s_mov_b32 s13, -1
	s_and_saveexec_b32 s28, s29
; %bb.532:                              ;   in Loop: Header=BB4_130 Depth=2
	s_xor_b32 s13, exec_lo, -1
; %bb.533:                              ;   in Loop: Header=BB4_130 Depth=2
	s_or_b32 exec_lo, exec_lo, s28
	s_and_b32 s13, s13, exec_lo
	s_or_saveexec_b32 s27, s27
	v_mov_b32_e32 v14, 0x7f800001
	s_xor_b32 exec_lo, exec_lo, s27
	s_cbranch_execnz .LBB4_849
.LBB4_534:                              ;   in Loop: Header=BB4_130 Depth=2
	s_or_b32 exec_lo, exec_lo, s27
	s_and_saveexec_b32 s27, s13
	s_cbranch_execz .LBB4_536
.LBB4_535:                              ;   in Loop: Header=BB4_130 Depth=2
	v_and_b32_e32 v14, 7, v15
	v_bfe_u32 v61, v15, 3, 4
	v_lshlrev_b32_e32 v62, 24, v15
	v_ffbh_u32_e32 v59, v14
	v_cmp_eq_u32_e32 vcc_lo, 0, v61
	v_min_u32_e32 v59, 32, v59
	v_subrev_nc_u32_e32 v60, 28, v59
	v_sub_nc_u32_e32 v59, 29, v59
	v_lshlrev_b32_e32 v60, v60, v15
	v_cndmask_b32_e32 v59, v61, v59, vcc_lo
	v_and_b32_e32 v60, 7, v60
	v_lshl_add_u32 v59, v59, 23, 0x3b800000
	v_cndmask_b32_e32 v14, v14, v60, vcc_lo
	v_and_b32_e32 v60, 0x80000000, v62
	v_lshlrev_b32_e32 v14, 20, v14
	v_or3_b32 v14, v60, v59, v14
.LBB4_536:                              ;   in Loop: Header=BB4_130 Depth=2
	s_or_b32 exec_lo, exec_lo, s27
	v_cmp_gt_i16_sdwa s27, v11, v101 src0_sel:BYTE_0 src1_sel:DWORD
	s_mov_b32 s13, 0
	s_and_saveexec_b32 s28, s27
	s_xor_b32 s27, exec_lo, s28
	s_cbranch_execz .LBB4_850
; %bb.537:                              ;   in Loop: Header=BB4_130 Depth=2
	v_cmp_eq_u16_sdwa s29, v11, v114 src0_sel:BYTE_0 src1_sel:DWORD
	s_mov_b32 s13, -1
	s_and_saveexec_b32 s28, s29
; %bb.538:                              ;   in Loop: Header=BB4_130 Depth=2
	s_xor_b32 s13, exec_lo, -1
; %bb.539:                              ;   in Loop: Header=BB4_130 Depth=2
	s_or_b32 exec_lo, exec_lo, s28
	s_and_b32 s13, s13, exec_lo
	s_or_saveexec_b32 s27, s27
	v_mov_b32_e32 v59, 0x7f800001
	s_xor_b32 exec_lo, exec_lo, s27
	s_cbranch_execnz .LBB4_851
.LBB4_540:                              ;   in Loop: Header=BB4_130 Depth=2
	s_or_b32 exec_lo, exec_lo, s27
	s_and_saveexec_b32 s27, s13
	s_cbranch_execz .LBB4_542
.LBB4_541:                              ;   in Loop: Header=BB4_130 Depth=2
	v_and_b32_e32 v59, 7, v11
	v_bfe_u32 v62, v11, 3, 4
	v_lshlrev_b32_e32 v63, 24, v11
	v_ffbh_u32_e32 v60, v59
	v_cmp_eq_u32_e32 vcc_lo, 0, v62
	v_min_u32_e32 v60, 32, v60
	v_subrev_nc_u32_e32 v61, 28, v60
	v_sub_nc_u32_e32 v60, 29, v60
	v_lshlrev_b32_e32 v61, v61, v11
	v_cndmask_b32_e32 v60, v62, v60, vcc_lo
	v_and_b32_e32 v61, 7, v61
	v_lshl_add_u32 v60, v60, 23, 0x3b800000
	v_cndmask_b32_e32 v59, v59, v61, vcc_lo
	v_and_b32_e32 v61, 0x80000000, v63
	v_lshlrev_b32_e32 v59, 20, v59
	v_or3_b32 v59, v61, v60, v59
.LBB4_542:                              ;   in Loop: Header=BB4_130 Depth=2
	s_or_b32 exec_lo, exec_lo, s27
	v_add_f32_e32 v59, v14, v59
	v_and_b32_e32 v14, 0x7f800000, v59
	v_cmp_ne_u32_e32 vcc_lo, 0x7f800000, v14
	v_mov_b32_e32 v14, 0x80
	s_and_saveexec_b32 s27, vcc_lo
	s_cbranch_execz .LBB4_550
; %bb.543:                              ;   in Loop: Header=BB4_130 Depth=2
	v_mov_b32_e32 v14, 0
	s_mov_b32 s28, exec_lo
	v_cmpx_ne_u32_e32 0, v59
	s_cbranch_execz .LBB4_549
; %bb.544:                              ;   in Loop: Header=BB4_130 Depth=2
	v_bfe_u32 v14, v59, 23, 8
	v_and_b32_e32 v60, 0x7fffff, v59
	v_sub_nc_u32_e32 v61, 0x78, v14
	v_cmp_gt_u32_e32 vcc_lo, 0x79, v14
	v_or_b32_e32 v62, 0x800000, v60
	v_cndmask_b32_e32 v61, 0, v61, vcc_lo
	v_cmp_eq_u32_e32 vcc_lo, 0, v14
	v_add_nc_u32_e32 v14, 0xffffff89, v14
	v_cndmask_b32_e64 v61, v61, 0x77, vcc_lo
	v_cndmask_b32_e32 v60, v62, v60, vcc_lo
	v_cndmask_b32_e64 v14, v14, 0xffffff8a, vcc_lo
	v_lshl_add_u32 v62, 0x100000, v61, -1
	v_lshrrev_b32_e32 v63, v61, v60
	v_lshlrev_b32_e64 v73, v61, 0x80000
	v_add_nc_u32_e32 v61, v61, v14
	v_and_b32_e32 v60, v62, v60
	v_bfe_u32 v72, v63, 20, 1
	v_cmp_eq_u32_e64 s13, v60, v73
	v_add_nc_u32_e32 v62, -1, v72
	v_cndmask_b32_e64 v60, 0, v62, s13
	v_lshrrev_b32_e32 v62, 23, v63
	s_mov_b32 s13, exec_lo
	v_add_nc_u32_e32 v60, v60, v63
	v_xor_b32_e32 v62, 1, v62
	v_and_b32_e32 v14, 0xfffff, v60
	v_add_nc_u32_e32 v60, v14, v63
                                        ; implicit-def: $vgpr14
	v_cmpx_ne_u32_e64 v61, v62
	s_xor_b32 s13, exec_lo, s13
; %bb.545:                              ;   in Loop: Header=BB4_130 Depth=2
	v_cmp_lt_u32_e32 vcc_lo, 0xffffff, v60
	v_sub_nc_u32_e32 v14, v61, v62
	v_cndmask_b32_e64 v61, 0, 1, vcc_lo
	v_add_co_ci_u32_e64 v14, null, 0, v14, vcc_lo
	v_lshrrev_b32_e32 v60, v61, v60
; %bb.546:                              ;   in Loop: Header=BB4_130 Depth=2
	s_andn2_saveexec_b32 s13, s13
; %bb.547:                              ;   in Loop: Header=BB4_130 Depth=2
	v_bfe_u32 v14, v60, 23, 1
; %bb.548:                              ;   in Loop: Header=BB4_130 Depth=2
	s_or_b32 exec_lo, exec_lo, s13
	v_lshrrev_b32_e32 v60, 20, v60
	v_min_i32_e32 v61, 15, v14
	v_cmp_gt_i32_e32 vcc_lo, 16, v14
	v_and_b32_sdwa v59, v59, v114 dst_sel:DWORD dst_unused:UNUSED_PAD src0_sel:BYTE_3 src1_sel:DWORD
	v_lshlrev_b32_e32 v61, 3, v61
	v_cndmask_b32_e32 v60, 7, v60, vcc_lo
	v_and_b32_e32 v61, 0xf8, v61
	v_and_b32_e32 v62, 7, v60
	v_or_b32_e32 v14, v14, v60
	v_or3_b32 v59, v61, v59, v62
	v_cmp_ne_u32_e32 vcc_lo, 0, v14
	v_cndmask_b32_e32 v14, 0, v59, vcc_lo
.LBB4_549:                              ;   in Loop: Header=BB4_130 Depth=2
	s_or_b32 exec_lo, exec_lo, s28
.LBB4_550:                              ;   in Loop: Header=BB4_130 Depth=2
	s_or_b32 exec_lo, exec_lo, s27
	v_cmp_gt_i16_sdwa s27, v15, v101 src0_sel:BYTE_1 src1_sel:DWORD
	s_mov_b32 s13, 0
	s_and_saveexec_b32 s28, s27
	s_xor_b32 s27, exec_lo, s28
	s_cbranch_execz .LBB4_852
; %bb.551:                              ;   in Loop: Header=BB4_130 Depth=2
	v_cmp_eq_u16_sdwa s29, v15, v114 src0_sel:BYTE_1 src1_sel:DWORD
	s_mov_b32 s13, -1
	s_and_saveexec_b32 s28, s29
; %bb.552:                              ;   in Loop: Header=BB4_130 Depth=2
	s_xor_b32 s13, exec_lo, -1
; %bb.553:                              ;   in Loop: Header=BB4_130 Depth=2
	s_or_b32 exec_lo, exec_lo, s28
	s_and_b32 s13, s13, exec_lo
	s_or_saveexec_b32 s27, s27
	v_mov_b32_e32 v59, 0x7f800001
	s_xor_b32 exec_lo, exec_lo, s27
	s_cbranch_execnz .LBB4_853
.LBB4_554:                              ;   in Loop: Header=BB4_130 Depth=2
	s_or_b32 exec_lo, exec_lo, s27
	s_and_saveexec_b32 s27, s13
	s_cbranch_execz .LBB4_556
.LBB4_555:                              ;   in Loop: Header=BB4_130 Depth=2
	v_and_b32_sdwa v59, v115, v15 dst_sel:DWORD dst_unused:UNUSED_PAD src0_sel:DWORD src1_sel:BYTE_1
	v_and_b32_e32 v60, 7, v59
	v_bfe_u32 v63, v59, 3, 4
	v_ffbh_u32_e32 v61, v60
	v_cmp_eq_u32_e32 vcc_lo, 0, v63
	v_min_u32_e32 v61, 32, v61
	v_subrev_nc_u32_e32 v62, 28, v61
	v_sub_nc_u32_e32 v61, 29, v61
	v_lshlrev_b32_e32 v59, v62, v59
	v_lshlrev_b32_sdwa v62, v116, v15 dst_sel:DWORD dst_unused:UNUSED_PAD src0_sel:DWORD src1_sel:BYTE_1
	v_cndmask_b32_e32 v61, v63, v61, vcc_lo
	v_and_b32_e32 v59, 7, v59
	v_lshl_add_u32 v61, v61, 23, 0x3b800000
	v_cndmask_b32_e32 v59, v60, v59, vcc_lo
	v_and_b32_e32 v60, 0x80000000, v62
	v_lshlrev_b32_e32 v59, 20, v59
	v_or3_b32 v59, v60, v61, v59
.LBB4_556:                              ;   in Loop: Header=BB4_130 Depth=2
	s_or_b32 exec_lo, exec_lo, s27
	v_cmp_gt_i16_sdwa s27, v11, v101 src0_sel:BYTE_1 src1_sel:DWORD
	s_mov_b32 s13, 0
	s_and_saveexec_b32 s28, s27
	s_xor_b32 s27, exec_lo, s28
	s_cbranch_execz .LBB4_854
; %bb.557:                              ;   in Loop: Header=BB4_130 Depth=2
	v_cmp_eq_u16_sdwa s29, v11, v114 src0_sel:BYTE_1 src1_sel:DWORD
	s_mov_b32 s13, -1
	s_and_saveexec_b32 s28, s29
; %bb.558:                              ;   in Loop: Header=BB4_130 Depth=2
	s_xor_b32 s13, exec_lo, -1
; %bb.559:                              ;   in Loop: Header=BB4_130 Depth=2
	s_or_b32 exec_lo, exec_lo, s28
	s_and_b32 s13, s13, exec_lo
	s_or_saveexec_b32 s27, s27
	v_mov_b32_e32 v60, 0x7f800001
	s_xor_b32 exec_lo, exec_lo, s27
	s_cbranch_execnz .LBB4_855
.LBB4_560:                              ;   in Loop: Header=BB4_130 Depth=2
	s_or_b32 exec_lo, exec_lo, s27
	s_and_saveexec_b32 s27, s13
	s_cbranch_execz .LBB4_562
.LBB4_561:                              ;   in Loop: Header=BB4_130 Depth=2
	v_and_b32_sdwa v60, v115, v11 dst_sel:DWORD dst_unused:UNUSED_PAD src0_sel:DWORD src1_sel:BYTE_1
	v_and_b32_e32 v61, 7, v60
	v_bfe_u32 v72, v60, 3, 4
	v_ffbh_u32_e32 v62, v61
	v_cmp_eq_u32_e32 vcc_lo, 0, v72
	v_min_u32_e32 v62, 32, v62
	v_subrev_nc_u32_e32 v63, 28, v62
	v_sub_nc_u32_e32 v62, 29, v62
	v_lshlrev_b32_e32 v60, v63, v60
	v_lshlrev_b32_sdwa v63, v116, v11 dst_sel:DWORD dst_unused:UNUSED_PAD src0_sel:DWORD src1_sel:BYTE_1
	v_cndmask_b32_e32 v62, v72, v62, vcc_lo
	v_and_b32_e32 v60, 7, v60
	v_lshl_add_u32 v62, v62, 23, 0x3b800000
	v_cndmask_b32_e32 v60, v61, v60, vcc_lo
	v_and_b32_e32 v61, 0x80000000, v63
	v_lshlrev_b32_e32 v60, 20, v60
	v_or3_b32 v60, v61, v62, v60
.LBB4_562:                              ;   in Loop: Header=BB4_130 Depth=2
	s_or_b32 exec_lo, exec_lo, s27
	v_add_f32_e32 v60, v59, v60
	v_and_b32_e32 v59, 0x7f800000, v60
	v_cmp_ne_u32_e32 vcc_lo, 0x7f800000, v59
	v_mov_b32_e32 v59, 0x8000
	s_and_saveexec_b32 s27, vcc_lo
	s_cbranch_execz .LBB4_570
; %bb.563:                              ;   in Loop: Header=BB4_130 Depth=2
	v_mov_b32_e32 v59, 0
	s_mov_b32 s28, exec_lo
	v_cmpx_ne_u32_e32 0, v60
	s_cbranch_execz .LBB4_569
; %bb.564:                              ;   in Loop: Header=BB4_130 Depth=2
	v_bfe_u32 v59, v60, 23, 8
	v_and_b32_e32 v61, 0x7fffff, v60
	v_sub_nc_u32_e32 v62, 0x78, v59
	v_cmp_gt_u32_e32 vcc_lo, 0x79, v59
	v_or_b32_e32 v63, 0x800000, v61
	v_cndmask_b32_e32 v62, 0, v62, vcc_lo
	v_cmp_eq_u32_e32 vcc_lo, 0, v59
	v_add_nc_u32_e32 v59, 0xffffff89, v59
	v_cndmask_b32_e64 v62, v62, 0x77, vcc_lo
	v_cndmask_b32_e32 v61, v63, v61, vcc_lo
	v_cndmask_b32_e64 v59, v59, 0xffffff8a, vcc_lo
	v_lshl_add_u32 v63, 0x100000, v62, -1
	v_lshrrev_b32_e32 v72, v62, v61
	v_lshlrev_b32_e64 v74, v62, 0x80000
	v_add_nc_u32_e32 v62, v62, v59
	v_and_b32_e32 v61, v63, v61
	v_bfe_u32 v73, v72, 20, 1
	v_cmp_eq_u32_e64 s13, v61, v74
	v_add_nc_u32_e32 v63, -1, v73
	v_cndmask_b32_e64 v61, 0, v63, s13
	v_lshrrev_b32_e32 v63, 23, v72
	s_mov_b32 s13, exec_lo
	v_add_nc_u32_e32 v61, v61, v72
	v_xor_b32_e32 v63, 1, v63
	v_and_b32_e32 v59, 0xfffff, v61
	v_add_nc_u32_e32 v61, v59, v72
                                        ; implicit-def: $vgpr59
	v_cmpx_ne_u32_e64 v62, v63
	s_xor_b32 s13, exec_lo, s13
; %bb.565:                              ;   in Loop: Header=BB4_130 Depth=2
	v_cmp_lt_u32_e32 vcc_lo, 0xffffff, v61
	v_sub_nc_u32_e32 v59, v62, v63
	v_cndmask_b32_e64 v62, 0, 1, vcc_lo
	v_add_co_ci_u32_e64 v59, null, 0, v59, vcc_lo
	v_lshrrev_b32_e32 v61, v62, v61
; %bb.566:                              ;   in Loop: Header=BB4_130 Depth=2
	s_andn2_saveexec_b32 s13, s13
; %bb.567:                              ;   in Loop: Header=BB4_130 Depth=2
	v_bfe_u32 v59, v61, 23, 1
; %bb.568:                              ;   in Loop: Header=BB4_130 Depth=2
	s_or_b32 exec_lo, exec_lo, s13
	v_lshrrev_b32_e32 v61, 20, v61
	v_min_i32_e32 v62, 15, v59
	v_cmp_gt_i32_e32 vcc_lo, 16, v59
	v_and_b32_sdwa v60, v60, v114 dst_sel:DWORD dst_unused:UNUSED_PAD src0_sel:BYTE_3 src1_sel:DWORD
	v_lshlrev_b32_e32 v62, 3, v62
	v_cndmask_b32_e32 v61, 7, v61, vcc_lo
	v_and_b32_e32 v62, 0xf8, v62
	v_and_b32_e32 v63, 7, v61
	v_or_b32_e32 v59, v59, v61
	v_or3_b32 v60, v60, v62, v63
	v_cmp_ne_u32_e32 vcc_lo, 0, v59
	v_lshlrev_b32_e32 v60, 8, v60
	v_cndmask_b32_e32 v59, 0, v60, vcc_lo
.LBB4_569:                              ;   in Loop: Header=BB4_130 Depth=2
	s_or_b32 exec_lo, exec_lo, s28
.LBB4_570:                              ;   in Loop: Header=BB4_130 Depth=2
	s_or_b32 exec_lo, exec_lo, s27
	v_and_b32_sdwa v61, v15, v117 dst_sel:DWORD dst_unused:UNUSED_PAD src0_sel:WORD_1 src1_sel:DWORD
	s_mov_b32 s13, 0
	s_mov_b32 s27, exec_lo
	v_cmpx_lt_i16_e32 0x7f, v61
	s_xor_b32 s27, exec_lo, s27
	s_cbranch_execz .LBB4_856
; %bb.571:                              ;   in Loop: Header=BB4_130 Depth=2
	s_mov_b32 s13, -1
	s_mov_b32 s28, exec_lo
	v_cmpx_eq_u16_e32 0x80, v61
; %bb.572:                              ;   in Loop: Header=BB4_130 Depth=2
	s_xor_b32 s13, exec_lo, -1
; %bb.573:                              ;   in Loop: Header=BB4_130 Depth=2
	s_or_b32 exec_lo, exec_lo, s28
	s_and_b32 s13, s13, exec_lo
                                        ; implicit-def: $vgpr61
	s_or_saveexec_b32 s27, s27
	v_mov_b32_e32 v60, 0x7f800001
	s_xor_b32 exec_lo, exec_lo, s27
	s_cbranch_execnz .LBB4_857
.LBB4_574:                              ;   in Loop: Header=BB4_130 Depth=2
	s_or_b32 exec_lo, exec_lo, s27
	s_and_saveexec_b32 s27, s13
	s_cbranch_execz .LBB4_576
.LBB4_575:                              ;   in Loop: Header=BB4_130 Depth=2
	v_bfe_u32 v60, v15, 16, 3
	v_bfe_u32 v63, v15, 19, 4
	v_lshlrev_b32_e32 v72, 8, v15
	v_ffbh_u32_e32 v61, v60
	v_cmp_eq_u32_e32 vcc_lo, 0, v63
	v_min_u32_e32 v61, 32, v61
	v_subrev_nc_u32_e32 v62, 28, v61
	v_sub_nc_u32_e32 v61, 29, v61
	v_lshlrev_b32_sdwa v62, v62, v15 dst_sel:DWORD dst_unused:UNUSED_PAD src0_sel:DWORD src1_sel:WORD_1
	v_cndmask_b32_e32 v61, v63, v61, vcc_lo
	v_and_b32_e32 v62, 7, v62
	v_lshl_add_u32 v61, v61, 23, 0x3b800000
	v_cndmask_b32_e32 v60, v60, v62, vcc_lo
	v_and_b32_e32 v62, 0x80000000, v72
	v_lshlrev_b32_e32 v60, 20, v60
	v_or3_b32 v60, v62, v61, v60
.LBB4_576:                              ;   in Loop: Header=BB4_130 Depth=2
	s_or_b32 exec_lo, exec_lo, s27
	v_and_b32_sdwa v62, v11, v117 dst_sel:DWORD dst_unused:UNUSED_PAD src0_sel:WORD_1 src1_sel:DWORD
	s_mov_b32 s13, 0
	s_mov_b32 s27, exec_lo
	v_cmpx_lt_i16_e32 0x7f, v62
	s_xor_b32 s27, exec_lo, s27
	s_cbranch_execz .LBB4_858
; %bb.577:                              ;   in Loop: Header=BB4_130 Depth=2
	s_mov_b32 s13, -1
	s_mov_b32 s28, exec_lo
	v_cmpx_eq_u16_e32 0x80, v62
; %bb.578:                              ;   in Loop: Header=BB4_130 Depth=2
	s_xor_b32 s13, exec_lo, -1
; %bb.579:                              ;   in Loop: Header=BB4_130 Depth=2
	s_or_b32 exec_lo, exec_lo, s28
	s_and_b32 s13, s13, exec_lo
                                        ; implicit-def: $vgpr62
	s_or_saveexec_b32 s27, s27
	v_mov_b32_e32 v61, 0x7f800001
	s_xor_b32 exec_lo, exec_lo, s27
	s_cbranch_execnz .LBB4_859
.LBB4_580:                              ;   in Loop: Header=BB4_130 Depth=2
	s_or_b32 exec_lo, exec_lo, s27
	s_and_saveexec_b32 s27, s13
	s_cbranch_execz .LBB4_582
.LBB4_581:                              ;   in Loop: Header=BB4_130 Depth=2
	v_bfe_u32 v61, v11, 16, 3
	v_bfe_u32 v72, v11, 19, 4
	v_lshlrev_b32_e32 v73, 8, v11
	v_ffbh_u32_e32 v62, v61
	v_cmp_eq_u32_e32 vcc_lo, 0, v72
	v_min_u32_e32 v62, 32, v62
	v_subrev_nc_u32_e32 v63, 28, v62
	v_sub_nc_u32_e32 v62, 29, v62
	v_lshlrev_b32_sdwa v63, v63, v11 dst_sel:DWORD dst_unused:UNUSED_PAD src0_sel:DWORD src1_sel:WORD_1
	v_cndmask_b32_e32 v62, v72, v62, vcc_lo
	v_and_b32_e32 v63, 7, v63
	v_lshl_add_u32 v62, v62, 23, 0x3b800000
	v_cndmask_b32_e32 v61, v61, v63, vcc_lo
	v_and_b32_e32 v63, 0x80000000, v73
	v_lshlrev_b32_e32 v61, 20, v61
	v_or3_b32 v61, v63, v62, v61
.LBB4_582:                              ;   in Loop: Header=BB4_130 Depth=2
	s_or_b32 exec_lo, exec_lo, s27
	v_add_f32_e32 v61, v60, v61
	v_and_b32_e32 v60, 0x7f800000, v61
	v_cmp_ne_u32_e32 vcc_lo, 0x7f800000, v60
	v_mov_b32_e32 v60, 0x80
	s_and_saveexec_b32 s27, vcc_lo
	s_cbranch_execz .LBB4_590
; %bb.583:                              ;   in Loop: Header=BB4_130 Depth=2
	v_mov_b32_e32 v60, 0
	s_mov_b32 s28, exec_lo
	v_cmpx_ne_u32_e32 0, v61
	s_cbranch_execz .LBB4_589
; %bb.584:                              ;   in Loop: Header=BB4_130 Depth=2
	v_bfe_u32 v60, v61, 23, 8
	v_and_b32_e32 v62, 0x7fffff, v61
	v_sub_nc_u32_e32 v63, 0x78, v60
	v_cmp_gt_u32_e32 vcc_lo, 0x79, v60
	v_or_b32_e32 v72, 0x800000, v62
	v_cndmask_b32_e32 v63, 0, v63, vcc_lo
	v_cmp_eq_u32_e32 vcc_lo, 0, v60
	v_add_nc_u32_e32 v60, 0xffffff89, v60
	v_cndmask_b32_e64 v63, v63, 0x77, vcc_lo
	v_cndmask_b32_e32 v62, v72, v62, vcc_lo
	v_cndmask_b32_e64 v60, v60, 0xffffff8a, vcc_lo
	v_lshl_add_u32 v72, 0x100000, v63, -1
	v_lshrrev_b32_e32 v73, v63, v62
	v_lshlrev_b32_e64 v75, v63, 0x80000
	v_add_nc_u32_e32 v63, v63, v60
	v_and_b32_e32 v62, v72, v62
	v_bfe_u32 v74, v73, 20, 1
	v_cmp_eq_u32_e64 s13, v62, v75
	v_add_nc_u32_e32 v72, -1, v74
	v_cndmask_b32_e64 v62, 0, v72, s13
	v_lshrrev_b32_e32 v72, 23, v73
	s_mov_b32 s13, exec_lo
	v_add_nc_u32_e32 v62, v62, v73
	v_xor_b32_e32 v72, 1, v72
	v_and_b32_e32 v60, 0xfffff, v62
	v_add_nc_u32_e32 v62, v60, v73
                                        ; implicit-def: $vgpr60
	v_cmpx_ne_u32_e64 v63, v72
	s_xor_b32 s13, exec_lo, s13
; %bb.585:                              ;   in Loop: Header=BB4_130 Depth=2
	v_cmp_lt_u32_e32 vcc_lo, 0xffffff, v62
	v_sub_nc_u32_e32 v60, v63, v72
	v_cndmask_b32_e64 v63, 0, 1, vcc_lo
	v_add_co_ci_u32_e64 v60, null, 0, v60, vcc_lo
	v_lshrrev_b32_e32 v62, v63, v62
; %bb.586:                              ;   in Loop: Header=BB4_130 Depth=2
	s_andn2_saveexec_b32 s13, s13
; %bb.587:                              ;   in Loop: Header=BB4_130 Depth=2
	v_bfe_u32 v60, v62, 23, 1
; %bb.588:                              ;   in Loop: Header=BB4_130 Depth=2
	s_or_b32 exec_lo, exec_lo, s13
	v_lshrrev_b32_e32 v62, 20, v62
	v_min_i32_e32 v63, 15, v60
	v_cmp_gt_i32_e32 vcc_lo, 16, v60
	v_and_b32_sdwa v61, v61, v114 dst_sel:DWORD dst_unused:UNUSED_PAD src0_sel:BYTE_3 src1_sel:DWORD
	v_lshlrev_b32_e32 v63, 3, v63
	v_cndmask_b32_e32 v62, 7, v62, vcc_lo
	v_and_b32_e32 v63, 0xf8, v63
	v_and_b32_e32 v72, 7, v62
	v_or_b32_e32 v60, v60, v62
	v_or3_b32 v61, v63, v61, v72
	v_cmp_ne_u32_e32 vcc_lo, 0, v60
	v_cndmask_b32_e32 v60, 0, v61, vcc_lo
.LBB4_589:                              ;   in Loop: Header=BB4_130 Depth=2
	s_or_b32 exec_lo, exec_lo, s28
.LBB4_590:                              ;   in Loop: Header=BB4_130 Depth=2
	s_or_b32 exec_lo, exec_lo, s27
	v_cmp_gt_i16_sdwa s27, v15, v101 src0_sel:BYTE_3 src1_sel:DWORD
	s_mov_b32 s13, 0
	s_and_saveexec_b32 s28, s27
	s_xor_b32 s27, exec_lo, s28
	s_cbranch_execz .LBB4_860
; %bb.591:                              ;   in Loop: Header=BB4_130 Depth=2
	v_cmp_eq_u16_sdwa s29, v15, v114 src0_sel:BYTE_3 src1_sel:DWORD
	s_mov_b32 s13, -1
	s_and_saveexec_b32 s28, s29
; %bb.592:                              ;   in Loop: Header=BB4_130 Depth=2
	s_xor_b32 s13, exec_lo, -1
; %bb.593:                              ;   in Loop: Header=BB4_130 Depth=2
	s_or_b32 exec_lo, exec_lo, s28
	s_and_b32 s13, s13, exec_lo
	s_or_saveexec_b32 s27, s27
	v_mov_b32_e32 v61, 0x7f800001
	s_xor_b32 exec_lo, exec_lo, s27
	s_cbranch_execnz .LBB4_861
.LBB4_594:                              ;   in Loop: Header=BB4_130 Depth=2
	s_or_b32 exec_lo, exec_lo, s27
	s_and_saveexec_b32 s27, s13
	s_cbranch_execz .LBB4_596
.LBB4_595:                              ;   in Loop: Header=BB4_130 Depth=2
	v_bfe_u32 v61, v15, 24, 3
	v_bfe_u32 v72, v15, 27, 4
	v_ffbh_u32_e32 v62, v61
	v_cmp_eq_u32_e32 vcc_lo, 0, v72
	v_min_u32_e32 v62, 32, v62
	v_subrev_nc_u32_e32 v63, 28, v62
	v_sub_nc_u32_e32 v62, 29, v62
	v_lshlrev_b32_sdwa v63, v63, v15 dst_sel:DWORD dst_unused:UNUSED_PAD src0_sel:DWORD src1_sel:BYTE_3
	v_cndmask_b32_e32 v62, v72, v62, vcc_lo
	v_and_b32_e32 v15, 0x80000000, v15
	v_and_b32_e32 v63, 7, v63
	v_lshl_add_u32 v62, v62, 23, 0x3b800000
	v_cndmask_b32_e32 v61, v61, v63, vcc_lo
	v_lshlrev_b32_e32 v61, 20, v61
	v_or3_b32 v61, v15, v62, v61
.LBB4_596:                              ;   in Loop: Header=BB4_130 Depth=2
	s_or_b32 exec_lo, exec_lo, s27
	v_cmp_gt_i16_sdwa s27, v11, v101 src0_sel:BYTE_3 src1_sel:DWORD
	s_mov_b32 s13, 0
	s_and_saveexec_b32 s28, s27
	s_xor_b32 s27, exec_lo, s28
	s_cbranch_execz .LBB4_862
; %bb.597:                              ;   in Loop: Header=BB4_130 Depth=2
	v_cmp_eq_u16_sdwa s29, v11, v114 src0_sel:BYTE_3 src1_sel:DWORD
	s_mov_b32 s13, -1
	s_and_saveexec_b32 s28, s29
; %bb.598:                              ;   in Loop: Header=BB4_130 Depth=2
	s_xor_b32 s13, exec_lo, -1
; %bb.599:                              ;   in Loop: Header=BB4_130 Depth=2
	s_or_b32 exec_lo, exec_lo, s28
	s_and_b32 s13, s13, exec_lo
	s_or_saveexec_b32 s27, s27
	v_mov_b32_e32 v15, 0x7f800001
	s_xor_b32 exec_lo, exec_lo, s27
	s_cbranch_execnz .LBB4_863
.LBB4_600:                              ;   in Loop: Header=BB4_130 Depth=2
	s_or_b32 exec_lo, exec_lo, s27
	s_and_saveexec_b32 s27, s13
	s_cbranch_execz .LBB4_602
.LBB4_601:                              ;   in Loop: Header=BB4_130 Depth=2
	v_bfe_u32 v15, v11, 24, 3
	v_bfe_u32 v72, v11, 27, 4
	v_ffbh_u32_e32 v62, v15
	v_cmp_eq_u32_e32 vcc_lo, 0, v72
	v_min_u32_e32 v62, 32, v62
	v_subrev_nc_u32_e32 v63, 28, v62
	v_sub_nc_u32_e32 v62, 29, v62
	v_lshlrev_b32_sdwa v63, v63, v11 dst_sel:DWORD dst_unused:UNUSED_PAD src0_sel:DWORD src1_sel:BYTE_3
	v_cndmask_b32_e32 v62, v72, v62, vcc_lo
	v_and_b32_e32 v11, 0x80000000, v11
	v_and_b32_e32 v63, 7, v63
	v_lshl_add_u32 v62, v62, 23, 0x3b800000
	v_cndmask_b32_e32 v15, v15, v63, vcc_lo
	v_lshlrev_b32_e32 v15, 20, v15
	v_or3_b32 v15, v11, v62, v15
.LBB4_602:                              ;   in Loop: Header=BB4_130 Depth=2
	s_or_b32 exec_lo, exec_lo, s27
	v_add_f32_e32 v15, v61, v15
	v_and_b32_e32 v11, 0x7f800000, v15
	v_cmp_ne_u32_e32 vcc_lo, 0x7f800000, v11
	v_mov_b32_e32 v11, 0x8000
	s_and_saveexec_b32 s27, vcc_lo
	s_cbranch_execz .LBB4_610
; %bb.603:                              ;   in Loop: Header=BB4_130 Depth=2
	v_mov_b32_e32 v11, 0
	s_mov_b32 s28, exec_lo
	v_cmpx_ne_u32_e32 0, v15
	s_cbranch_execz .LBB4_609
; %bb.604:                              ;   in Loop: Header=BB4_130 Depth=2
	v_bfe_u32 v11, v15, 23, 8
	v_and_b32_e32 v61, 0x7fffff, v15
	v_sub_nc_u32_e32 v62, 0x78, v11
	v_cmp_gt_u32_e32 vcc_lo, 0x79, v11
	v_or_b32_e32 v63, 0x800000, v61
	v_cndmask_b32_e32 v62, 0, v62, vcc_lo
	v_cmp_eq_u32_e32 vcc_lo, 0, v11
	v_add_nc_u32_e32 v11, 0xffffff89, v11
	v_cndmask_b32_e64 v62, v62, 0x77, vcc_lo
	v_cndmask_b32_e32 v61, v63, v61, vcc_lo
	v_cndmask_b32_e64 v11, v11, 0xffffff8a, vcc_lo
	v_lshl_add_u32 v63, 0x100000, v62, -1
	v_lshrrev_b32_e32 v72, v62, v61
	v_lshlrev_b32_e64 v74, v62, 0x80000
	v_add_nc_u32_e32 v62, v62, v11
	v_and_b32_e32 v61, v63, v61
	v_bfe_u32 v73, v72, 20, 1
	v_cmp_eq_u32_e64 s13, v61, v74
	v_add_nc_u32_e32 v63, -1, v73
	v_cndmask_b32_e64 v61, 0, v63, s13
	v_lshrrev_b32_e32 v63, 23, v72
	s_mov_b32 s13, exec_lo
	v_add_nc_u32_e32 v61, v61, v72
	v_xor_b32_e32 v63, 1, v63
	v_and_b32_e32 v11, 0xfffff, v61
	v_add_nc_u32_e32 v61, v11, v72
                                        ; implicit-def: $vgpr11
	v_cmpx_ne_u32_e64 v62, v63
	s_xor_b32 s13, exec_lo, s13
; %bb.605:                              ;   in Loop: Header=BB4_130 Depth=2
	v_cmp_lt_u32_e32 vcc_lo, 0xffffff, v61
	v_sub_nc_u32_e32 v11, v62, v63
	v_cndmask_b32_e64 v62, 0, 1, vcc_lo
	v_add_co_ci_u32_e64 v11, null, 0, v11, vcc_lo
	v_lshrrev_b32_e32 v61, v62, v61
; %bb.606:                              ;   in Loop: Header=BB4_130 Depth=2
	s_andn2_saveexec_b32 s13, s13
; %bb.607:                              ;   in Loop: Header=BB4_130 Depth=2
	v_bfe_u32 v11, v61, 23, 1
; %bb.608:                              ;   in Loop: Header=BB4_130 Depth=2
	s_or_b32 exec_lo, exec_lo, s13
	v_lshrrev_b32_e32 v61, 20, v61
	v_min_i32_e32 v62, 15, v11
	v_cmp_gt_i32_e32 vcc_lo, 16, v11
	v_and_b32_sdwa v15, v15, v114 dst_sel:DWORD dst_unused:UNUSED_PAD src0_sel:BYTE_3 src1_sel:DWORD
	v_lshlrev_b32_e32 v62, 3, v62
	v_cndmask_b32_e32 v61, 7, v61, vcc_lo
	v_and_b32_e32 v62, 0xf8, v62
	v_and_b32_e32 v63, 7, v61
	v_or_b32_e32 v11, v11, v61
	v_or3_b32 v15, v15, v62, v63
	v_cmp_ne_u32_e32 vcc_lo, 0, v11
	v_lshlrev_b32_e32 v15, 8, v15
	v_cndmask_b32_e32 v11, 0, v15, vcc_lo
.LBB4_609:                              ;   in Loop: Header=BB4_130 Depth=2
	s_or_b32 exec_lo, exec_lo, s28
.LBB4_610:                              ;   in Loop: Header=BB4_130 Depth=2
	s_or_b32 exec_lo, exec_lo, s27
	v_cmp_gt_i16_sdwa s27, v16, v101 src0_sel:BYTE_0 src1_sel:DWORD
	s_mov_b32 s13, 0
	s_and_saveexec_b32 s28, s27
	s_xor_b32 s27, exec_lo, s28
	s_cbranch_execz .LBB4_864
; %bb.611:                              ;   in Loop: Header=BB4_130 Depth=2
	v_cmp_eq_u16_sdwa s29, v16, v114 src0_sel:BYTE_0 src1_sel:DWORD
	s_mov_b32 s13, -1
	s_and_saveexec_b32 s28, s29
; %bb.612:                              ;   in Loop: Header=BB4_130 Depth=2
	s_xor_b32 s13, exec_lo, -1
; %bb.613:                              ;   in Loop: Header=BB4_130 Depth=2
	s_or_b32 exec_lo, exec_lo, s28
	s_and_b32 s13, s13, exec_lo
	s_or_saveexec_b32 s27, s27
	v_mov_b32_e32 v15, 0x7f800001
	s_xor_b32 exec_lo, exec_lo, s27
	s_cbranch_execnz .LBB4_865
.LBB4_614:                              ;   in Loop: Header=BB4_130 Depth=2
	s_or_b32 exec_lo, exec_lo, s27
	s_and_saveexec_b32 s27, s13
	s_cbranch_execz .LBB4_616
.LBB4_615:                              ;   in Loop: Header=BB4_130 Depth=2
	v_and_b32_e32 v15, 7, v16
	v_bfe_u32 v63, v16, 3, 4
	v_lshlrev_b32_e32 v72, 24, v16
	v_ffbh_u32_e32 v61, v15
	v_cmp_eq_u32_e32 vcc_lo, 0, v63
	v_min_u32_e32 v61, 32, v61
	v_subrev_nc_u32_e32 v62, 28, v61
	v_sub_nc_u32_e32 v61, 29, v61
	v_lshlrev_b32_e32 v62, v62, v16
	v_cndmask_b32_e32 v61, v63, v61, vcc_lo
	v_and_b32_e32 v62, 7, v62
	v_lshl_add_u32 v61, v61, 23, 0x3b800000
	v_cndmask_b32_e32 v15, v15, v62, vcc_lo
	v_and_b32_e32 v62, 0x80000000, v72
	v_lshlrev_b32_e32 v15, 20, v15
	v_or3_b32 v15, v62, v61, v15
.LBB4_616:                              ;   in Loop: Header=BB4_130 Depth=2
	s_or_b32 exec_lo, exec_lo, s27
	v_cmp_gt_i16_sdwa s27, v12, v101 src0_sel:BYTE_0 src1_sel:DWORD
	s_mov_b32 s13, 0
	s_and_saveexec_b32 s28, s27
	s_xor_b32 s27, exec_lo, s28
	s_cbranch_execz .LBB4_866
; %bb.617:                              ;   in Loop: Header=BB4_130 Depth=2
	v_cmp_eq_u16_sdwa s29, v12, v114 src0_sel:BYTE_0 src1_sel:DWORD
	s_mov_b32 s13, -1
	s_and_saveexec_b32 s28, s29
; %bb.618:                              ;   in Loop: Header=BB4_130 Depth=2
	s_xor_b32 s13, exec_lo, -1
; %bb.619:                              ;   in Loop: Header=BB4_130 Depth=2
	s_or_b32 exec_lo, exec_lo, s28
	s_and_b32 s13, s13, exec_lo
	s_or_saveexec_b32 s27, s27
	v_mov_b32_e32 v61, 0x7f800001
	s_xor_b32 exec_lo, exec_lo, s27
	s_cbranch_execnz .LBB4_867
.LBB4_620:                              ;   in Loop: Header=BB4_130 Depth=2
	s_or_b32 exec_lo, exec_lo, s27
	s_and_saveexec_b32 s27, s13
	s_cbranch_execz .LBB4_622
.LBB4_621:                              ;   in Loop: Header=BB4_130 Depth=2
	v_and_b32_e32 v61, 7, v12
	v_bfe_u32 v72, v12, 3, 4
	v_lshlrev_b32_e32 v73, 24, v12
	v_ffbh_u32_e32 v62, v61
	v_cmp_eq_u32_e32 vcc_lo, 0, v72
	v_min_u32_e32 v62, 32, v62
	v_subrev_nc_u32_e32 v63, 28, v62
	v_sub_nc_u32_e32 v62, 29, v62
	v_lshlrev_b32_e32 v63, v63, v12
	v_cndmask_b32_e32 v62, v72, v62, vcc_lo
	v_and_b32_e32 v63, 7, v63
	v_lshl_add_u32 v62, v62, 23, 0x3b800000
	v_cndmask_b32_e32 v61, v61, v63, vcc_lo
	v_and_b32_e32 v63, 0x80000000, v73
	v_lshlrev_b32_e32 v61, 20, v61
	v_or3_b32 v61, v63, v62, v61
.LBB4_622:                              ;   in Loop: Header=BB4_130 Depth=2
	s_or_b32 exec_lo, exec_lo, s27
	v_add_f32_e32 v61, v15, v61
	v_and_b32_e32 v15, 0x7f800000, v61
	v_cmp_ne_u32_e32 vcc_lo, 0x7f800000, v15
	v_mov_b32_e32 v15, 0x80
	s_and_saveexec_b32 s27, vcc_lo
	s_cbranch_execz .LBB4_630
; %bb.623:                              ;   in Loop: Header=BB4_130 Depth=2
	v_mov_b32_e32 v15, 0
	s_mov_b32 s28, exec_lo
	v_cmpx_ne_u32_e32 0, v61
	s_cbranch_execz .LBB4_629
; %bb.624:                              ;   in Loop: Header=BB4_130 Depth=2
	v_bfe_u32 v15, v61, 23, 8
	v_and_b32_e32 v62, 0x7fffff, v61
	v_sub_nc_u32_e32 v63, 0x78, v15
	v_cmp_gt_u32_e32 vcc_lo, 0x79, v15
	v_or_b32_e32 v72, 0x800000, v62
	v_cndmask_b32_e32 v63, 0, v63, vcc_lo
	v_cmp_eq_u32_e32 vcc_lo, 0, v15
	v_add_nc_u32_e32 v15, 0xffffff89, v15
	v_cndmask_b32_e64 v63, v63, 0x77, vcc_lo
	v_cndmask_b32_e32 v62, v72, v62, vcc_lo
	v_cndmask_b32_e64 v15, v15, 0xffffff8a, vcc_lo
	v_lshl_add_u32 v72, 0x100000, v63, -1
	v_lshrrev_b32_e32 v73, v63, v62
	v_lshlrev_b32_e64 v75, v63, 0x80000
	v_add_nc_u32_e32 v63, v63, v15
	v_and_b32_e32 v62, v72, v62
	v_bfe_u32 v74, v73, 20, 1
	v_cmp_eq_u32_e64 s13, v62, v75
	v_add_nc_u32_e32 v72, -1, v74
	v_cndmask_b32_e64 v62, 0, v72, s13
	v_lshrrev_b32_e32 v72, 23, v73
	s_mov_b32 s13, exec_lo
	v_add_nc_u32_e32 v62, v62, v73
	v_xor_b32_e32 v72, 1, v72
	v_and_b32_e32 v15, 0xfffff, v62
	v_add_nc_u32_e32 v62, v15, v73
                                        ; implicit-def: $vgpr15
	v_cmpx_ne_u32_e64 v63, v72
	s_xor_b32 s13, exec_lo, s13
; %bb.625:                              ;   in Loop: Header=BB4_130 Depth=2
	v_cmp_lt_u32_e32 vcc_lo, 0xffffff, v62
	v_sub_nc_u32_e32 v15, v63, v72
	v_cndmask_b32_e64 v63, 0, 1, vcc_lo
	v_add_co_ci_u32_e64 v15, null, 0, v15, vcc_lo
	v_lshrrev_b32_e32 v62, v63, v62
; %bb.626:                              ;   in Loop: Header=BB4_130 Depth=2
	s_andn2_saveexec_b32 s13, s13
; %bb.627:                              ;   in Loop: Header=BB4_130 Depth=2
	v_bfe_u32 v15, v62, 23, 1
; %bb.628:                              ;   in Loop: Header=BB4_130 Depth=2
	s_or_b32 exec_lo, exec_lo, s13
	v_lshrrev_b32_e32 v62, 20, v62
	v_min_i32_e32 v63, 15, v15
	v_cmp_gt_i32_e32 vcc_lo, 16, v15
	v_and_b32_sdwa v61, v61, v114 dst_sel:DWORD dst_unused:UNUSED_PAD src0_sel:BYTE_3 src1_sel:DWORD
	v_lshlrev_b32_e32 v63, 3, v63
	v_cndmask_b32_e32 v62, 7, v62, vcc_lo
	v_and_b32_e32 v63, 0xf8, v63
	v_and_b32_e32 v72, 7, v62
	v_or_b32_e32 v15, v15, v62
	v_or3_b32 v61, v63, v61, v72
	v_cmp_ne_u32_e32 vcc_lo, 0, v15
	v_cndmask_b32_e32 v15, 0, v61, vcc_lo
.LBB4_629:                              ;   in Loop: Header=BB4_130 Depth=2
	s_or_b32 exec_lo, exec_lo, s28
.LBB4_630:                              ;   in Loop: Header=BB4_130 Depth=2
	s_or_b32 exec_lo, exec_lo, s27
	v_cmp_gt_i16_sdwa s27, v16, v101 src0_sel:BYTE_1 src1_sel:DWORD
	s_mov_b32 s13, 0
	s_and_saveexec_b32 s28, s27
	s_xor_b32 s27, exec_lo, s28
	s_cbranch_execz .LBB4_868
; %bb.631:                              ;   in Loop: Header=BB4_130 Depth=2
	v_cmp_eq_u16_sdwa s29, v16, v114 src0_sel:BYTE_1 src1_sel:DWORD
	s_mov_b32 s13, -1
	s_and_saveexec_b32 s28, s29
; %bb.632:                              ;   in Loop: Header=BB4_130 Depth=2
	s_xor_b32 s13, exec_lo, -1
; %bb.633:                              ;   in Loop: Header=BB4_130 Depth=2
	s_or_b32 exec_lo, exec_lo, s28
	s_and_b32 s13, s13, exec_lo
	s_or_saveexec_b32 s27, s27
	v_mov_b32_e32 v61, 0x7f800001
	s_xor_b32 exec_lo, exec_lo, s27
	s_cbranch_execnz .LBB4_869
.LBB4_634:                              ;   in Loop: Header=BB4_130 Depth=2
	s_or_b32 exec_lo, exec_lo, s27
	s_and_saveexec_b32 s27, s13
	s_cbranch_execz .LBB4_636
.LBB4_635:                              ;   in Loop: Header=BB4_130 Depth=2
	v_and_b32_sdwa v61, v115, v16 dst_sel:DWORD dst_unused:UNUSED_PAD src0_sel:DWORD src1_sel:BYTE_1
	v_and_b32_e32 v62, 7, v61
	v_bfe_u32 v73, v61, 3, 4
	v_ffbh_u32_e32 v63, v62
	v_cmp_eq_u32_e32 vcc_lo, 0, v73
	v_min_u32_e32 v63, 32, v63
	v_subrev_nc_u32_e32 v72, 28, v63
	v_sub_nc_u32_e32 v63, 29, v63
	v_lshlrev_b32_e32 v61, v72, v61
	v_lshlrev_b32_sdwa v72, v116, v16 dst_sel:DWORD dst_unused:UNUSED_PAD src0_sel:DWORD src1_sel:BYTE_1
	v_cndmask_b32_e32 v63, v73, v63, vcc_lo
	v_and_b32_e32 v61, 7, v61
	v_lshl_add_u32 v63, v63, 23, 0x3b800000
	v_cndmask_b32_e32 v61, v62, v61, vcc_lo
	v_and_b32_e32 v62, 0x80000000, v72
	v_lshlrev_b32_e32 v61, 20, v61
	v_or3_b32 v61, v62, v63, v61
.LBB4_636:                              ;   in Loop: Header=BB4_130 Depth=2
	s_or_b32 exec_lo, exec_lo, s27
	v_cmp_gt_i16_sdwa s27, v12, v101 src0_sel:BYTE_1 src1_sel:DWORD
	s_mov_b32 s13, 0
	s_and_saveexec_b32 s28, s27
	s_xor_b32 s27, exec_lo, s28
	s_cbranch_execz .LBB4_870
; %bb.637:                              ;   in Loop: Header=BB4_130 Depth=2
	v_cmp_eq_u16_sdwa s29, v12, v114 src0_sel:BYTE_1 src1_sel:DWORD
	s_mov_b32 s13, -1
	s_and_saveexec_b32 s28, s29
; %bb.638:                              ;   in Loop: Header=BB4_130 Depth=2
	s_xor_b32 s13, exec_lo, -1
; %bb.639:                              ;   in Loop: Header=BB4_130 Depth=2
	s_or_b32 exec_lo, exec_lo, s28
	s_and_b32 s13, s13, exec_lo
	s_or_saveexec_b32 s27, s27
	v_mov_b32_e32 v62, 0x7f800001
	s_xor_b32 exec_lo, exec_lo, s27
	s_cbranch_execnz .LBB4_871
.LBB4_640:                              ;   in Loop: Header=BB4_130 Depth=2
	s_or_b32 exec_lo, exec_lo, s27
	s_and_saveexec_b32 s27, s13
	s_cbranch_execz .LBB4_642
.LBB4_641:                              ;   in Loop: Header=BB4_130 Depth=2
	v_and_b32_sdwa v62, v115, v12 dst_sel:DWORD dst_unused:UNUSED_PAD src0_sel:DWORD src1_sel:BYTE_1
	v_and_b32_e32 v63, 7, v62
	v_bfe_u32 v74, v62, 3, 4
	v_ffbh_u32_e32 v72, v63
	v_cmp_eq_u32_e32 vcc_lo, 0, v74
	v_min_u32_e32 v72, 32, v72
	v_subrev_nc_u32_e32 v73, 28, v72
	v_sub_nc_u32_e32 v72, 29, v72
	v_lshlrev_b32_e32 v62, v73, v62
	v_lshlrev_b32_sdwa v73, v116, v12 dst_sel:DWORD dst_unused:UNUSED_PAD src0_sel:DWORD src1_sel:BYTE_1
	v_cndmask_b32_e32 v72, v74, v72, vcc_lo
	v_and_b32_e32 v62, 7, v62
	v_lshl_add_u32 v72, v72, 23, 0x3b800000
	v_cndmask_b32_e32 v62, v63, v62, vcc_lo
	v_and_b32_e32 v63, 0x80000000, v73
	v_lshlrev_b32_e32 v62, 20, v62
	v_or3_b32 v62, v63, v72, v62
.LBB4_642:                              ;   in Loop: Header=BB4_130 Depth=2
	s_or_b32 exec_lo, exec_lo, s27
	v_add_f32_e32 v62, v61, v62
	v_and_b32_e32 v61, 0x7f800000, v62
	v_cmp_ne_u32_e32 vcc_lo, 0x7f800000, v61
	v_mov_b32_e32 v61, 0x8000
	s_and_saveexec_b32 s27, vcc_lo
	s_cbranch_execz .LBB4_650
; %bb.643:                              ;   in Loop: Header=BB4_130 Depth=2
	v_mov_b32_e32 v61, 0
	s_mov_b32 s28, exec_lo
	v_cmpx_ne_u32_e32 0, v62
	s_cbranch_execz .LBB4_649
; %bb.644:                              ;   in Loop: Header=BB4_130 Depth=2
	v_bfe_u32 v61, v62, 23, 8
	v_and_b32_e32 v63, 0x7fffff, v62
	v_sub_nc_u32_e32 v72, 0x78, v61
	v_cmp_gt_u32_e32 vcc_lo, 0x79, v61
	v_or_b32_e32 v73, 0x800000, v63
	v_cndmask_b32_e32 v72, 0, v72, vcc_lo
	v_cmp_eq_u32_e32 vcc_lo, 0, v61
	v_add_nc_u32_e32 v61, 0xffffff89, v61
	v_cndmask_b32_e64 v72, v72, 0x77, vcc_lo
	v_cndmask_b32_e32 v63, v73, v63, vcc_lo
	v_cndmask_b32_e64 v61, v61, 0xffffff8a, vcc_lo
	v_lshl_add_u32 v73, 0x100000, v72, -1
	v_lshrrev_b32_e32 v74, v72, v63
	v_lshlrev_b32_e64 v76, v72, 0x80000
	v_add_nc_u32_e32 v72, v72, v61
	v_and_b32_e32 v63, v73, v63
	v_bfe_u32 v75, v74, 20, 1
	v_cmp_eq_u32_e64 s13, v63, v76
	v_add_nc_u32_e32 v73, -1, v75
	v_cndmask_b32_e64 v63, 0, v73, s13
	v_lshrrev_b32_e32 v73, 23, v74
	s_mov_b32 s13, exec_lo
	v_add_nc_u32_e32 v63, v63, v74
	v_xor_b32_e32 v73, 1, v73
	v_and_b32_e32 v61, 0xfffff, v63
	v_add_nc_u32_e32 v63, v61, v74
                                        ; implicit-def: $vgpr61
	v_cmpx_ne_u32_e64 v72, v73
	s_xor_b32 s13, exec_lo, s13
; %bb.645:                              ;   in Loop: Header=BB4_130 Depth=2
	v_cmp_lt_u32_e32 vcc_lo, 0xffffff, v63
	v_sub_nc_u32_e32 v61, v72, v73
	v_cndmask_b32_e64 v72, 0, 1, vcc_lo
	v_add_co_ci_u32_e64 v61, null, 0, v61, vcc_lo
	v_lshrrev_b32_e32 v63, v72, v63
; %bb.646:                              ;   in Loop: Header=BB4_130 Depth=2
	s_andn2_saveexec_b32 s13, s13
; %bb.647:                              ;   in Loop: Header=BB4_130 Depth=2
	v_bfe_u32 v61, v63, 23, 1
; %bb.648:                              ;   in Loop: Header=BB4_130 Depth=2
	s_or_b32 exec_lo, exec_lo, s13
	v_lshrrev_b32_e32 v63, 20, v63
	v_min_i32_e32 v72, 15, v61
	v_cmp_gt_i32_e32 vcc_lo, 16, v61
	v_and_b32_sdwa v62, v62, v114 dst_sel:DWORD dst_unused:UNUSED_PAD src0_sel:BYTE_3 src1_sel:DWORD
	v_lshlrev_b32_e32 v72, 3, v72
	v_cndmask_b32_e32 v63, 7, v63, vcc_lo
	v_and_b32_e32 v72, 0xf8, v72
	v_and_b32_e32 v73, 7, v63
	v_or_b32_e32 v61, v61, v63
	v_or3_b32 v62, v62, v72, v73
	v_cmp_ne_u32_e32 vcc_lo, 0, v61
	v_lshlrev_b32_e32 v62, 8, v62
	v_cndmask_b32_e32 v61, 0, v62, vcc_lo
.LBB4_649:                              ;   in Loop: Header=BB4_130 Depth=2
	s_or_b32 exec_lo, exec_lo, s28
.LBB4_650:                              ;   in Loop: Header=BB4_130 Depth=2
	s_or_b32 exec_lo, exec_lo, s27
	v_and_b32_sdwa v63, v16, v117 dst_sel:DWORD dst_unused:UNUSED_PAD src0_sel:WORD_1 src1_sel:DWORD
	s_mov_b32 s13, 0
	s_mov_b32 s27, exec_lo
	v_cmpx_lt_i16_e32 0x7f, v63
	s_xor_b32 s27, exec_lo, s27
	s_cbranch_execz .LBB4_872
; %bb.651:                              ;   in Loop: Header=BB4_130 Depth=2
	s_mov_b32 s13, -1
	s_mov_b32 s28, exec_lo
	v_cmpx_eq_u16_e32 0x80, v63
; %bb.652:                              ;   in Loop: Header=BB4_130 Depth=2
	s_xor_b32 s13, exec_lo, -1
; %bb.653:                              ;   in Loop: Header=BB4_130 Depth=2
	s_or_b32 exec_lo, exec_lo, s28
	s_and_b32 s13, s13, exec_lo
                                        ; implicit-def: $vgpr63
	s_or_saveexec_b32 s27, s27
	v_mov_b32_e32 v62, 0x7f800001
	s_xor_b32 exec_lo, exec_lo, s27
	s_cbranch_execnz .LBB4_873
.LBB4_654:                              ;   in Loop: Header=BB4_130 Depth=2
	s_or_b32 exec_lo, exec_lo, s27
	s_and_saveexec_b32 s27, s13
	s_cbranch_execz .LBB4_656
.LBB4_655:                              ;   in Loop: Header=BB4_130 Depth=2
	v_bfe_u32 v62, v16, 16, 3
	v_bfe_u32 v73, v16, 19, 4
	v_lshlrev_b32_e32 v74, 8, v16
	v_ffbh_u32_e32 v63, v62
	v_cmp_eq_u32_e32 vcc_lo, 0, v73
	v_min_u32_e32 v63, 32, v63
	v_subrev_nc_u32_e32 v72, 28, v63
	v_sub_nc_u32_e32 v63, 29, v63
	v_lshlrev_b32_sdwa v72, v72, v16 dst_sel:DWORD dst_unused:UNUSED_PAD src0_sel:DWORD src1_sel:WORD_1
	v_cndmask_b32_e32 v63, v73, v63, vcc_lo
	v_and_b32_e32 v72, 7, v72
	v_lshl_add_u32 v63, v63, 23, 0x3b800000
	v_cndmask_b32_e32 v62, v62, v72, vcc_lo
	v_and_b32_e32 v72, 0x80000000, v74
	v_lshlrev_b32_e32 v62, 20, v62
	v_or3_b32 v62, v72, v63, v62
.LBB4_656:                              ;   in Loop: Header=BB4_130 Depth=2
	s_or_b32 exec_lo, exec_lo, s27
	v_and_b32_sdwa v72, v12, v117 dst_sel:DWORD dst_unused:UNUSED_PAD src0_sel:WORD_1 src1_sel:DWORD
	s_mov_b32 s13, 0
	s_mov_b32 s27, exec_lo
	v_cmpx_lt_i16_e32 0x7f, v72
	s_xor_b32 s27, exec_lo, s27
	s_cbranch_execz .LBB4_874
; %bb.657:                              ;   in Loop: Header=BB4_130 Depth=2
	s_mov_b32 s13, -1
	s_mov_b32 s28, exec_lo
	v_cmpx_eq_u16_e32 0x80, v72
; %bb.658:                              ;   in Loop: Header=BB4_130 Depth=2
	s_xor_b32 s13, exec_lo, -1
; %bb.659:                              ;   in Loop: Header=BB4_130 Depth=2
	s_or_b32 exec_lo, exec_lo, s28
	s_and_b32 s13, s13, exec_lo
                                        ; implicit-def: $vgpr72
	s_or_saveexec_b32 s27, s27
	v_mov_b32_e32 v63, 0x7f800001
	s_xor_b32 exec_lo, exec_lo, s27
	s_cbranch_execnz .LBB4_875
.LBB4_660:                              ;   in Loop: Header=BB4_130 Depth=2
	s_or_b32 exec_lo, exec_lo, s27
	s_and_saveexec_b32 s27, s13
	s_cbranch_execz .LBB4_662
.LBB4_661:                              ;   in Loop: Header=BB4_130 Depth=2
	v_bfe_u32 v63, v12, 16, 3
	v_bfe_u32 v74, v12, 19, 4
	v_lshlrev_b32_e32 v75, 8, v12
	v_ffbh_u32_e32 v72, v63
	v_cmp_eq_u32_e32 vcc_lo, 0, v74
	v_min_u32_e32 v72, 32, v72
	v_subrev_nc_u32_e32 v73, 28, v72
	v_sub_nc_u32_e32 v72, 29, v72
	v_lshlrev_b32_sdwa v73, v73, v12 dst_sel:DWORD dst_unused:UNUSED_PAD src0_sel:DWORD src1_sel:WORD_1
	v_cndmask_b32_e32 v72, v74, v72, vcc_lo
	v_and_b32_e32 v73, 7, v73
	v_lshl_add_u32 v72, v72, 23, 0x3b800000
	v_cndmask_b32_e32 v63, v63, v73, vcc_lo
	v_and_b32_e32 v73, 0x80000000, v75
	v_lshlrev_b32_e32 v63, 20, v63
	v_or3_b32 v63, v73, v72, v63
.LBB4_662:                              ;   in Loop: Header=BB4_130 Depth=2
	s_or_b32 exec_lo, exec_lo, s27
	v_add_f32_e32 v63, v62, v63
	v_and_b32_e32 v62, 0x7f800000, v63
	v_cmp_ne_u32_e32 vcc_lo, 0x7f800000, v62
	v_mov_b32_e32 v62, 0x80
	s_and_saveexec_b32 s27, vcc_lo
	s_cbranch_execz .LBB4_670
; %bb.663:                              ;   in Loop: Header=BB4_130 Depth=2
	v_mov_b32_e32 v62, 0
	s_mov_b32 s28, exec_lo
	v_cmpx_ne_u32_e32 0, v63
	s_cbranch_execz .LBB4_669
; %bb.664:                              ;   in Loop: Header=BB4_130 Depth=2
	v_bfe_u32 v62, v63, 23, 8
	v_and_b32_e32 v72, 0x7fffff, v63
	v_sub_nc_u32_e32 v73, 0x78, v62
	v_cmp_gt_u32_e32 vcc_lo, 0x79, v62
	v_or_b32_e32 v74, 0x800000, v72
	v_cndmask_b32_e32 v73, 0, v73, vcc_lo
	v_cmp_eq_u32_e32 vcc_lo, 0, v62
	v_add_nc_u32_e32 v62, 0xffffff89, v62
	v_cndmask_b32_e64 v73, v73, 0x77, vcc_lo
	v_cndmask_b32_e32 v72, v74, v72, vcc_lo
	v_cndmask_b32_e64 v62, v62, 0xffffff8a, vcc_lo
	v_lshl_add_u32 v74, 0x100000, v73, -1
	v_lshrrev_b32_e32 v75, v73, v72
	v_lshlrev_b32_e64 v77, v73, 0x80000
	v_add_nc_u32_e32 v73, v73, v62
	v_and_b32_e32 v72, v74, v72
	v_bfe_u32 v76, v75, 20, 1
	v_cmp_eq_u32_e64 s13, v72, v77
	v_add_nc_u32_e32 v74, -1, v76
	v_cndmask_b32_e64 v72, 0, v74, s13
	v_lshrrev_b32_e32 v74, 23, v75
	s_mov_b32 s13, exec_lo
	v_add_nc_u32_e32 v72, v72, v75
	v_xor_b32_e32 v74, 1, v74
	v_and_b32_e32 v62, 0xfffff, v72
	v_add_nc_u32_e32 v72, v62, v75
                                        ; implicit-def: $vgpr62
	v_cmpx_ne_u32_e64 v73, v74
	s_xor_b32 s13, exec_lo, s13
; %bb.665:                              ;   in Loop: Header=BB4_130 Depth=2
	v_cmp_lt_u32_e32 vcc_lo, 0xffffff, v72
	v_sub_nc_u32_e32 v62, v73, v74
	v_cndmask_b32_e64 v73, 0, 1, vcc_lo
	v_add_co_ci_u32_e64 v62, null, 0, v62, vcc_lo
	v_lshrrev_b32_e32 v72, v73, v72
; %bb.666:                              ;   in Loop: Header=BB4_130 Depth=2
	s_andn2_saveexec_b32 s13, s13
; %bb.667:                              ;   in Loop: Header=BB4_130 Depth=2
	v_bfe_u32 v62, v72, 23, 1
; %bb.668:                              ;   in Loop: Header=BB4_130 Depth=2
	s_or_b32 exec_lo, exec_lo, s13
	v_lshrrev_b32_e32 v72, 20, v72
	v_min_i32_e32 v73, 15, v62
	v_cmp_gt_i32_e32 vcc_lo, 16, v62
	v_and_b32_sdwa v63, v63, v114 dst_sel:DWORD dst_unused:UNUSED_PAD src0_sel:BYTE_3 src1_sel:DWORD
	v_lshlrev_b32_e32 v73, 3, v73
	v_cndmask_b32_e32 v72, 7, v72, vcc_lo
	v_and_b32_e32 v73, 0xf8, v73
	v_and_b32_e32 v74, 7, v72
	v_or_b32_e32 v62, v62, v72
	v_or3_b32 v63, v73, v63, v74
	v_cmp_ne_u32_e32 vcc_lo, 0, v62
	v_cndmask_b32_e32 v62, 0, v63, vcc_lo
.LBB4_669:                              ;   in Loop: Header=BB4_130 Depth=2
	s_or_b32 exec_lo, exec_lo, s28
.LBB4_670:                              ;   in Loop: Header=BB4_130 Depth=2
	s_or_b32 exec_lo, exec_lo, s27
	v_cmp_gt_i16_sdwa s27, v16, v101 src0_sel:BYTE_3 src1_sel:DWORD
	s_mov_b32 s13, 0
	s_and_saveexec_b32 s28, s27
	s_xor_b32 s27, exec_lo, s28
	s_cbranch_execz .LBB4_876
; %bb.671:                              ;   in Loop: Header=BB4_130 Depth=2
	v_cmp_eq_u16_sdwa s29, v16, v114 src0_sel:BYTE_3 src1_sel:DWORD
	s_mov_b32 s13, -1
	s_and_saveexec_b32 s28, s29
; %bb.672:                              ;   in Loop: Header=BB4_130 Depth=2
	s_xor_b32 s13, exec_lo, -1
; %bb.673:                              ;   in Loop: Header=BB4_130 Depth=2
	s_or_b32 exec_lo, exec_lo, s28
	s_and_b32 s13, s13, exec_lo
	s_or_saveexec_b32 s27, s27
	v_mov_b32_e32 v63, 0x7f800001
	s_xor_b32 exec_lo, exec_lo, s27
	s_cbranch_execnz .LBB4_877
.LBB4_674:                              ;   in Loop: Header=BB4_130 Depth=2
	s_or_b32 exec_lo, exec_lo, s27
	s_and_saveexec_b32 s27, s13
	s_cbranch_execz .LBB4_676
.LBB4_675:                              ;   in Loop: Header=BB4_130 Depth=2
	v_bfe_u32 v63, v16, 24, 3
	v_bfe_u32 v74, v16, 27, 4
	v_ffbh_u32_e32 v72, v63
	v_cmp_eq_u32_e32 vcc_lo, 0, v74
	v_min_u32_e32 v72, 32, v72
	v_subrev_nc_u32_e32 v73, 28, v72
	v_sub_nc_u32_e32 v72, 29, v72
	v_lshlrev_b32_sdwa v73, v73, v16 dst_sel:DWORD dst_unused:UNUSED_PAD src0_sel:DWORD src1_sel:BYTE_3
	v_cndmask_b32_e32 v72, v74, v72, vcc_lo
	v_and_b32_e32 v16, 0x80000000, v16
	v_and_b32_e32 v73, 7, v73
	v_lshl_add_u32 v72, v72, 23, 0x3b800000
	v_cndmask_b32_e32 v63, v63, v73, vcc_lo
	v_lshlrev_b32_e32 v63, 20, v63
	v_or3_b32 v63, v16, v72, v63
.LBB4_676:                              ;   in Loop: Header=BB4_130 Depth=2
	s_or_b32 exec_lo, exec_lo, s27
	v_cmp_gt_i16_sdwa s27, v12, v101 src0_sel:BYTE_3 src1_sel:DWORD
	s_mov_b32 s13, 0
	s_and_saveexec_b32 s28, s27
	s_xor_b32 s27, exec_lo, s28
	s_cbranch_execz .LBB4_878
; %bb.677:                              ;   in Loop: Header=BB4_130 Depth=2
	v_cmp_eq_u16_sdwa s29, v12, v114 src0_sel:BYTE_3 src1_sel:DWORD
	s_mov_b32 s13, -1
	s_and_saveexec_b32 s28, s29
; %bb.678:                              ;   in Loop: Header=BB4_130 Depth=2
	s_xor_b32 s13, exec_lo, -1
; %bb.679:                              ;   in Loop: Header=BB4_130 Depth=2
	s_or_b32 exec_lo, exec_lo, s28
	s_and_b32 s13, s13, exec_lo
	s_or_saveexec_b32 s27, s27
	v_mov_b32_e32 v16, 0x7f800001
	s_xor_b32 exec_lo, exec_lo, s27
	s_cbranch_execnz .LBB4_879
.LBB4_680:                              ;   in Loop: Header=BB4_130 Depth=2
	s_or_b32 exec_lo, exec_lo, s27
	s_and_saveexec_b32 s27, s13
	s_cbranch_execz .LBB4_682
.LBB4_681:                              ;   in Loop: Header=BB4_130 Depth=2
	v_bfe_u32 v16, v12, 24, 3
	v_bfe_u32 v74, v12, 27, 4
	v_ffbh_u32_e32 v72, v16
	v_cmp_eq_u32_e32 vcc_lo, 0, v74
	v_min_u32_e32 v72, 32, v72
	v_subrev_nc_u32_e32 v73, 28, v72
	v_sub_nc_u32_e32 v72, 29, v72
	v_lshlrev_b32_sdwa v73, v73, v12 dst_sel:DWORD dst_unused:UNUSED_PAD src0_sel:DWORD src1_sel:BYTE_3
	v_cndmask_b32_e32 v72, v74, v72, vcc_lo
	v_and_b32_e32 v12, 0x80000000, v12
	v_and_b32_e32 v73, 7, v73
	v_lshl_add_u32 v72, v72, 23, 0x3b800000
	v_cndmask_b32_e32 v16, v16, v73, vcc_lo
	v_lshlrev_b32_e32 v16, 20, v16
	v_or3_b32 v16, v12, v72, v16
.LBB4_682:                              ;   in Loop: Header=BB4_130 Depth=2
	s_or_b32 exec_lo, exec_lo, s27
	v_add_f32_e32 v16, v63, v16
	v_and_b32_e32 v12, 0x7f800000, v16
	v_cmp_ne_u32_e32 vcc_lo, 0x7f800000, v12
	v_mov_b32_e32 v12, 0x8000
	s_and_saveexec_b32 s27, vcc_lo
	s_cbranch_execz .LBB4_690
; %bb.683:                              ;   in Loop: Header=BB4_130 Depth=2
	v_mov_b32_e32 v12, 0
	s_mov_b32 s28, exec_lo
	v_cmpx_ne_u32_e32 0, v16
	s_cbranch_execz .LBB4_689
; %bb.684:                              ;   in Loop: Header=BB4_130 Depth=2
	v_bfe_u32 v12, v16, 23, 8
	v_and_b32_e32 v63, 0x7fffff, v16
	v_sub_nc_u32_e32 v72, 0x78, v12
	v_cmp_gt_u32_e32 vcc_lo, 0x79, v12
	v_or_b32_e32 v73, 0x800000, v63
	v_cndmask_b32_e32 v72, 0, v72, vcc_lo
	v_cmp_eq_u32_e32 vcc_lo, 0, v12
	v_add_nc_u32_e32 v12, 0xffffff89, v12
	v_cndmask_b32_e64 v72, v72, 0x77, vcc_lo
	v_cndmask_b32_e32 v63, v73, v63, vcc_lo
	v_cndmask_b32_e64 v12, v12, 0xffffff8a, vcc_lo
	v_lshl_add_u32 v73, 0x100000, v72, -1
	v_lshrrev_b32_e32 v74, v72, v63
	v_lshlrev_b32_e64 v76, v72, 0x80000
	v_add_nc_u32_e32 v72, v72, v12
	v_and_b32_e32 v63, v73, v63
	v_bfe_u32 v75, v74, 20, 1
	v_cmp_eq_u32_e64 s13, v63, v76
	v_add_nc_u32_e32 v73, -1, v75
	v_cndmask_b32_e64 v63, 0, v73, s13
	v_lshrrev_b32_e32 v73, 23, v74
	s_mov_b32 s13, exec_lo
	v_add_nc_u32_e32 v63, v63, v74
	v_xor_b32_e32 v73, 1, v73
	v_and_b32_e32 v12, 0xfffff, v63
	v_add_nc_u32_e32 v63, v12, v74
                                        ; implicit-def: $vgpr12
	v_cmpx_ne_u32_e64 v72, v73
	s_xor_b32 s13, exec_lo, s13
; %bb.685:                              ;   in Loop: Header=BB4_130 Depth=2
	v_cmp_lt_u32_e32 vcc_lo, 0xffffff, v63
	v_sub_nc_u32_e32 v12, v72, v73
	v_cndmask_b32_e64 v72, 0, 1, vcc_lo
	v_add_co_ci_u32_e64 v12, null, 0, v12, vcc_lo
	v_lshrrev_b32_e32 v63, v72, v63
; %bb.686:                              ;   in Loop: Header=BB4_130 Depth=2
	s_andn2_saveexec_b32 s13, s13
; %bb.687:                              ;   in Loop: Header=BB4_130 Depth=2
	v_bfe_u32 v12, v63, 23, 1
; %bb.688:                              ;   in Loop: Header=BB4_130 Depth=2
	s_or_b32 exec_lo, exec_lo, s13
	v_lshrrev_b32_e32 v63, 20, v63
	v_min_i32_e32 v72, 15, v12
	v_cmp_gt_i32_e32 vcc_lo, 16, v12
	v_and_b32_sdwa v16, v16, v114 dst_sel:DWORD dst_unused:UNUSED_PAD src0_sel:BYTE_3 src1_sel:DWORD
	v_lshlrev_b32_e32 v72, 3, v72
	v_cndmask_b32_e32 v63, 7, v63, vcc_lo
	v_and_b32_e32 v72, 0xf8, v72
	v_and_b32_e32 v73, 7, v63
	v_or_b32_e32 v12, v12, v63
	v_or3_b32 v16, v16, v72, v73
	v_cmp_ne_u32_e32 vcc_lo, 0, v12
	v_lshlrev_b32_e32 v16, 8, v16
	v_cndmask_b32_e32 v12, 0, v16, vcc_lo
.LBB4_689:                              ;   in Loop: Header=BB4_130 Depth=2
	s_or_b32 exec_lo, exec_lo, s28
.LBB4_690:                              ;   in Loop: Header=BB4_130 Depth=2
	s_or_b32 exec_lo, exec_lo, s27
	v_cmp_gt_i16_sdwa s27, v17, v101 src0_sel:BYTE_0 src1_sel:DWORD
	s_mov_b32 s13, 0
	s_and_saveexec_b32 s28, s27
	s_xor_b32 s27, exec_lo, s28
	s_cbranch_execz .LBB4_880
; %bb.691:                              ;   in Loop: Header=BB4_130 Depth=2
	v_cmp_eq_u16_sdwa s29, v17, v114 src0_sel:BYTE_0 src1_sel:DWORD
	s_mov_b32 s13, -1
	s_and_saveexec_b32 s28, s29
; %bb.692:                              ;   in Loop: Header=BB4_130 Depth=2
	s_xor_b32 s13, exec_lo, -1
; %bb.693:                              ;   in Loop: Header=BB4_130 Depth=2
	s_or_b32 exec_lo, exec_lo, s28
	s_and_b32 s13, s13, exec_lo
	s_or_saveexec_b32 s27, s27
	v_mov_b32_e32 v16, 0x7f800001
	s_xor_b32 exec_lo, exec_lo, s27
	s_cbranch_execnz .LBB4_881
.LBB4_694:                              ;   in Loop: Header=BB4_130 Depth=2
	s_or_b32 exec_lo, exec_lo, s27
	s_and_saveexec_b32 s27, s13
	s_cbranch_execz .LBB4_696
.LBB4_695:                              ;   in Loop: Header=BB4_130 Depth=2
	v_and_b32_e32 v16, 7, v17
	v_bfe_u32 v73, v17, 3, 4
	v_lshlrev_b32_e32 v74, 24, v17
	v_ffbh_u32_e32 v63, v16
	v_cmp_eq_u32_e32 vcc_lo, 0, v73
	v_min_u32_e32 v63, 32, v63
	v_subrev_nc_u32_e32 v72, 28, v63
	v_sub_nc_u32_e32 v63, 29, v63
	v_lshlrev_b32_e32 v72, v72, v17
	v_cndmask_b32_e32 v63, v73, v63, vcc_lo
	v_and_b32_e32 v72, 7, v72
	v_lshl_add_u32 v63, v63, 23, 0x3b800000
	v_cndmask_b32_e32 v16, v16, v72, vcc_lo
	v_and_b32_e32 v72, 0x80000000, v74
	v_lshlrev_b32_e32 v16, 20, v16
	v_or3_b32 v16, v72, v63, v16
.LBB4_696:                              ;   in Loop: Header=BB4_130 Depth=2
	s_or_b32 exec_lo, exec_lo, s27
	v_cmp_gt_i16_sdwa s27, v13, v101 src0_sel:BYTE_0 src1_sel:DWORD
	s_mov_b32 s13, 0
	s_and_saveexec_b32 s28, s27
	s_xor_b32 s27, exec_lo, s28
	s_cbranch_execz .LBB4_882
; %bb.697:                              ;   in Loop: Header=BB4_130 Depth=2
	v_cmp_eq_u16_sdwa s29, v13, v114 src0_sel:BYTE_0 src1_sel:DWORD
	s_mov_b32 s13, -1
	s_and_saveexec_b32 s28, s29
; %bb.698:                              ;   in Loop: Header=BB4_130 Depth=2
	s_xor_b32 s13, exec_lo, -1
; %bb.699:                              ;   in Loop: Header=BB4_130 Depth=2
	s_or_b32 exec_lo, exec_lo, s28
	s_and_b32 s13, s13, exec_lo
	s_or_saveexec_b32 s27, s27
	v_mov_b32_e32 v63, 0x7f800001
	s_xor_b32 exec_lo, exec_lo, s27
	s_cbranch_execnz .LBB4_883
.LBB4_700:                              ;   in Loop: Header=BB4_130 Depth=2
	s_or_b32 exec_lo, exec_lo, s27
	s_and_saveexec_b32 s27, s13
	s_cbranch_execz .LBB4_702
.LBB4_701:                              ;   in Loop: Header=BB4_130 Depth=2
	v_and_b32_e32 v63, 7, v13
	v_bfe_u32 v74, v13, 3, 4
	v_lshlrev_b32_e32 v75, 24, v13
	v_ffbh_u32_e32 v72, v63
	v_cmp_eq_u32_e32 vcc_lo, 0, v74
	v_min_u32_e32 v72, 32, v72
	v_subrev_nc_u32_e32 v73, 28, v72
	v_sub_nc_u32_e32 v72, 29, v72
	v_lshlrev_b32_e32 v73, v73, v13
	v_cndmask_b32_e32 v72, v74, v72, vcc_lo
	v_and_b32_e32 v73, 7, v73
	v_lshl_add_u32 v72, v72, 23, 0x3b800000
	v_cndmask_b32_e32 v63, v63, v73, vcc_lo
	v_and_b32_e32 v73, 0x80000000, v75
	v_lshlrev_b32_e32 v63, 20, v63
	v_or3_b32 v63, v73, v72, v63
.LBB4_702:                              ;   in Loop: Header=BB4_130 Depth=2
	s_or_b32 exec_lo, exec_lo, s27
	v_add_f32_e32 v63, v16, v63
	v_and_b32_e32 v16, 0x7f800000, v63
	v_cmp_ne_u32_e32 vcc_lo, 0x7f800000, v16
	v_mov_b32_e32 v16, 0x80
	s_and_saveexec_b32 s27, vcc_lo
	s_cbranch_execz .LBB4_710
; %bb.703:                              ;   in Loop: Header=BB4_130 Depth=2
	v_mov_b32_e32 v16, 0
	s_mov_b32 s28, exec_lo
	v_cmpx_ne_u32_e32 0, v63
	s_cbranch_execz .LBB4_709
; %bb.704:                              ;   in Loop: Header=BB4_130 Depth=2
	v_bfe_u32 v16, v63, 23, 8
	v_and_b32_e32 v72, 0x7fffff, v63
	v_sub_nc_u32_e32 v73, 0x78, v16
	v_cmp_gt_u32_e32 vcc_lo, 0x79, v16
	v_or_b32_e32 v74, 0x800000, v72
	v_cndmask_b32_e32 v73, 0, v73, vcc_lo
	v_cmp_eq_u32_e32 vcc_lo, 0, v16
	v_add_nc_u32_e32 v16, 0xffffff89, v16
	v_cndmask_b32_e64 v73, v73, 0x77, vcc_lo
	v_cndmask_b32_e32 v72, v74, v72, vcc_lo
	v_cndmask_b32_e64 v16, v16, 0xffffff8a, vcc_lo
	v_lshl_add_u32 v74, 0x100000, v73, -1
	v_lshrrev_b32_e32 v75, v73, v72
	v_lshlrev_b32_e64 v77, v73, 0x80000
	v_add_nc_u32_e32 v73, v73, v16
	v_and_b32_e32 v72, v74, v72
	v_bfe_u32 v76, v75, 20, 1
	v_cmp_eq_u32_e64 s13, v72, v77
	v_add_nc_u32_e32 v74, -1, v76
	v_cndmask_b32_e64 v72, 0, v74, s13
	v_lshrrev_b32_e32 v74, 23, v75
	s_mov_b32 s13, exec_lo
	v_add_nc_u32_e32 v72, v72, v75
	v_xor_b32_e32 v74, 1, v74
	v_and_b32_e32 v16, 0xfffff, v72
	v_add_nc_u32_e32 v72, v16, v75
                                        ; implicit-def: $vgpr16
	v_cmpx_ne_u32_e64 v73, v74
	s_xor_b32 s13, exec_lo, s13
; %bb.705:                              ;   in Loop: Header=BB4_130 Depth=2
	v_cmp_lt_u32_e32 vcc_lo, 0xffffff, v72
	v_sub_nc_u32_e32 v16, v73, v74
	v_cndmask_b32_e64 v73, 0, 1, vcc_lo
	v_add_co_ci_u32_e64 v16, null, 0, v16, vcc_lo
	v_lshrrev_b32_e32 v72, v73, v72
; %bb.706:                              ;   in Loop: Header=BB4_130 Depth=2
	s_andn2_saveexec_b32 s13, s13
; %bb.707:                              ;   in Loop: Header=BB4_130 Depth=2
	v_bfe_u32 v16, v72, 23, 1
; %bb.708:                              ;   in Loop: Header=BB4_130 Depth=2
	s_or_b32 exec_lo, exec_lo, s13
	v_lshrrev_b32_e32 v72, 20, v72
	v_min_i32_e32 v73, 15, v16
	v_cmp_gt_i32_e32 vcc_lo, 16, v16
	v_and_b32_sdwa v63, v63, v114 dst_sel:DWORD dst_unused:UNUSED_PAD src0_sel:BYTE_3 src1_sel:DWORD
	v_lshlrev_b32_e32 v73, 3, v73
	v_cndmask_b32_e32 v72, 7, v72, vcc_lo
	v_and_b32_e32 v73, 0xf8, v73
	v_and_b32_e32 v74, 7, v72
	v_or_b32_e32 v16, v16, v72
	v_or3_b32 v63, v73, v63, v74
	v_cmp_ne_u32_e32 vcc_lo, 0, v16
	v_cndmask_b32_e32 v16, 0, v63, vcc_lo
.LBB4_709:                              ;   in Loop: Header=BB4_130 Depth=2
	s_or_b32 exec_lo, exec_lo, s28
.LBB4_710:                              ;   in Loop: Header=BB4_130 Depth=2
	s_or_b32 exec_lo, exec_lo, s27
	v_cmp_gt_i16_sdwa s27, v17, v101 src0_sel:BYTE_1 src1_sel:DWORD
	s_mov_b32 s13, 0
	s_and_saveexec_b32 s28, s27
	s_xor_b32 s27, exec_lo, s28
	s_cbranch_execz .LBB4_884
; %bb.711:                              ;   in Loop: Header=BB4_130 Depth=2
	v_cmp_eq_u16_sdwa s29, v17, v114 src0_sel:BYTE_1 src1_sel:DWORD
	s_mov_b32 s13, -1
	s_and_saveexec_b32 s28, s29
; %bb.712:                              ;   in Loop: Header=BB4_130 Depth=2
	s_xor_b32 s13, exec_lo, -1
; %bb.713:                              ;   in Loop: Header=BB4_130 Depth=2
	s_or_b32 exec_lo, exec_lo, s28
	s_and_b32 s13, s13, exec_lo
	s_or_saveexec_b32 s27, s27
	v_mov_b32_e32 v63, 0x7f800001
	s_xor_b32 exec_lo, exec_lo, s27
	s_cbranch_execnz .LBB4_885
.LBB4_714:                              ;   in Loop: Header=BB4_130 Depth=2
	s_or_b32 exec_lo, exec_lo, s27
	s_and_saveexec_b32 s27, s13
	s_cbranch_execz .LBB4_716
.LBB4_715:                              ;   in Loop: Header=BB4_130 Depth=2
	v_and_b32_sdwa v63, v115, v17 dst_sel:DWORD dst_unused:UNUSED_PAD src0_sel:DWORD src1_sel:BYTE_1
	v_and_b32_e32 v72, 7, v63
	v_bfe_u32 v75, v63, 3, 4
	v_ffbh_u32_e32 v73, v72
	v_cmp_eq_u32_e32 vcc_lo, 0, v75
	v_min_u32_e32 v73, 32, v73
	v_subrev_nc_u32_e32 v74, 28, v73
	v_sub_nc_u32_e32 v73, 29, v73
	v_lshlrev_b32_e32 v63, v74, v63
	v_lshlrev_b32_sdwa v74, v116, v17 dst_sel:DWORD dst_unused:UNUSED_PAD src0_sel:DWORD src1_sel:BYTE_1
	v_cndmask_b32_e32 v73, v75, v73, vcc_lo
	v_and_b32_e32 v63, 7, v63
	v_lshl_add_u32 v73, v73, 23, 0x3b800000
	v_cndmask_b32_e32 v63, v72, v63, vcc_lo
	v_and_b32_e32 v72, 0x80000000, v74
	v_lshlrev_b32_e32 v63, 20, v63
	v_or3_b32 v63, v72, v73, v63
.LBB4_716:                              ;   in Loop: Header=BB4_130 Depth=2
	s_or_b32 exec_lo, exec_lo, s27
	v_cmp_gt_i16_sdwa s27, v13, v101 src0_sel:BYTE_1 src1_sel:DWORD
	s_mov_b32 s13, 0
	s_and_saveexec_b32 s28, s27
	s_xor_b32 s27, exec_lo, s28
	s_cbranch_execz .LBB4_886
; %bb.717:                              ;   in Loop: Header=BB4_130 Depth=2
	v_cmp_eq_u16_sdwa s29, v13, v114 src0_sel:BYTE_1 src1_sel:DWORD
	s_mov_b32 s13, -1
	s_and_saveexec_b32 s28, s29
; %bb.718:                              ;   in Loop: Header=BB4_130 Depth=2
	s_xor_b32 s13, exec_lo, -1
; %bb.719:                              ;   in Loop: Header=BB4_130 Depth=2
	s_or_b32 exec_lo, exec_lo, s28
	s_and_b32 s13, s13, exec_lo
	s_or_saveexec_b32 s27, s27
	v_mov_b32_e32 v72, 0x7f800001
	s_xor_b32 exec_lo, exec_lo, s27
	s_cbranch_execnz .LBB4_887
.LBB4_720:                              ;   in Loop: Header=BB4_130 Depth=2
	s_or_b32 exec_lo, exec_lo, s27
	s_and_saveexec_b32 s27, s13
	s_cbranch_execz .LBB4_722
.LBB4_721:                              ;   in Loop: Header=BB4_130 Depth=2
	v_and_b32_sdwa v72, v115, v13 dst_sel:DWORD dst_unused:UNUSED_PAD src0_sel:DWORD src1_sel:BYTE_1
	v_and_b32_e32 v73, 7, v72
	v_bfe_u32 v76, v72, 3, 4
	v_ffbh_u32_e32 v74, v73
	v_cmp_eq_u32_e32 vcc_lo, 0, v76
	v_min_u32_e32 v74, 32, v74
	v_subrev_nc_u32_e32 v75, 28, v74
	v_sub_nc_u32_e32 v74, 29, v74
	v_lshlrev_b32_e32 v72, v75, v72
	v_lshlrev_b32_sdwa v75, v116, v13 dst_sel:DWORD dst_unused:UNUSED_PAD src0_sel:DWORD src1_sel:BYTE_1
	v_cndmask_b32_e32 v74, v76, v74, vcc_lo
	v_and_b32_e32 v72, 7, v72
	v_lshl_add_u32 v74, v74, 23, 0x3b800000
	v_cndmask_b32_e32 v72, v73, v72, vcc_lo
	v_and_b32_e32 v73, 0x80000000, v75
	v_lshlrev_b32_e32 v72, 20, v72
	v_or3_b32 v72, v73, v74, v72
.LBB4_722:                              ;   in Loop: Header=BB4_130 Depth=2
	s_or_b32 exec_lo, exec_lo, s27
	v_add_f32_e32 v72, v63, v72
	v_and_b32_e32 v63, 0x7f800000, v72
	v_cmp_ne_u32_e32 vcc_lo, 0x7f800000, v63
	v_mov_b32_e32 v63, 0x8000
	s_and_saveexec_b32 s27, vcc_lo
	s_cbranch_execz .LBB4_730
; %bb.723:                              ;   in Loop: Header=BB4_130 Depth=2
	v_mov_b32_e32 v63, 0
	s_mov_b32 s28, exec_lo
	v_cmpx_ne_u32_e32 0, v72
	s_cbranch_execz .LBB4_729
; %bb.724:                              ;   in Loop: Header=BB4_130 Depth=2
	v_bfe_u32 v63, v72, 23, 8
	v_and_b32_e32 v73, 0x7fffff, v72
	v_sub_nc_u32_e32 v74, 0x78, v63
	v_cmp_gt_u32_e32 vcc_lo, 0x79, v63
	v_or_b32_e32 v75, 0x800000, v73
	v_cndmask_b32_e32 v74, 0, v74, vcc_lo
	v_cmp_eq_u32_e32 vcc_lo, 0, v63
	v_add_nc_u32_e32 v63, 0xffffff89, v63
	v_cndmask_b32_e64 v74, v74, 0x77, vcc_lo
	v_cndmask_b32_e32 v73, v75, v73, vcc_lo
	v_cndmask_b32_e64 v63, v63, 0xffffff8a, vcc_lo
	v_lshl_add_u32 v75, 0x100000, v74, -1
	v_lshrrev_b32_e32 v76, v74, v73
	v_lshlrev_b32_e64 v78, v74, 0x80000
	v_add_nc_u32_e32 v74, v74, v63
	v_and_b32_e32 v73, v75, v73
	v_bfe_u32 v77, v76, 20, 1
	v_cmp_eq_u32_e64 s13, v73, v78
	v_add_nc_u32_e32 v75, -1, v77
	v_cndmask_b32_e64 v73, 0, v75, s13
	v_lshrrev_b32_e32 v75, 23, v76
	s_mov_b32 s13, exec_lo
	v_add_nc_u32_e32 v73, v73, v76
	v_xor_b32_e32 v75, 1, v75
	v_and_b32_e32 v63, 0xfffff, v73
	v_add_nc_u32_e32 v73, v63, v76
                                        ; implicit-def: $vgpr63
	v_cmpx_ne_u32_e64 v74, v75
	s_xor_b32 s13, exec_lo, s13
; %bb.725:                              ;   in Loop: Header=BB4_130 Depth=2
	v_cmp_lt_u32_e32 vcc_lo, 0xffffff, v73
	v_sub_nc_u32_e32 v63, v74, v75
	v_cndmask_b32_e64 v74, 0, 1, vcc_lo
	v_add_co_ci_u32_e64 v63, null, 0, v63, vcc_lo
	v_lshrrev_b32_e32 v73, v74, v73
; %bb.726:                              ;   in Loop: Header=BB4_130 Depth=2
	s_andn2_saveexec_b32 s13, s13
; %bb.727:                              ;   in Loop: Header=BB4_130 Depth=2
	v_bfe_u32 v63, v73, 23, 1
; %bb.728:                              ;   in Loop: Header=BB4_130 Depth=2
	s_or_b32 exec_lo, exec_lo, s13
	v_lshrrev_b32_e32 v73, 20, v73
	v_min_i32_e32 v74, 15, v63
	v_cmp_gt_i32_e32 vcc_lo, 16, v63
	v_and_b32_sdwa v72, v72, v114 dst_sel:DWORD dst_unused:UNUSED_PAD src0_sel:BYTE_3 src1_sel:DWORD
	v_lshlrev_b32_e32 v74, 3, v74
	v_cndmask_b32_e32 v73, 7, v73, vcc_lo
	v_and_b32_e32 v74, 0xf8, v74
	v_and_b32_e32 v75, 7, v73
	v_or_b32_e32 v63, v63, v73
	v_or3_b32 v72, v72, v74, v75
	v_cmp_ne_u32_e32 vcc_lo, 0, v63
	v_lshlrev_b32_e32 v72, 8, v72
	v_cndmask_b32_e32 v63, 0, v72, vcc_lo
.LBB4_729:                              ;   in Loop: Header=BB4_130 Depth=2
	s_or_b32 exec_lo, exec_lo, s28
.LBB4_730:                              ;   in Loop: Header=BB4_130 Depth=2
	s_or_b32 exec_lo, exec_lo, s27
	v_and_b32_sdwa v73, v17, v117 dst_sel:DWORD dst_unused:UNUSED_PAD src0_sel:WORD_1 src1_sel:DWORD
	s_mov_b32 s13, 0
	s_mov_b32 s27, exec_lo
	v_cmpx_lt_i16_e32 0x7f, v73
	s_xor_b32 s27, exec_lo, s27
	s_cbranch_execz .LBB4_888
; %bb.731:                              ;   in Loop: Header=BB4_130 Depth=2
	s_mov_b32 s13, -1
	s_mov_b32 s28, exec_lo
	v_cmpx_eq_u16_e32 0x80, v73
; %bb.732:                              ;   in Loop: Header=BB4_130 Depth=2
	s_xor_b32 s13, exec_lo, -1
; %bb.733:                              ;   in Loop: Header=BB4_130 Depth=2
	s_or_b32 exec_lo, exec_lo, s28
	s_and_b32 s13, s13, exec_lo
                                        ; implicit-def: $vgpr73
	s_or_saveexec_b32 s27, s27
	v_mov_b32_e32 v72, 0x7f800001
	s_xor_b32 exec_lo, exec_lo, s27
	s_cbranch_execnz .LBB4_889
.LBB4_734:                              ;   in Loop: Header=BB4_130 Depth=2
	s_or_b32 exec_lo, exec_lo, s27
	s_and_saveexec_b32 s27, s13
	s_cbranch_execz .LBB4_736
.LBB4_735:                              ;   in Loop: Header=BB4_130 Depth=2
	v_bfe_u32 v72, v17, 16, 3
	v_bfe_u32 v75, v17, 19, 4
	v_lshlrev_b32_e32 v76, 8, v17
	v_ffbh_u32_e32 v73, v72
	v_cmp_eq_u32_e32 vcc_lo, 0, v75
	v_min_u32_e32 v73, 32, v73
	v_subrev_nc_u32_e32 v74, 28, v73
	v_sub_nc_u32_e32 v73, 29, v73
	v_lshlrev_b32_sdwa v74, v74, v17 dst_sel:DWORD dst_unused:UNUSED_PAD src0_sel:DWORD src1_sel:WORD_1
	v_cndmask_b32_e32 v73, v75, v73, vcc_lo
	v_and_b32_e32 v74, 7, v74
	v_lshl_add_u32 v73, v73, 23, 0x3b800000
	v_cndmask_b32_e32 v72, v72, v74, vcc_lo
	v_and_b32_e32 v74, 0x80000000, v76
	v_lshlrev_b32_e32 v72, 20, v72
	v_or3_b32 v72, v74, v73, v72
.LBB4_736:                              ;   in Loop: Header=BB4_130 Depth=2
	s_or_b32 exec_lo, exec_lo, s27
	v_and_b32_sdwa v74, v13, v117 dst_sel:DWORD dst_unused:UNUSED_PAD src0_sel:WORD_1 src1_sel:DWORD
	s_mov_b32 s13, 0
	s_mov_b32 s27, exec_lo
	v_cmpx_lt_i16_e32 0x7f, v74
	s_xor_b32 s27, exec_lo, s27
	s_cbranch_execz .LBB4_890
; %bb.737:                              ;   in Loop: Header=BB4_130 Depth=2
	s_mov_b32 s13, -1
	s_mov_b32 s28, exec_lo
	v_cmpx_eq_u16_e32 0x80, v74
; %bb.738:                              ;   in Loop: Header=BB4_130 Depth=2
	s_xor_b32 s13, exec_lo, -1
; %bb.739:                              ;   in Loop: Header=BB4_130 Depth=2
	s_or_b32 exec_lo, exec_lo, s28
	s_and_b32 s13, s13, exec_lo
                                        ; implicit-def: $vgpr74
	s_or_saveexec_b32 s27, s27
	v_mov_b32_e32 v73, 0x7f800001
	s_xor_b32 exec_lo, exec_lo, s27
	s_cbranch_execnz .LBB4_891
.LBB4_740:                              ;   in Loop: Header=BB4_130 Depth=2
	s_or_b32 exec_lo, exec_lo, s27
	s_and_saveexec_b32 s27, s13
	s_cbranch_execz .LBB4_742
.LBB4_741:                              ;   in Loop: Header=BB4_130 Depth=2
	v_bfe_u32 v73, v13, 16, 3
	v_bfe_u32 v76, v13, 19, 4
	v_lshlrev_b32_e32 v77, 8, v13
	v_ffbh_u32_e32 v74, v73
	v_cmp_eq_u32_e32 vcc_lo, 0, v76
	v_min_u32_e32 v74, 32, v74
	v_subrev_nc_u32_e32 v75, 28, v74
	v_sub_nc_u32_e32 v74, 29, v74
	v_lshlrev_b32_sdwa v75, v75, v13 dst_sel:DWORD dst_unused:UNUSED_PAD src0_sel:DWORD src1_sel:WORD_1
	v_cndmask_b32_e32 v74, v76, v74, vcc_lo
	v_and_b32_e32 v75, 7, v75
	v_lshl_add_u32 v74, v74, 23, 0x3b800000
	v_cndmask_b32_e32 v73, v73, v75, vcc_lo
	v_and_b32_e32 v75, 0x80000000, v77
	v_lshlrev_b32_e32 v73, 20, v73
	v_or3_b32 v73, v75, v74, v73
.LBB4_742:                              ;   in Loop: Header=BB4_130 Depth=2
	s_or_b32 exec_lo, exec_lo, s27
	v_add_f32_e32 v73, v72, v73
	v_and_b32_e32 v72, 0x7f800000, v73
	v_cmp_ne_u32_e32 vcc_lo, 0x7f800000, v72
	v_mov_b32_e32 v72, 0x80
	s_and_saveexec_b32 s27, vcc_lo
	s_cbranch_execz .LBB4_750
; %bb.743:                              ;   in Loop: Header=BB4_130 Depth=2
	v_mov_b32_e32 v72, 0
	s_mov_b32 s28, exec_lo
	v_cmpx_ne_u32_e32 0, v73
	s_cbranch_execz .LBB4_749
; %bb.744:                              ;   in Loop: Header=BB4_130 Depth=2
	v_bfe_u32 v72, v73, 23, 8
	v_and_b32_e32 v74, 0x7fffff, v73
	v_sub_nc_u32_e32 v75, 0x78, v72
	v_cmp_gt_u32_e32 vcc_lo, 0x79, v72
	v_or_b32_e32 v76, 0x800000, v74
	v_cndmask_b32_e32 v75, 0, v75, vcc_lo
	v_cmp_eq_u32_e32 vcc_lo, 0, v72
	v_add_nc_u32_e32 v72, 0xffffff89, v72
	v_cndmask_b32_e64 v75, v75, 0x77, vcc_lo
	v_cndmask_b32_e32 v74, v76, v74, vcc_lo
	v_cndmask_b32_e64 v72, v72, 0xffffff8a, vcc_lo
	v_lshl_add_u32 v76, 0x100000, v75, -1
	v_lshrrev_b32_e32 v77, v75, v74
	v_lshlrev_b32_e64 v79, v75, 0x80000
	v_add_nc_u32_e32 v75, v75, v72
	v_and_b32_e32 v74, v76, v74
	v_bfe_u32 v78, v77, 20, 1
	v_cmp_eq_u32_e64 s13, v74, v79
	v_add_nc_u32_e32 v76, -1, v78
	v_cndmask_b32_e64 v74, 0, v76, s13
	v_lshrrev_b32_e32 v76, 23, v77
	s_mov_b32 s13, exec_lo
	v_add_nc_u32_e32 v74, v74, v77
	v_xor_b32_e32 v76, 1, v76
	v_and_b32_e32 v72, 0xfffff, v74
	v_add_nc_u32_e32 v74, v72, v77
                                        ; implicit-def: $vgpr72
	v_cmpx_ne_u32_e64 v75, v76
	s_xor_b32 s13, exec_lo, s13
; %bb.745:                              ;   in Loop: Header=BB4_130 Depth=2
	v_cmp_lt_u32_e32 vcc_lo, 0xffffff, v74
	v_sub_nc_u32_e32 v72, v75, v76
	v_cndmask_b32_e64 v75, 0, 1, vcc_lo
	v_add_co_ci_u32_e64 v72, null, 0, v72, vcc_lo
	v_lshrrev_b32_e32 v74, v75, v74
; %bb.746:                              ;   in Loop: Header=BB4_130 Depth=2
	s_andn2_saveexec_b32 s13, s13
; %bb.747:                              ;   in Loop: Header=BB4_130 Depth=2
	v_bfe_u32 v72, v74, 23, 1
; %bb.748:                              ;   in Loop: Header=BB4_130 Depth=2
	s_or_b32 exec_lo, exec_lo, s13
	v_lshrrev_b32_e32 v74, 20, v74
	v_min_i32_e32 v75, 15, v72
	v_cmp_gt_i32_e32 vcc_lo, 16, v72
	v_and_b32_sdwa v73, v73, v114 dst_sel:DWORD dst_unused:UNUSED_PAD src0_sel:BYTE_3 src1_sel:DWORD
	v_lshlrev_b32_e32 v75, 3, v75
	v_cndmask_b32_e32 v74, 7, v74, vcc_lo
	v_and_b32_e32 v75, 0xf8, v75
	v_and_b32_e32 v76, 7, v74
	v_or_b32_e32 v72, v72, v74
	v_or3_b32 v73, v75, v73, v76
	v_cmp_ne_u32_e32 vcc_lo, 0, v72
	v_cndmask_b32_e32 v72, 0, v73, vcc_lo
.LBB4_749:                              ;   in Loop: Header=BB4_130 Depth=2
	s_or_b32 exec_lo, exec_lo, s28
.LBB4_750:                              ;   in Loop: Header=BB4_130 Depth=2
	s_or_b32 exec_lo, exec_lo, s27
	v_cmp_gt_i16_sdwa s27, v17, v101 src0_sel:BYTE_3 src1_sel:DWORD
	s_mov_b32 s13, 0
	s_and_saveexec_b32 s28, s27
	s_xor_b32 s27, exec_lo, s28
	s_cbranch_execz .LBB4_892
; %bb.751:                              ;   in Loop: Header=BB4_130 Depth=2
	v_cmp_eq_u16_sdwa s29, v17, v114 src0_sel:BYTE_3 src1_sel:DWORD
	s_mov_b32 s13, -1
	s_and_saveexec_b32 s28, s29
; %bb.752:                              ;   in Loop: Header=BB4_130 Depth=2
	s_xor_b32 s13, exec_lo, -1
; %bb.753:                              ;   in Loop: Header=BB4_130 Depth=2
	s_or_b32 exec_lo, exec_lo, s28
	s_and_b32 s13, s13, exec_lo
	s_or_saveexec_b32 s27, s27
	v_mov_b32_e32 v73, 0x7f800001
	s_xor_b32 exec_lo, exec_lo, s27
	s_cbranch_execnz .LBB4_893
.LBB4_754:                              ;   in Loop: Header=BB4_130 Depth=2
	s_or_b32 exec_lo, exec_lo, s27
	s_and_saveexec_b32 s27, s13
	s_cbranch_execz .LBB4_756
.LBB4_755:                              ;   in Loop: Header=BB4_130 Depth=2
	v_bfe_u32 v73, v17, 24, 3
	v_bfe_u32 v76, v17, 27, 4
	v_ffbh_u32_e32 v74, v73
	v_cmp_eq_u32_e32 vcc_lo, 0, v76
	v_min_u32_e32 v74, 32, v74
	v_subrev_nc_u32_e32 v75, 28, v74
	v_sub_nc_u32_e32 v74, 29, v74
	v_lshlrev_b32_sdwa v75, v75, v17 dst_sel:DWORD dst_unused:UNUSED_PAD src0_sel:DWORD src1_sel:BYTE_3
	v_cndmask_b32_e32 v74, v76, v74, vcc_lo
	v_and_b32_e32 v17, 0x80000000, v17
	v_and_b32_e32 v75, 7, v75
	v_lshl_add_u32 v74, v74, 23, 0x3b800000
	v_cndmask_b32_e32 v73, v73, v75, vcc_lo
	v_lshlrev_b32_e32 v73, 20, v73
	v_or3_b32 v73, v17, v74, v73
.LBB4_756:                              ;   in Loop: Header=BB4_130 Depth=2
	s_or_b32 exec_lo, exec_lo, s27
	v_cmp_gt_i16_sdwa s27, v13, v101 src0_sel:BYTE_3 src1_sel:DWORD
	s_mov_b32 s13, 0
	s_and_saveexec_b32 s28, s27
	s_xor_b32 s27, exec_lo, s28
	s_cbranch_execz .LBB4_894
; %bb.757:                              ;   in Loop: Header=BB4_130 Depth=2
	v_cmp_eq_u16_sdwa s29, v13, v114 src0_sel:BYTE_3 src1_sel:DWORD
	s_mov_b32 s13, -1
	s_and_saveexec_b32 s28, s29
; %bb.758:                              ;   in Loop: Header=BB4_130 Depth=2
	s_xor_b32 s13, exec_lo, -1
; %bb.759:                              ;   in Loop: Header=BB4_130 Depth=2
	s_or_b32 exec_lo, exec_lo, s28
	s_and_b32 s13, s13, exec_lo
	s_or_saveexec_b32 s27, s27
	v_mov_b32_e32 v17, 0x7f800001
	s_xor_b32 exec_lo, exec_lo, s27
	s_cbranch_execnz .LBB4_895
.LBB4_760:                              ;   in Loop: Header=BB4_130 Depth=2
	s_or_b32 exec_lo, exec_lo, s27
	s_and_saveexec_b32 s27, s13
	s_cbranch_execz .LBB4_762
.LBB4_761:                              ;   in Loop: Header=BB4_130 Depth=2
	v_bfe_u32 v17, v13, 24, 3
	v_bfe_u32 v76, v13, 27, 4
	v_ffbh_u32_e32 v74, v17
	v_cmp_eq_u32_e32 vcc_lo, 0, v76
	v_min_u32_e32 v74, 32, v74
	v_subrev_nc_u32_e32 v75, 28, v74
	v_sub_nc_u32_e32 v74, 29, v74
	v_lshlrev_b32_sdwa v75, v75, v13 dst_sel:DWORD dst_unused:UNUSED_PAD src0_sel:DWORD src1_sel:BYTE_3
	v_cndmask_b32_e32 v74, v76, v74, vcc_lo
	v_and_b32_e32 v13, 0x80000000, v13
	v_and_b32_e32 v75, 7, v75
	v_lshl_add_u32 v74, v74, 23, 0x3b800000
	v_cndmask_b32_e32 v17, v17, v75, vcc_lo
	v_lshlrev_b32_e32 v17, 20, v17
	v_or3_b32 v17, v13, v74, v17
.LBB4_762:                              ;   in Loop: Header=BB4_130 Depth=2
	s_or_b32 exec_lo, exec_lo, s27
	v_add_f32_e32 v13, v73, v17
	v_and_b32_e32 v17, 0x7f800000, v13
	v_cmp_ne_u32_e32 vcc_lo, 0x7f800000, v17
	v_mov_b32_e32 v17, 0x8000
	s_and_saveexec_b32 s27, vcc_lo
	s_cbranch_execz .LBB4_129
; %bb.763:                              ;   in Loop: Header=BB4_130 Depth=2
	v_mov_b32_e32 v17, 0
	s_mov_b32 s28, exec_lo
	v_cmpx_ne_u32_e32 0, v13
	s_cbranch_execz .LBB4_128
; %bb.764:                              ;   in Loop: Header=BB4_130 Depth=2
	v_bfe_u32 v17, v13, 23, 8
	v_and_b32_e32 v73, 0x7fffff, v13
	v_sub_nc_u32_e32 v74, 0x78, v17
	v_cmp_gt_u32_e32 vcc_lo, 0x79, v17
	v_or_b32_e32 v75, 0x800000, v73
	v_cndmask_b32_e32 v74, 0, v74, vcc_lo
	v_cmp_eq_u32_e32 vcc_lo, 0, v17
	v_add_nc_u32_e32 v17, 0xffffff89, v17
	v_cndmask_b32_e64 v74, v74, 0x77, vcc_lo
	v_cndmask_b32_e32 v73, v75, v73, vcc_lo
	v_cndmask_b32_e64 v17, v17, 0xffffff8a, vcc_lo
	v_lshl_add_u32 v75, 0x100000, v74, -1
	v_lshrrev_b32_e32 v76, v74, v73
	v_lshlrev_b32_e64 v78, v74, 0x80000
	v_add_nc_u32_e32 v74, v74, v17
	v_and_b32_e32 v73, v75, v73
	v_bfe_u32 v77, v76, 20, 1
	v_cmp_eq_u32_e64 s13, v73, v78
	v_add_nc_u32_e32 v75, -1, v77
	v_cndmask_b32_e64 v73, 0, v75, s13
	v_lshrrev_b32_e32 v75, 23, v76
	s_mov_b32 s13, exec_lo
	v_add_nc_u32_e32 v73, v73, v76
	v_xor_b32_e32 v75, 1, v75
	v_and_b32_e32 v17, 0xfffff, v73
	v_add_nc_u32_e32 v73, v17, v76
                                        ; implicit-def: $vgpr17
	v_cmpx_ne_u32_e64 v74, v75
	s_xor_b32 s13, exec_lo, s13
; %bb.765:                              ;   in Loop: Header=BB4_130 Depth=2
	v_cmp_lt_u32_e32 vcc_lo, 0xffffff, v73
	v_sub_nc_u32_e32 v17, v74, v75
	v_cndmask_b32_e64 v74, 0, 1, vcc_lo
	v_add_co_ci_u32_e64 v17, null, 0, v17, vcc_lo
	v_lshrrev_b32_e32 v73, v74, v73
; %bb.766:                              ;   in Loop: Header=BB4_130 Depth=2
	s_andn2_saveexec_b32 s13, s13
	s_cbranch_execz .LBB4_127
; %bb.767:                              ;   in Loop: Header=BB4_130 Depth=2
	v_bfe_u32 v17, v73, 23, 1
	s_branch .LBB4_127
.LBB4_768:                              ;   in Loop: Header=BB4_130 Depth=2
	s_or_saveexec_b32 s27, s27
	v_mov_b32_e32 v40, 0x7f800001
	s_xor_b32 exec_lo, exec_lo, s27
	s_cbranch_execz .LBB4_134
.LBB4_769:                              ;   in Loop: Header=BB4_130 Depth=2
	v_cmp_ne_u16_sdwa s28, v22, v52 src0_sel:BYTE_0 src1_sel:DWORD
	v_mov_b32_e32 v40, 0
	s_andn2_b32 s13, s13, exec_lo
	s_and_b32 s28, s28, exec_lo
	s_or_b32 s13, s13, s28
	s_or_b32 exec_lo, exec_lo, s27
	s_and_saveexec_b32 s27, s13
	s_cbranch_execnz .LBB4_135
	s_branch .LBB4_136
.LBB4_770:                              ;   in Loop: Header=BB4_130 Depth=2
	s_or_saveexec_b32 s27, s27
	v_mov_b32_e32 v41, 0x7f800001
	s_xor_b32 exec_lo, exec_lo, s27
	s_cbranch_execz .LBB4_140
.LBB4_771:                              ;   in Loop: Header=BB4_130 Depth=2
	v_cmp_ne_u16_sdwa s28, v18, v52 src0_sel:BYTE_0 src1_sel:DWORD
	v_mov_b32_e32 v41, 0
	s_andn2_b32 s13, s13, exec_lo
	s_and_b32 s28, s28, exec_lo
	s_or_b32 s13, s13, s28
	s_or_b32 exec_lo, exec_lo, s27
	s_and_saveexec_b32 s27, s13
	s_cbranch_execnz .LBB4_141
	s_branch .LBB4_142
.LBB4_772:                              ;   in Loop: Header=BB4_130 Depth=2
	s_or_saveexec_b32 s27, s27
	v_mov_b32_e32 v41, 0x7f800001
	s_xor_b32 exec_lo, exec_lo, s27
	s_cbranch_execz .LBB4_154
.LBB4_773:                              ;   in Loop: Header=BB4_130 Depth=2
	v_cmp_ne_u16_sdwa s28, v22, v52 src0_sel:BYTE_1 src1_sel:DWORD
	v_mov_b32_e32 v41, 0
	s_andn2_b32 s13, s13, exec_lo
	s_and_b32 s28, s28, exec_lo
	s_or_b32 s13, s13, s28
	s_or_b32 exec_lo, exec_lo, s27
	s_and_saveexec_b32 s27, s13
	s_cbranch_execnz .LBB4_155
	s_branch .LBB4_156
.LBB4_774:                              ;   in Loop: Header=BB4_130 Depth=2
	s_or_saveexec_b32 s27, s27
	v_mov_b32_e32 v42, 0x7f800001
	s_xor_b32 exec_lo, exec_lo, s27
	s_cbranch_execz .LBB4_160
.LBB4_775:                              ;   in Loop: Header=BB4_130 Depth=2
	v_cmp_ne_u16_sdwa s28, v18, v52 src0_sel:BYTE_1 src1_sel:DWORD
	v_mov_b32_e32 v42, 0
	s_andn2_b32 s13, s13, exec_lo
	s_and_b32 s28, s28, exec_lo
	s_or_b32 s13, s13, s28
	s_or_b32 exec_lo, exec_lo, s27
	s_and_saveexec_b32 s27, s13
	s_cbranch_execnz .LBB4_161
	s_branch .LBB4_162
.LBB4_776:                              ;   in Loop: Header=BB4_130 Depth=2
	s_or_saveexec_b32 s27, s27
	v_mov_b32_e32 v42, 0x7f800001
	s_xor_b32 exec_lo, exec_lo, s27
	s_cbranch_execz .LBB4_174
.LBB4_777:                              ;   in Loop: Header=BB4_130 Depth=2
	v_cmp_ne_u16_e32 vcc_lo, 0, v43
	v_mov_b32_e32 v42, 0
	s_andn2_b32 s13, s13, exec_lo
	s_and_b32 s28, vcc_lo, exec_lo
	s_or_b32 s13, s13, s28
	s_or_b32 exec_lo, exec_lo, s27
	s_and_saveexec_b32 s27, s13
	s_cbranch_execnz .LBB4_175
	s_branch .LBB4_176
.LBB4_778:                              ;   in Loop: Header=BB4_130 Depth=2
	s_or_saveexec_b32 s27, s27
	v_mov_b32_e32 v43, 0x7f800001
	s_xor_b32 exec_lo, exec_lo, s27
	s_cbranch_execz .LBB4_180
.LBB4_779:                              ;   in Loop: Header=BB4_130 Depth=2
	v_cmp_ne_u16_e32 vcc_lo, 0, v44
	v_mov_b32_e32 v43, 0
	s_andn2_b32 s13, s13, exec_lo
	s_and_b32 s28, vcc_lo, exec_lo
	s_or_b32 s13, s13, s28
	s_or_b32 exec_lo, exec_lo, s27
	s_and_saveexec_b32 s27, s13
	s_cbranch_execnz .LBB4_181
	s_branch .LBB4_182
.LBB4_780:                              ;   in Loop: Header=BB4_130 Depth=2
	s_or_saveexec_b32 s27, s27
	v_mov_b32_e32 v43, 0x7f800001
	s_xor_b32 exec_lo, exec_lo, s27
	s_cbranch_execz .LBB4_194
.LBB4_781:                              ;   in Loop: Header=BB4_130 Depth=2
	v_cmp_ne_u16_sdwa s28, v22, v52 src0_sel:BYTE_3 src1_sel:DWORD
	v_mov_b32_e32 v43, 0
	s_andn2_b32 s13, s13, exec_lo
	s_and_b32 s28, s28, exec_lo
	s_or_b32 s13, s13, s28
	s_or_b32 exec_lo, exec_lo, s27
	s_and_saveexec_b32 s27, s13
	s_cbranch_execnz .LBB4_195
	s_branch .LBB4_196
.LBB4_782:                              ;   in Loop: Header=BB4_130 Depth=2
	s_or_saveexec_b32 s27, s27
	v_mov_b32_e32 v22, 0x7f800001
	s_xor_b32 exec_lo, exec_lo, s27
	s_cbranch_execz .LBB4_200
.LBB4_783:                              ;   in Loop: Header=BB4_130 Depth=2
	v_cmp_ne_u16_sdwa s28, v18, v52 src0_sel:BYTE_3 src1_sel:DWORD
	v_mov_b32_e32 v22, 0
	s_andn2_b32 s13, s13, exec_lo
	s_and_b32 s28, s28, exec_lo
	s_or_b32 s13, s13, s28
	s_or_b32 exec_lo, exec_lo, s27
	s_and_saveexec_b32 s27, s13
	s_cbranch_execnz .LBB4_201
	s_branch .LBB4_202
.LBB4_784:                              ;   in Loop: Header=BB4_130 Depth=2
	s_or_saveexec_b32 s27, s27
	v_mov_b32_e32 v22, 0x7f800001
	s_xor_b32 exec_lo, exec_lo, s27
	s_cbranch_execz .LBB4_214
.LBB4_785:                              ;   in Loop: Header=BB4_130 Depth=2
	v_cmp_ne_u16_sdwa s28, v23, v52 src0_sel:BYTE_0 src1_sel:DWORD
	v_mov_b32_e32 v22, 0
	s_andn2_b32 s13, s13, exec_lo
	s_and_b32 s28, s28, exec_lo
	s_or_b32 s13, s13, s28
	s_or_b32 exec_lo, exec_lo, s27
	s_and_saveexec_b32 s27, s13
	s_cbranch_execnz .LBB4_215
	s_branch .LBB4_216
.LBB4_786:                              ;   in Loop: Header=BB4_130 Depth=2
	s_or_saveexec_b32 s27, s27
	v_mov_b32_e32 v43, 0x7f800001
	s_xor_b32 exec_lo, exec_lo, s27
	s_cbranch_execz .LBB4_220
.LBB4_787:                              ;   in Loop: Header=BB4_130 Depth=2
	v_cmp_ne_u16_sdwa s28, v19, v52 src0_sel:BYTE_0 src1_sel:DWORD
	v_mov_b32_e32 v43, 0
	s_andn2_b32 s13, s13, exec_lo
	s_and_b32 s28, s28, exec_lo
	s_or_b32 s13, s13, s28
	s_or_b32 exec_lo, exec_lo, s27
	s_and_saveexec_b32 s27, s13
	s_cbranch_execnz .LBB4_221
	s_branch .LBB4_222
.LBB4_788:                              ;   in Loop: Header=BB4_130 Depth=2
	s_or_saveexec_b32 s27, s27
	v_mov_b32_e32 v43, 0x7f800001
	s_xor_b32 exec_lo, exec_lo, s27
	s_cbranch_execz .LBB4_234
.LBB4_789:                              ;   in Loop: Header=BB4_130 Depth=2
	v_cmp_ne_u16_sdwa s28, v23, v52 src0_sel:BYTE_1 src1_sel:DWORD
	v_mov_b32_e32 v43, 0
	s_andn2_b32 s13, s13, exec_lo
	s_and_b32 s28, s28, exec_lo
	s_or_b32 s13, s13, s28
	s_or_b32 exec_lo, exec_lo, s27
	s_and_saveexec_b32 s27, s13
	s_cbranch_execnz .LBB4_235
	s_branch .LBB4_236
.LBB4_790:                              ;   in Loop: Header=BB4_130 Depth=2
	s_or_saveexec_b32 s27, s27
	v_mov_b32_e32 v44, 0x7f800001
	s_xor_b32 exec_lo, exec_lo, s27
	s_cbranch_execz .LBB4_240
.LBB4_791:                              ;   in Loop: Header=BB4_130 Depth=2
	v_cmp_ne_u16_sdwa s28, v19, v52 src0_sel:BYTE_1 src1_sel:DWORD
	v_mov_b32_e32 v44, 0
	s_andn2_b32 s13, s13, exec_lo
	s_and_b32 s28, s28, exec_lo
	s_or_b32 s13, s13, s28
	s_or_b32 exec_lo, exec_lo, s27
	s_and_saveexec_b32 s27, s13
	s_cbranch_execnz .LBB4_241
	s_branch .LBB4_242
.LBB4_792:                              ;   in Loop: Header=BB4_130 Depth=2
	s_or_saveexec_b32 s27, s27
	v_mov_b32_e32 v44, 0x7f800001
	s_xor_b32 exec_lo, exec_lo, s27
	s_cbranch_execz .LBB4_254
.LBB4_793:                              ;   in Loop: Header=BB4_130 Depth=2
	v_cmp_ne_u16_e32 vcc_lo, 0, v45
	v_mov_b32_e32 v44, 0
	s_andn2_b32 s13, s13, exec_lo
	s_and_b32 s28, vcc_lo, exec_lo
	s_or_b32 s13, s13, s28
	s_or_b32 exec_lo, exec_lo, s27
	s_and_saveexec_b32 s27, s13
	s_cbranch_execnz .LBB4_255
	s_branch .LBB4_256
.LBB4_794:                              ;   in Loop: Header=BB4_130 Depth=2
	s_or_saveexec_b32 s27, s27
	v_mov_b32_e32 v45, 0x7f800001
	s_xor_b32 exec_lo, exec_lo, s27
	s_cbranch_execz .LBB4_260
.LBB4_795:                              ;   in Loop: Header=BB4_130 Depth=2
	v_cmp_ne_u16_e32 vcc_lo, 0, v46
	v_mov_b32_e32 v45, 0
	s_andn2_b32 s13, s13, exec_lo
	s_and_b32 s28, vcc_lo, exec_lo
	s_or_b32 s13, s13, s28
	s_or_b32 exec_lo, exec_lo, s27
	s_and_saveexec_b32 s27, s13
	s_cbranch_execnz .LBB4_261
	s_branch .LBB4_262
.LBB4_796:                              ;   in Loop: Header=BB4_130 Depth=2
	s_or_saveexec_b32 s27, s27
	v_mov_b32_e32 v45, 0x7f800001
	s_xor_b32 exec_lo, exec_lo, s27
	s_cbranch_execz .LBB4_274
.LBB4_797:                              ;   in Loop: Header=BB4_130 Depth=2
	v_cmp_ne_u16_sdwa s28, v23, v52 src0_sel:BYTE_3 src1_sel:DWORD
	v_mov_b32_e32 v45, 0
	s_andn2_b32 s13, s13, exec_lo
	s_and_b32 s28, s28, exec_lo
	s_or_b32 s13, s13, s28
	s_or_b32 exec_lo, exec_lo, s27
	s_and_saveexec_b32 s27, s13
	s_cbranch_execnz .LBB4_275
	s_branch .LBB4_276
.LBB4_798:                              ;   in Loop: Header=BB4_130 Depth=2
	s_or_saveexec_b32 s27, s27
	v_mov_b32_e32 v23, 0x7f800001
	s_xor_b32 exec_lo, exec_lo, s27
	s_cbranch_execz .LBB4_280
.LBB4_799:                              ;   in Loop: Header=BB4_130 Depth=2
	v_cmp_ne_u16_sdwa s28, v19, v52 src0_sel:BYTE_3 src1_sel:DWORD
	v_mov_b32_e32 v23, 0
	s_andn2_b32 s13, s13, exec_lo
	s_and_b32 s28, s28, exec_lo
	s_or_b32 s13, s13, s28
	s_or_b32 exec_lo, exec_lo, s27
	s_and_saveexec_b32 s27, s13
	s_cbranch_execnz .LBB4_281
	s_branch .LBB4_282
.LBB4_800:                              ;   in Loop: Header=BB4_130 Depth=2
	s_or_saveexec_b32 s27, s27
	v_mov_b32_e32 v23, 0x7f800001
	s_xor_b32 exec_lo, exec_lo, s27
	s_cbranch_execz .LBB4_294
.LBB4_801:                              ;   in Loop: Header=BB4_130 Depth=2
	v_cmp_ne_u16_sdwa s28, v24, v52 src0_sel:BYTE_0 src1_sel:DWORD
	v_mov_b32_e32 v23, 0
	s_andn2_b32 s13, s13, exec_lo
	s_and_b32 s28, s28, exec_lo
	s_or_b32 s13, s13, s28
	s_or_b32 exec_lo, exec_lo, s27
	s_and_saveexec_b32 s27, s13
	s_cbranch_execnz .LBB4_295
	s_branch .LBB4_296
.LBB4_802:                              ;   in Loop: Header=BB4_130 Depth=2
	s_or_saveexec_b32 s27, s27
	v_mov_b32_e32 v45, 0x7f800001
	s_xor_b32 exec_lo, exec_lo, s27
	s_cbranch_execz .LBB4_300
.LBB4_803:                              ;   in Loop: Header=BB4_130 Depth=2
	v_cmp_ne_u16_sdwa s28, v20, v52 src0_sel:BYTE_0 src1_sel:DWORD
	v_mov_b32_e32 v45, 0
	s_andn2_b32 s13, s13, exec_lo
	s_and_b32 s28, s28, exec_lo
	s_or_b32 s13, s13, s28
	s_or_b32 exec_lo, exec_lo, s27
	s_and_saveexec_b32 s27, s13
	s_cbranch_execnz .LBB4_301
	s_branch .LBB4_302
.LBB4_804:                              ;   in Loop: Header=BB4_130 Depth=2
	s_or_saveexec_b32 s27, s27
	v_mov_b32_e32 v45, 0x7f800001
	s_xor_b32 exec_lo, exec_lo, s27
	s_cbranch_execz .LBB4_314
.LBB4_805:                              ;   in Loop: Header=BB4_130 Depth=2
	v_cmp_ne_u16_sdwa s28, v24, v52 src0_sel:BYTE_1 src1_sel:DWORD
	v_mov_b32_e32 v45, 0
	s_andn2_b32 s13, s13, exec_lo
	s_and_b32 s28, s28, exec_lo
	s_or_b32 s13, s13, s28
	s_or_b32 exec_lo, exec_lo, s27
	s_and_saveexec_b32 s27, s13
	s_cbranch_execnz .LBB4_315
	s_branch .LBB4_316
.LBB4_806:                              ;   in Loop: Header=BB4_130 Depth=2
	s_or_saveexec_b32 s27, s27
	v_mov_b32_e32 v46, 0x7f800001
	s_xor_b32 exec_lo, exec_lo, s27
	s_cbranch_execz .LBB4_320
.LBB4_807:                              ;   in Loop: Header=BB4_130 Depth=2
	v_cmp_ne_u16_sdwa s28, v20, v52 src0_sel:BYTE_1 src1_sel:DWORD
	v_mov_b32_e32 v46, 0
	s_andn2_b32 s13, s13, exec_lo
	s_and_b32 s28, s28, exec_lo
	s_or_b32 s13, s13, s28
	s_or_b32 exec_lo, exec_lo, s27
	s_and_saveexec_b32 s27, s13
	s_cbranch_execnz .LBB4_321
	s_branch .LBB4_322
.LBB4_808:                              ;   in Loop: Header=BB4_130 Depth=2
	s_or_saveexec_b32 s27, s27
	v_mov_b32_e32 v46, 0x7f800001
	s_xor_b32 exec_lo, exec_lo, s27
	s_cbranch_execz .LBB4_334
.LBB4_809:                              ;   in Loop: Header=BB4_130 Depth=2
	v_cmp_ne_u16_e32 vcc_lo, 0, v47
	v_mov_b32_e32 v46, 0
	s_andn2_b32 s13, s13, exec_lo
	s_and_b32 s28, vcc_lo, exec_lo
	s_or_b32 s13, s13, s28
	s_or_b32 exec_lo, exec_lo, s27
	s_and_saveexec_b32 s27, s13
	s_cbranch_execnz .LBB4_335
	s_branch .LBB4_336
.LBB4_810:                              ;   in Loop: Header=BB4_130 Depth=2
	s_or_saveexec_b32 s27, s27
	v_mov_b32_e32 v47, 0x7f800001
	s_xor_b32 exec_lo, exec_lo, s27
	s_cbranch_execz .LBB4_340
.LBB4_811:                              ;   in Loop: Header=BB4_130 Depth=2
	v_cmp_ne_u16_e32 vcc_lo, 0, v56
	v_mov_b32_e32 v47, 0
	s_andn2_b32 s13, s13, exec_lo
	s_and_b32 s28, vcc_lo, exec_lo
	s_or_b32 s13, s13, s28
	s_or_b32 exec_lo, exec_lo, s27
	s_and_saveexec_b32 s27, s13
	s_cbranch_execnz .LBB4_341
	s_branch .LBB4_342
.LBB4_812:                              ;   in Loop: Header=BB4_130 Depth=2
	s_or_saveexec_b32 s27, s27
	v_mov_b32_e32 v47, 0x7f800001
	s_xor_b32 exec_lo, exec_lo, s27
	s_cbranch_execz .LBB4_354
.LBB4_813:                              ;   in Loop: Header=BB4_130 Depth=2
	v_cmp_ne_u16_sdwa s28, v24, v52 src0_sel:BYTE_3 src1_sel:DWORD
	v_mov_b32_e32 v47, 0
	s_andn2_b32 s13, s13, exec_lo
	s_and_b32 s28, s28, exec_lo
	s_or_b32 s13, s13, s28
	s_or_b32 exec_lo, exec_lo, s27
	s_and_saveexec_b32 s27, s13
	s_cbranch_execnz .LBB4_355
	s_branch .LBB4_356
.LBB4_814:                              ;   in Loop: Header=BB4_130 Depth=2
	s_or_saveexec_b32 s27, s27
	v_mov_b32_e32 v24, 0x7f800001
	s_xor_b32 exec_lo, exec_lo, s27
	s_cbranch_execz .LBB4_360
.LBB4_815:                              ;   in Loop: Header=BB4_130 Depth=2
	v_cmp_ne_u16_sdwa s28, v20, v52 src0_sel:BYTE_3 src1_sel:DWORD
	v_mov_b32_e32 v24, 0
	s_andn2_b32 s13, s13, exec_lo
	s_and_b32 s28, s28, exec_lo
	s_or_b32 s13, s13, s28
	s_or_b32 exec_lo, exec_lo, s27
	s_and_saveexec_b32 s27, s13
	s_cbranch_execnz .LBB4_361
	s_branch .LBB4_362
.LBB4_816:                              ;   in Loop: Header=BB4_130 Depth=2
	s_or_saveexec_b32 s27, s27
	v_mov_b32_e32 v24, 0x7f800001
	s_xor_b32 exec_lo, exec_lo, s27
	s_cbranch_execz .LBB4_374
.LBB4_817:                              ;   in Loop: Header=BB4_130 Depth=2
	v_cmp_ne_u16_sdwa s28, v25, v52 src0_sel:BYTE_0 src1_sel:DWORD
	v_mov_b32_e32 v24, 0
	s_andn2_b32 s13, s13, exec_lo
	s_and_b32 s28, s28, exec_lo
	s_or_b32 s13, s13, s28
	s_or_b32 exec_lo, exec_lo, s27
	s_and_saveexec_b32 s27, s13
	s_cbranch_execnz .LBB4_375
	s_branch .LBB4_376
.LBB4_818:                              ;   in Loop: Header=BB4_130 Depth=2
	s_or_saveexec_b32 s27, s27
	v_mov_b32_e32 v47, 0x7f800001
	s_xor_b32 exec_lo, exec_lo, s27
	s_cbranch_execz .LBB4_380
.LBB4_819:                              ;   in Loop: Header=BB4_130 Depth=2
	v_cmp_ne_u16_sdwa s28, v21, v52 src0_sel:BYTE_0 src1_sel:DWORD
	v_mov_b32_e32 v47, 0
	s_andn2_b32 s13, s13, exec_lo
	s_and_b32 s28, s28, exec_lo
	s_or_b32 s13, s13, s28
	s_or_b32 exec_lo, exec_lo, s27
	s_and_saveexec_b32 s27, s13
	s_cbranch_execnz .LBB4_381
	s_branch .LBB4_382
.LBB4_820:                              ;   in Loop: Header=BB4_130 Depth=2
	s_or_saveexec_b32 s27, s27
	v_mov_b32_e32 v47, 0x7f800001
	s_xor_b32 exec_lo, exec_lo, s27
	s_cbranch_execz .LBB4_394
.LBB4_821:                              ;   in Loop: Header=BB4_130 Depth=2
	v_cmp_ne_u16_sdwa s28, v25, v52 src0_sel:BYTE_1 src1_sel:DWORD
	v_mov_b32_e32 v47, 0
	s_andn2_b32 s13, s13, exec_lo
	s_and_b32 s28, s28, exec_lo
	s_or_b32 s13, s13, s28
	s_or_b32 exec_lo, exec_lo, s27
	s_and_saveexec_b32 s27, s13
	s_cbranch_execnz .LBB4_395
	s_branch .LBB4_396
.LBB4_822:                              ;   in Loop: Header=BB4_130 Depth=2
	s_or_saveexec_b32 s27, s27
	v_mov_b32_e32 v56, 0x7f800001
	s_xor_b32 exec_lo, exec_lo, s27
	s_cbranch_execz .LBB4_400
.LBB4_823:                              ;   in Loop: Header=BB4_130 Depth=2
	v_cmp_ne_u16_sdwa s28, v21, v52 src0_sel:BYTE_1 src1_sel:DWORD
	v_mov_b32_e32 v56, 0
	s_andn2_b32 s13, s13, exec_lo
	s_and_b32 s28, s28, exec_lo
	s_or_b32 s13, s13, s28
	s_or_b32 exec_lo, exec_lo, s27
	s_and_saveexec_b32 s27, s13
	s_cbranch_execnz .LBB4_401
	s_branch .LBB4_402
.LBB4_824:                              ;   in Loop: Header=BB4_130 Depth=2
	s_or_saveexec_b32 s27, s27
	v_mov_b32_e32 v56, 0x7f800001
	s_xor_b32 exec_lo, exec_lo, s27
	s_cbranch_execz .LBB4_414
.LBB4_825:                              ;   in Loop: Header=BB4_130 Depth=2
	v_cmp_ne_u16_e32 vcc_lo, 0, v57
	v_mov_b32_e32 v56, 0
	s_andn2_b32 s13, s13, exec_lo
	s_and_b32 s28, vcc_lo, exec_lo
	s_or_b32 s13, s13, s28
	s_or_b32 exec_lo, exec_lo, s27
	s_and_saveexec_b32 s27, s13
	s_cbranch_execnz .LBB4_415
	s_branch .LBB4_416
.LBB4_826:                              ;   in Loop: Header=BB4_130 Depth=2
	s_or_saveexec_b32 s27, s27
	v_mov_b32_e32 v57, 0x7f800001
	s_xor_b32 exec_lo, exec_lo, s27
	s_cbranch_execz .LBB4_420
.LBB4_827:                              ;   in Loop: Header=BB4_130 Depth=2
	v_cmp_ne_u16_e32 vcc_lo, 0, v58
	v_mov_b32_e32 v57, 0
	s_andn2_b32 s13, s13, exec_lo
	s_and_b32 s28, vcc_lo, exec_lo
	s_or_b32 s13, s13, s28
	s_or_b32 exec_lo, exec_lo, s27
	s_and_saveexec_b32 s27, s13
	s_cbranch_execnz .LBB4_421
	s_branch .LBB4_422
.LBB4_828:                              ;   in Loop: Header=BB4_130 Depth=2
	s_or_saveexec_b32 s27, s27
	v_mov_b32_e32 v57, 0x7f800001
	s_xor_b32 exec_lo, exec_lo, s27
	s_cbranch_execz .LBB4_434
.LBB4_829:                              ;   in Loop: Header=BB4_130 Depth=2
	v_cmp_ne_u16_sdwa s28, v25, v52 src0_sel:BYTE_3 src1_sel:DWORD
	v_mov_b32_e32 v57, 0
	s_andn2_b32 s13, s13, exec_lo
	s_and_b32 s28, s28, exec_lo
	s_or_b32 s13, s13, s28
	s_or_b32 exec_lo, exec_lo, s27
	s_and_saveexec_b32 s27, s13
	s_cbranch_execnz .LBB4_435
	s_branch .LBB4_436
.LBB4_830:                              ;   in Loop: Header=BB4_130 Depth=2
	s_or_saveexec_b32 s27, s27
	v_mov_b32_e32 v25, 0x7f800001
	s_xor_b32 exec_lo, exec_lo, s27
	s_cbranch_execz .LBB4_440
.LBB4_831:                              ;   in Loop: Header=BB4_130 Depth=2
	v_cmp_ne_u16_sdwa s28, v21, v52 src0_sel:BYTE_3 src1_sel:DWORD
	v_mov_b32_e32 v25, 0
	s_andn2_b32 s13, s13, exec_lo
	s_and_b32 s28, s28, exec_lo
	s_or_b32 s13, s13, s28
	s_or_b32 exec_lo, exec_lo, s27
	s_and_saveexec_b32 s27, s13
	s_cbranch_execnz .LBB4_441
	s_branch .LBB4_442
.LBB4_832:                              ;   in Loop: Header=BB4_130 Depth=2
	s_or_saveexec_b32 s27, s27
	v_mov_b32_e32 v25, 0x7f800001
	s_xor_b32 exec_lo, exec_lo, s27
	s_cbranch_execz .LBB4_454
.LBB4_833:                              ;   in Loop: Header=BB4_130 Depth=2
	v_cmp_ne_u16_sdwa s28, v14, v52 src0_sel:BYTE_0 src1_sel:DWORD
	v_mov_b32_e32 v25, 0
	s_andn2_b32 s13, s13, exec_lo
	s_and_b32 s28, s28, exec_lo
	s_or_b32 s13, s13, s28
	s_or_b32 exec_lo, exec_lo, s27
	s_and_saveexec_b32 s27, s13
	s_cbranch_execnz .LBB4_455
	s_branch .LBB4_456
.LBB4_834:                              ;   in Loop: Header=BB4_130 Depth=2
	s_or_saveexec_b32 s27, s27
	v_mov_b32_e32 v57, 0x7f800001
	s_xor_b32 exec_lo, exec_lo, s27
	s_cbranch_execz .LBB4_460
.LBB4_835:                              ;   in Loop: Header=BB4_130 Depth=2
	v_cmp_ne_u16_sdwa s28, v10, v52 src0_sel:BYTE_0 src1_sel:DWORD
	v_mov_b32_e32 v57, 0
	s_andn2_b32 s13, s13, exec_lo
	s_and_b32 s28, s28, exec_lo
	s_or_b32 s13, s13, s28
	s_or_b32 exec_lo, exec_lo, s27
	s_and_saveexec_b32 s27, s13
	s_cbranch_execnz .LBB4_461
	s_branch .LBB4_462
.LBB4_836:                              ;   in Loop: Header=BB4_130 Depth=2
	s_or_saveexec_b32 s27, s27
	v_mov_b32_e32 v57, 0x7f800001
	s_xor_b32 exec_lo, exec_lo, s27
	s_cbranch_execz .LBB4_474
.LBB4_837:                              ;   in Loop: Header=BB4_130 Depth=2
	v_cmp_ne_u16_sdwa s28, v14, v52 src0_sel:BYTE_1 src1_sel:DWORD
	v_mov_b32_e32 v57, 0
	s_andn2_b32 s13, s13, exec_lo
	s_and_b32 s28, s28, exec_lo
	s_or_b32 s13, s13, s28
	s_or_b32 exec_lo, exec_lo, s27
	s_and_saveexec_b32 s27, s13
	s_cbranch_execnz .LBB4_475
	s_branch .LBB4_476
.LBB4_838:                              ;   in Loop: Header=BB4_130 Depth=2
	s_or_saveexec_b32 s27, s27
	v_mov_b32_e32 v58, 0x7f800001
	s_xor_b32 exec_lo, exec_lo, s27
	s_cbranch_execz .LBB4_480
.LBB4_839:                              ;   in Loop: Header=BB4_130 Depth=2
	v_cmp_ne_u16_sdwa s28, v10, v52 src0_sel:BYTE_1 src1_sel:DWORD
	v_mov_b32_e32 v58, 0
	s_andn2_b32 s13, s13, exec_lo
	s_and_b32 s28, s28, exec_lo
	s_or_b32 s13, s13, s28
	s_or_b32 exec_lo, exec_lo, s27
	s_and_saveexec_b32 s27, s13
	s_cbranch_execnz .LBB4_481
	s_branch .LBB4_482
.LBB4_840:                              ;   in Loop: Header=BB4_130 Depth=2
	s_or_saveexec_b32 s27, s27
	v_mov_b32_e32 v58, 0x7f800001
	s_xor_b32 exec_lo, exec_lo, s27
	s_cbranch_execz .LBB4_494
.LBB4_841:                              ;   in Loop: Header=BB4_130 Depth=2
	v_cmp_ne_u16_e32 vcc_lo, 0, v59
	v_mov_b32_e32 v58, 0
	s_andn2_b32 s13, s13, exec_lo
	s_and_b32 s28, vcc_lo, exec_lo
	s_or_b32 s13, s13, s28
	s_or_b32 exec_lo, exec_lo, s27
	s_and_saveexec_b32 s27, s13
	s_cbranch_execnz .LBB4_495
	s_branch .LBB4_496
.LBB4_842:                              ;   in Loop: Header=BB4_130 Depth=2
	s_or_saveexec_b32 s27, s27
	v_mov_b32_e32 v59, 0x7f800001
	s_xor_b32 exec_lo, exec_lo, s27
	s_cbranch_execz .LBB4_500
.LBB4_843:                              ;   in Loop: Header=BB4_130 Depth=2
	v_cmp_ne_u16_e32 vcc_lo, 0, v60
	v_mov_b32_e32 v59, 0
	s_andn2_b32 s13, s13, exec_lo
	s_and_b32 s28, vcc_lo, exec_lo
	s_or_b32 s13, s13, s28
	s_or_b32 exec_lo, exec_lo, s27
	s_and_saveexec_b32 s27, s13
	s_cbranch_execnz .LBB4_501
	s_branch .LBB4_502
.LBB4_844:                              ;   in Loop: Header=BB4_130 Depth=2
	s_or_saveexec_b32 s27, s27
	v_mov_b32_e32 v59, 0x7f800001
	s_xor_b32 exec_lo, exec_lo, s27
	s_cbranch_execz .LBB4_514
.LBB4_845:                              ;   in Loop: Header=BB4_130 Depth=2
	v_cmp_ne_u16_sdwa s28, v14, v52 src0_sel:BYTE_3 src1_sel:DWORD
	v_mov_b32_e32 v59, 0
	s_andn2_b32 s13, s13, exec_lo
	s_and_b32 s28, s28, exec_lo
	s_or_b32 s13, s13, s28
	s_or_b32 exec_lo, exec_lo, s27
	s_and_saveexec_b32 s27, s13
	s_cbranch_execnz .LBB4_515
	s_branch .LBB4_516
.LBB4_846:                              ;   in Loop: Header=BB4_130 Depth=2
	s_or_saveexec_b32 s27, s27
	v_mov_b32_e32 v14, 0x7f800001
	s_xor_b32 exec_lo, exec_lo, s27
	s_cbranch_execz .LBB4_520
.LBB4_847:                              ;   in Loop: Header=BB4_130 Depth=2
	v_cmp_ne_u16_sdwa s28, v10, v52 src0_sel:BYTE_3 src1_sel:DWORD
	v_mov_b32_e32 v14, 0
	s_andn2_b32 s13, s13, exec_lo
	s_and_b32 s28, s28, exec_lo
	s_or_b32 s13, s13, s28
	s_or_b32 exec_lo, exec_lo, s27
	s_and_saveexec_b32 s27, s13
	s_cbranch_execnz .LBB4_521
	s_branch .LBB4_522
.LBB4_848:                              ;   in Loop: Header=BB4_130 Depth=2
	s_or_saveexec_b32 s27, s27
	v_mov_b32_e32 v14, 0x7f800001
	s_xor_b32 exec_lo, exec_lo, s27
	s_cbranch_execz .LBB4_534
.LBB4_849:                              ;   in Loop: Header=BB4_130 Depth=2
	v_cmp_ne_u16_sdwa s28, v15, v52 src0_sel:BYTE_0 src1_sel:DWORD
	v_mov_b32_e32 v14, 0
	s_andn2_b32 s13, s13, exec_lo
	s_and_b32 s28, s28, exec_lo
	s_or_b32 s13, s13, s28
	s_or_b32 exec_lo, exec_lo, s27
	s_and_saveexec_b32 s27, s13
	s_cbranch_execnz .LBB4_535
	s_branch .LBB4_536
.LBB4_850:                              ;   in Loop: Header=BB4_130 Depth=2
	s_or_saveexec_b32 s27, s27
	v_mov_b32_e32 v59, 0x7f800001
	s_xor_b32 exec_lo, exec_lo, s27
	s_cbranch_execz .LBB4_540
.LBB4_851:                              ;   in Loop: Header=BB4_130 Depth=2
	v_cmp_ne_u16_sdwa s28, v11, v52 src0_sel:BYTE_0 src1_sel:DWORD
	v_mov_b32_e32 v59, 0
	s_andn2_b32 s13, s13, exec_lo
	s_and_b32 s28, s28, exec_lo
	s_or_b32 s13, s13, s28
	s_or_b32 exec_lo, exec_lo, s27
	s_and_saveexec_b32 s27, s13
	s_cbranch_execnz .LBB4_541
	s_branch .LBB4_542
.LBB4_852:                              ;   in Loop: Header=BB4_130 Depth=2
	s_or_saveexec_b32 s27, s27
	v_mov_b32_e32 v59, 0x7f800001
	s_xor_b32 exec_lo, exec_lo, s27
	s_cbranch_execz .LBB4_554
.LBB4_853:                              ;   in Loop: Header=BB4_130 Depth=2
	v_cmp_ne_u16_sdwa s28, v15, v52 src0_sel:BYTE_1 src1_sel:DWORD
	v_mov_b32_e32 v59, 0
	s_andn2_b32 s13, s13, exec_lo
	s_and_b32 s28, s28, exec_lo
	s_or_b32 s13, s13, s28
	s_or_b32 exec_lo, exec_lo, s27
	s_and_saveexec_b32 s27, s13
	s_cbranch_execnz .LBB4_555
	s_branch .LBB4_556
.LBB4_854:                              ;   in Loop: Header=BB4_130 Depth=2
	s_or_saveexec_b32 s27, s27
	v_mov_b32_e32 v60, 0x7f800001
	s_xor_b32 exec_lo, exec_lo, s27
	s_cbranch_execz .LBB4_560
.LBB4_855:                              ;   in Loop: Header=BB4_130 Depth=2
	v_cmp_ne_u16_sdwa s28, v11, v52 src0_sel:BYTE_1 src1_sel:DWORD
	v_mov_b32_e32 v60, 0
	s_andn2_b32 s13, s13, exec_lo
	s_and_b32 s28, s28, exec_lo
	s_or_b32 s13, s13, s28
	s_or_b32 exec_lo, exec_lo, s27
	s_and_saveexec_b32 s27, s13
	s_cbranch_execnz .LBB4_561
	s_branch .LBB4_562
.LBB4_856:                              ;   in Loop: Header=BB4_130 Depth=2
	s_or_saveexec_b32 s27, s27
	v_mov_b32_e32 v60, 0x7f800001
	s_xor_b32 exec_lo, exec_lo, s27
	s_cbranch_execz .LBB4_574
.LBB4_857:                              ;   in Loop: Header=BB4_130 Depth=2
	v_cmp_ne_u16_e32 vcc_lo, 0, v61
	v_mov_b32_e32 v60, 0
	s_andn2_b32 s13, s13, exec_lo
	s_and_b32 s28, vcc_lo, exec_lo
	s_or_b32 s13, s13, s28
	s_or_b32 exec_lo, exec_lo, s27
	s_and_saveexec_b32 s27, s13
	s_cbranch_execnz .LBB4_575
	s_branch .LBB4_576
.LBB4_858:                              ;   in Loop: Header=BB4_130 Depth=2
	s_or_saveexec_b32 s27, s27
	v_mov_b32_e32 v61, 0x7f800001
	s_xor_b32 exec_lo, exec_lo, s27
	s_cbranch_execz .LBB4_580
.LBB4_859:                              ;   in Loop: Header=BB4_130 Depth=2
	v_cmp_ne_u16_e32 vcc_lo, 0, v62
	v_mov_b32_e32 v61, 0
	s_andn2_b32 s13, s13, exec_lo
	s_and_b32 s28, vcc_lo, exec_lo
	s_or_b32 s13, s13, s28
	s_or_b32 exec_lo, exec_lo, s27
	s_and_saveexec_b32 s27, s13
	s_cbranch_execnz .LBB4_581
	s_branch .LBB4_582
.LBB4_860:                              ;   in Loop: Header=BB4_130 Depth=2
	s_or_saveexec_b32 s27, s27
	v_mov_b32_e32 v61, 0x7f800001
	s_xor_b32 exec_lo, exec_lo, s27
	s_cbranch_execz .LBB4_594
.LBB4_861:                              ;   in Loop: Header=BB4_130 Depth=2
	v_cmp_ne_u16_sdwa s28, v15, v52 src0_sel:BYTE_3 src1_sel:DWORD
	v_mov_b32_e32 v61, 0
	s_andn2_b32 s13, s13, exec_lo
	s_and_b32 s28, s28, exec_lo
	s_or_b32 s13, s13, s28
	s_or_b32 exec_lo, exec_lo, s27
	s_and_saveexec_b32 s27, s13
	s_cbranch_execnz .LBB4_595
	s_branch .LBB4_596
.LBB4_862:                              ;   in Loop: Header=BB4_130 Depth=2
	s_or_saveexec_b32 s27, s27
	v_mov_b32_e32 v15, 0x7f800001
	s_xor_b32 exec_lo, exec_lo, s27
	s_cbranch_execz .LBB4_600
.LBB4_863:                              ;   in Loop: Header=BB4_130 Depth=2
	v_cmp_ne_u16_sdwa s28, v11, v52 src0_sel:BYTE_3 src1_sel:DWORD
	v_mov_b32_e32 v15, 0
	s_andn2_b32 s13, s13, exec_lo
	s_and_b32 s28, s28, exec_lo
	s_or_b32 s13, s13, s28
	s_or_b32 exec_lo, exec_lo, s27
	s_and_saveexec_b32 s27, s13
	s_cbranch_execnz .LBB4_601
	s_branch .LBB4_602
.LBB4_864:                              ;   in Loop: Header=BB4_130 Depth=2
	s_or_saveexec_b32 s27, s27
	v_mov_b32_e32 v15, 0x7f800001
	s_xor_b32 exec_lo, exec_lo, s27
	s_cbranch_execz .LBB4_614
.LBB4_865:                              ;   in Loop: Header=BB4_130 Depth=2
	v_cmp_ne_u16_sdwa s28, v16, v52 src0_sel:BYTE_0 src1_sel:DWORD
	v_mov_b32_e32 v15, 0
	s_andn2_b32 s13, s13, exec_lo
	s_and_b32 s28, s28, exec_lo
	s_or_b32 s13, s13, s28
	s_or_b32 exec_lo, exec_lo, s27
	s_and_saveexec_b32 s27, s13
	s_cbranch_execnz .LBB4_615
	s_branch .LBB4_616
.LBB4_866:                              ;   in Loop: Header=BB4_130 Depth=2
	s_or_saveexec_b32 s27, s27
	v_mov_b32_e32 v61, 0x7f800001
	s_xor_b32 exec_lo, exec_lo, s27
	s_cbranch_execz .LBB4_620
.LBB4_867:                              ;   in Loop: Header=BB4_130 Depth=2
	v_cmp_ne_u16_sdwa s28, v12, v52 src0_sel:BYTE_0 src1_sel:DWORD
	v_mov_b32_e32 v61, 0
	s_andn2_b32 s13, s13, exec_lo
	s_and_b32 s28, s28, exec_lo
	s_or_b32 s13, s13, s28
	s_or_b32 exec_lo, exec_lo, s27
	s_and_saveexec_b32 s27, s13
	s_cbranch_execnz .LBB4_621
	s_branch .LBB4_622
.LBB4_868:                              ;   in Loop: Header=BB4_130 Depth=2
	s_or_saveexec_b32 s27, s27
	v_mov_b32_e32 v61, 0x7f800001
	s_xor_b32 exec_lo, exec_lo, s27
	s_cbranch_execz .LBB4_634
.LBB4_869:                              ;   in Loop: Header=BB4_130 Depth=2
	v_cmp_ne_u16_sdwa s28, v16, v52 src0_sel:BYTE_1 src1_sel:DWORD
	v_mov_b32_e32 v61, 0
	s_andn2_b32 s13, s13, exec_lo
	s_and_b32 s28, s28, exec_lo
	s_or_b32 s13, s13, s28
	s_or_b32 exec_lo, exec_lo, s27
	s_and_saveexec_b32 s27, s13
	s_cbranch_execnz .LBB4_635
	s_branch .LBB4_636
.LBB4_870:                              ;   in Loop: Header=BB4_130 Depth=2
	s_or_saveexec_b32 s27, s27
	v_mov_b32_e32 v62, 0x7f800001
	s_xor_b32 exec_lo, exec_lo, s27
	s_cbranch_execz .LBB4_640
.LBB4_871:                              ;   in Loop: Header=BB4_130 Depth=2
	v_cmp_ne_u16_sdwa s28, v12, v52 src0_sel:BYTE_1 src1_sel:DWORD
	v_mov_b32_e32 v62, 0
	s_andn2_b32 s13, s13, exec_lo
	s_and_b32 s28, s28, exec_lo
	s_or_b32 s13, s13, s28
	s_or_b32 exec_lo, exec_lo, s27
	s_and_saveexec_b32 s27, s13
	s_cbranch_execnz .LBB4_641
	s_branch .LBB4_642
.LBB4_872:                              ;   in Loop: Header=BB4_130 Depth=2
	s_or_saveexec_b32 s27, s27
	v_mov_b32_e32 v62, 0x7f800001
	s_xor_b32 exec_lo, exec_lo, s27
	s_cbranch_execz .LBB4_654
.LBB4_873:                              ;   in Loop: Header=BB4_130 Depth=2
	v_cmp_ne_u16_e32 vcc_lo, 0, v63
	v_mov_b32_e32 v62, 0
	s_andn2_b32 s13, s13, exec_lo
	s_and_b32 s28, vcc_lo, exec_lo
	s_or_b32 s13, s13, s28
	s_or_b32 exec_lo, exec_lo, s27
	s_and_saveexec_b32 s27, s13
	s_cbranch_execnz .LBB4_655
	s_branch .LBB4_656
.LBB4_874:                              ;   in Loop: Header=BB4_130 Depth=2
	s_or_saveexec_b32 s27, s27
	v_mov_b32_e32 v63, 0x7f800001
	s_xor_b32 exec_lo, exec_lo, s27
	s_cbranch_execz .LBB4_660
.LBB4_875:                              ;   in Loop: Header=BB4_130 Depth=2
	v_cmp_ne_u16_e32 vcc_lo, 0, v72
	v_mov_b32_e32 v63, 0
	s_andn2_b32 s13, s13, exec_lo
	s_and_b32 s28, vcc_lo, exec_lo
	s_or_b32 s13, s13, s28
	s_or_b32 exec_lo, exec_lo, s27
	s_and_saveexec_b32 s27, s13
	s_cbranch_execnz .LBB4_661
	s_branch .LBB4_662
.LBB4_876:                              ;   in Loop: Header=BB4_130 Depth=2
	s_or_saveexec_b32 s27, s27
	v_mov_b32_e32 v63, 0x7f800001
	s_xor_b32 exec_lo, exec_lo, s27
	s_cbranch_execz .LBB4_674
.LBB4_877:                              ;   in Loop: Header=BB4_130 Depth=2
	v_cmp_ne_u16_sdwa s28, v16, v52 src0_sel:BYTE_3 src1_sel:DWORD
	v_mov_b32_e32 v63, 0
	s_andn2_b32 s13, s13, exec_lo
	s_and_b32 s28, s28, exec_lo
	s_or_b32 s13, s13, s28
	s_or_b32 exec_lo, exec_lo, s27
	s_and_saveexec_b32 s27, s13
	s_cbranch_execnz .LBB4_675
	s_branch .LBB4_676
.LBB4_878:                              ;   in Loop: Header=BB4_130 Depth=2
	s_or_saveexec_b32 s27, s27
	v_mov_b32_e32 v16, 0x7f800001
	s_xor_b32 exec_lo, exec_lo, s27
	s_cbranch_execz .LBB4_680
.LBB4_879:                              ;   in Loop: Header=BB4_130 Depth=2
	v_cmp_ne_u16_sdwa s28, v12, v52 src0_sel:BYTE_3 src1_sel:DWORD
	v_mov_b32_e32 v16, 0
	s_andn2_b32 s13, s13, exec_lo
	s_and_b32 s28, s28, exec_lo
	s_or_b32 s13, s13, s28
	s_or_b32 exec_lo, exec_lo, s27
	s_and_saveexec_b32 s27, s13
	s_cbranch_execnz .LBB4_681
	s_branch .LBB4_682
.LBB4_880:                              ;   in Loop: Header=BB4_130 Depth=2
	s_or_saveexec_b32 s27, s27
	v_mov_b32_e32 v16, 0x7f800001
	s_xor_b32 exec_lo, exec_lo, s27
	s_cbranch_execz .LBB4_694
.LBB4_881:                              ;   in Loop: Header=BB4_130 Depth=2
	v_cmp_ne_u16_sdwa s28, v17, v52 src0_sel:BYTE_0 src1_sel:DWORD
	v_mov_b32_e32 v16, 0
	s_andn2_b32 s13, s13, exec_lo
	s_and_b32 s28, s28, exec_lo
	s_or_b32 s13, s13, s28
	s_or_b32 exec_lo, exec_lo, s27
	s_and_saveexec_b32 s27, s13
	s_cbranch_execnz .LBB4_695
	s_branch .LBB4_696
.LBB4_882:                              ;   in Loop: Header=BB4_130 Depth=2
	s_or_saveexec_b32 s27, s27
	v_mov_b32_e32 v63, 0x7f800001
	s_xor_b32 exec_lo, exec_lo, s27
	s_cbranch_execz .LBB4_700
.LBB4_883:                              ;   in Loop: Header=BB4_130 Depth=2
	v_cmp_ne_u16_sdwa s28, v13, v52 src0_sel:BYTE_0 src1_sel:DWORD
	v_mov_b32_e32 v63, 0
	s_andn2_b32 s13, s13, exec_lo
	s_and_b32 s28, s28, exec_lo
	s_or_b32 s13, s13, s28
	s_or_b32 exec_lo, exec_lo, s27
	s_and_saveexec_b32 s27, s13
	s_cbranch_execnz .LBB4_701
	s_branch .LBB4_702
.LBB4_884:                              ;   in Loop: Header=BB4_130 Depth=2
	s_or_saveexec_b32 s27, s27
	v_mov_b32_e32 v63, 0x7f800001
	s_xor_b32 exec_lo, exec_lo, s27
	s_cbranch_execz .LBB4_714
.LBB4_885:                              ;   in Loop: Header=BB4_130 Depth=2
	v_cmp_ne_u16_sdwa s28, v17, v52 src0_sel:BYTE_1 src1_sel:DWORD
	v_mov_b32_e32 v63, 0
	s_andn2_b32 s13, s13, exec_lo
	s_and_b32 s28, s28, exec_lo
	s_or_b32 s13, s13, s28
	s_or_b32 exec_lo, exec_lo, s27
	s_and_saveexec_b32 s27, s13
	s_cbranch_execnz .LBB4_715
	s_branch .LBB4_716
.LBB4_886:                              ;   in Loop: Header=BB4_130 Depth=2
	s_or_saveexec_b32 s27, s27
	v_mov_b32_e32 v72, 0x7f800001
	s_xor_b32 exec_lo, exec_lo, s27
	s_cbranch_execz .LBB4_720
.LBB4_887:                              ;   in Loop: Header=BB4_130 Depth=2
	v_cmp_ne_u16_sdwa s28, v13, v52 src0_sel:BYTE_1 src1_sel:DWORD
	v_mov_b32_e32 v72, 0
	s_andn2_b32 s13, s13, exec_lo
	s_and_b32 s28, s28, exec_lo
	s_or_b32 s13, s13, s28
	s_or_b32 exec_lo, exec_lo, s27
	s_and_saveexec_b32 s27, s13
	s_cbranch_execnz .LBB4_721
	s_branch .LBB4_722
.LBB4_888:                              ;   in Loop: Header=BB4_130 Depth=2
	s_or_saveexec_b32 s27, s27
	v_mov_b32_e32 v72, 0x7f800001
	s_xor_b32 exec_lo, exec_lo, s27
	s_cbranch_execz .LBB4_734
.LBB4_889:                              ;   in Loop: Header=BB4_130 Depth=2
	v_cmp_ne_u16_e32 vcc_lo, 0, v73
	v_mov_b32_e32 v72, 0
	s_andn2_b32 s13, s13, exec_lo
	s_and_b32 s28, vcc_lo, exec_lo
	s_or_b32 s13, s13, s28
	s_or_b32 exec_lo, exec_lo, s27
	s_and_saveexec_b32 s27, s13
	s_cbranch_execnz .LBB4_735
	s_branch .LBB4_736
.LBB4_890:                              ;   in Loop: Header=BB4_130 Depth=2
	s_or_saveexec_b32 s27, s27
	v_mov_b32_e32 v73, 0x7f800001
	s_xor_b32 exec_lo, exec_lo, s27
	s_cbranch_execz .LBB4_740
.LBB4_891:                              ;   in Loop: Header=BB4_130 Depth=2
	v_cmp_ne_u16_e32 vcc_lo, 0, v74
	v_mov_b32_e32 v73, 0
	s_andn2_b32 s13, s13, exec_lo
	s_and_b32 s28, vcc_lo, exec_lo
	s_or_b32 s13, s13, s28
	s_or_b32 exec_lo, exec_lo, s27
	s_and_saveexec_b32 s27, s13
	s_cbranch_execnz .LBB4_741
	s_branch .LBB4_742
.LBB4_892:                              ;   in Loop: Header=BB4_130 Depth=2
	s_or_saveexec_b32 s27, s27
	v_mov_b32_e32 v73, 0x7f800001
	s_xor_b32 exec_lo, exec_lo, s27
	s_cbranch_execz .LBB4_754
.LBB4_893:                              ;   in Loop: Header=BB4_130 Depth=2
	v_cmp_ne_u16_sdwa s28, v17, v52 src0_sel:BYTE_3 src1_sel:DWORD
	v_mov_b32_e32 v73, 0
	s_andn2_b32 s13, s13, exec_lo
	s_and_b32 s28, s28, exec_lo
	s_or_b32 s13, s13, s28
	s_or_b32 exec_lo, exec_lo, s27
	s_and_saveexec_b32 s27, s13
	s_cbranch_execnz .LBB4_755
	s_branch .LBB4_756
.LBB4_894:                              ;   in Loop: Header=BB4_130 Depth=2
	s_or_saveexec_b32 s27, s27
	v_mov_b32_e32 v17, 0x7f800001
	s_xor_b32 exec_lo, exec_lo, s27
	s_cbranch_execz .LBB4_760
.LBB4_895:                              ;   in Loop: Header=BB4_130 Depth=2
	v_cmp_ne_u16_sdwa s28, v13, v52 src0_sel:BYTE_3 src1_sel:DWORD
	v_mov_b32_e32 v17, 0
	s_andn2_b32 s13, s13, exec_lo
	s_and_b32 s28, s28, exec_lo
	s_or_b32 s13, s13, s28
	s_or_b32 exec_lo, exec_lo, s27
	s_and_saveexec_b32 s27, s13
	s_cbranch_execnz .LBB4_761
	s_branch .LBB4_762
.LBB4_896:                              ;   in Loop: Header=BB4_49 Depth=1
	s_or_b32 exec_lo, exec_lo, s26
.LBB4_897:                              ;   in Loop: Header=BB4_49 Depth=1
	s_or_b32 exec_lo, exec_lo, s14
	v_and_b32_e32 v11, 0x3ffffc00, v53
	v_mov_b32_e32 v16, 0
	s_mov_b32 s13, 0
	s_mov_b32 s26, exec_lo
                                        ; implicit-def: $vgpr17
                                        ; implicit-def: $vgpr18
                                        ; implicit-def: $vgpr10
	v_cmpx_ne_u32_e64 v53, v11
	s_cbranch_execz .LBB4_1289
; %bb.898:                              ;   in Loop: Header=BB4_49 Depth=1
	v_lshlrev_b32_e32 v10, 5, v119
	v_and_b32_e32 v70, 0x1ff, v53
	v_bfe_u32 v14, v53, 9, 1
	s_mov_b32 s27, exec_lo
	v_sub_nc_u32_e32 v10, v100, v10
	v_cmp_lt_u32_e32 vcc_lo, 15, v70
	v_ashrrev_i32_e32 v12, 31, v10
	v_add_co_ci_u32_e64 v14, null, 0, v14, vcc_lo
	v_lshrrev_b32_e32 v12, 27, v12
	v_add_nc_u32_e32 v12, v10, v12
	v_and_b32_e32 v13, 0xffffffe0, v12
	v_ashrrev_i32_e32 v12, 5, v12
	v_sub_nc_u32_e32 v24, v10, v13
	v_and_b32_e32 v13, 0x3ff, v53
	v_sub_nc_u32_e32 v25, v14, v12
	v_lshlrev_b32_e32 v10, 4, v24
	v_lshl_add_u32 v10, v12, 9, v10
	v_sub_nc_u32_e32 v71, v13, v10
	v_cmpx_lt_i32_e32 15, v71
	s_cbranch_execz .LBB4_1286
; %bb.899:                              ;   in Loop: Header=BB4_49 Depth=1
	s_trap 2
	ds_read_b64 v[12:13], v0
	v_add_nc_u32_e32 v10, v10, v11
	s_mov_b32 s28, 0
	v_ashrrev_i32_e32 v11, 31, v10
	v_add_co_u32 v18, s13, v10, v66
	v_add_co_ci_u32_e64 v19, null, v11, v67, s13
	s_waitcnt lgkmcnt(0)
	v_add_co_u32 v20, s13, v12, v10
	v_add_co_ci_u32_e64 v21, null, v13, v11, s13
	v_add_co_u32 v22, s13, v10, v68
	v_add_co_ci_u32_e64 v23, null, v11, v69, s13
	s_branch .LBB4_903
.LBB4_900:                              ;   in Loop: Header=BB4_903 Depth=2
	s_or_b32 exec_lo, exec_lo, s13
	v_lshrrev_b32_e32 v44, 20, v44
	v_min_i32_e32 v45, 15, v17
	v_cmp_gt_i32_e64 s13, 16, v17
	v_and_b32_sdwa v13, v13, v114 dst_sel:DWORD dst_unused:UNUSED_PAD src0_sel:BYTE_3 src1_sel:DWORD
	v_lshlrev_b32_e32 v45, 3, v45
	v_cndmask_b32_e64 v44, 7, v44, s13
	v_and_b32_e32 v45, 0xf8, v45
	v_and_b32_e32 v46, 7, v44
	v_or_b32_e32 v17, v17, v44
	v_or3_b32 v13, v13, v45, v46
	v_cmp_ne_u32_e64 s13, 0, v17
	v_lshlrev_b32_e32 v13, 8, v13
	v_cndmask_b32_e64 v17, 0, v13, s13
.LBB4_901:                              ;   in Loop: Header=BB4_903 Depth=2
	s_or_b32 exec_lo, exec_lo, s40
.LBB4_902:                              ;   in Loop: Header=BB4_903 Depth=2
	s_or_b32 exec_lo, exec_lo, s29
	v_or_b32_sdwa v11, v11, v119 dst_sel:WORD_1 dst_unused:UNUSED_PAD src0_sel:DWORD src1_sel:DWORD
	v_or_b32_sdwa v10, v10, v82 dst_sel:WORD_1 dst_unused:UNUSED_PAD src0_sel:DWORD src1_sel:DWORD
	;; [unrolled: 1-line block ×4, first 2 shown]
	v_sub_nc_u32_e32 v71, v71, v112
	v_or3_b32 v11, v83, v14, v11
	v_or3_b32 v10, v81, v80, v10
	;; [unrolled: 1-line block ×4, first 2 shown]
	v_add_co_u32 v18, s13, v18, v112
	v_add_co_ci_u32_e64 v19, null, 0, v19, s13
	v_add_co_u32 v20, s13, v20, v112
	global_store_dwordx4 v[22:23], v[10:13], off glc slc
	v_add_co_ci_u32_e64 v21, null, 0, v21, s13
	v_cmp_gt_i32_e64 s13, 16, v71
	v_add_co_u32 v22, s14, v22, v112
	v_add_co_ci_u32_e64 v23, null, 0, v23, s14
	v_sub_nc_u32_e32 v25, v25, v87
	s_or_b32 s28, s13, s28
	s_andn2_b32 exec_lo, exec_lo, s28
	s_cbranch_execz .LBB4_1285
.LBB4_903:                              ;   Parent Loop BB4_49 Depth=1
                                        ; =>  This Inner Loop Header: Depth=2
	global_load_dwordx4 v[14:17], v[18:19], off slc
	global_load_dwordx4 v[10:13], v[20:21], off slc
	s_mov_b32 s13, 0
	s_waitcnt vmcnt(1)
	v_cmp_gt_i16_sdwa s14, v14, v101 src0_sel:BYTE_0 src1_sel:DWORD
	s_and_saveexec_b32 s29, s14
	s_xor_b32 s14, exec_lo, s29
	s_cbranch_execz .LBB4_1221
; %bb.904:                              ;   in Loop: Header=BB4_903 Depth=2
	v_cmp_eq_u16_sdwa s40, v14, v114 src0_sel:BYTE_0 src1_sel:DWORD
	s_mov_b32 s13, -1
	s_and_saveexec_b32 s29, s40
; %bb.905:                              ;   in Loop: Header=BB4_903 Depth=2
	s_xor_b32 s13, exec_lo, -1
; %bb.906:                              ;   in Loop: Header=BB4_903 Depth=2
	s_or_b32 exec_lo, exec_lo, s29
	s_and_b32 s13, s13, exec_lo
	s_or_saveexec_b32 s14, s14
	v_mov_b32_e32 v80, 0x7f800001
	s_xor_b32 exec_lo, exec_lo, s14
	s_cbranch_execnz .LBB4_1222
.LBB4_907:                              ;   in Loop: Header=BB4_903 Depth=2
	s_or_b32 exec_lo, exec_lo, s14
	s_and_saveexec_b32 s14, s13
	s_cbranch_execz .LBB4_909
.LBB4_908:                              ;   in Loop: Header=BB4_903 Depth=2
	v_and_b32_e32 v80, 7, v14
	v_bfe_u32 v83, v14, 3, 4
	v_lshlrev_b32_e32 v119, 24, v14
	v_ffbh_u32_e32 v81, v80
	v_cmp_eq_u32_e64 s13, 0, v83
	v_min_u32_e32 v81, 32, v81
	v_subrev_nc_u32_e32 v82, 28, v81
	v_sub_nc_u32_e32 v81, 29, v81
	v_lshlrev_b32_e32 v82, v82, v14
	v_cndmask_b32_e64 v81, v83, v81, s13
	v_and_b32_e32 v82, 7, v82
	v_lshl_add_u32 v81, v81, 23, 0x3b800000
	v_cndmask_b32_e64 v80, v80, v82, s13
	v_and_b32_e32 v82, 0x80000000, v119
	v_lshlrev_b32_e32 v80, 20, v80
	v_or3_b32 v80, v82, v81, v80
.LBB4_909:                              ;   in Loop: Header=BB4_903 Depth=2
	s_or_b32 exec_lo, exec_lo, s14
	s_waitcnt vmcnt(0)
	v_cmp_gt_i16_sdwa s14, v10, v101 src0_sel:BYTE_0 src1_sel:DWORD
	s_mov_b32 s13, 0
	s_and_saveexec_b32 s29, s14
	s_xor_b32 s14, exec_lo, s29
	s_cbranch_execz .LBB4_1223
; %bb.910:                              ;   in Loop: Header=BB4_903 Depth=2
	v_cmp_eq_u16_sdwa s40, v10, v114 src0_sel:BYTE_0 src1_sel:DWORD
	s_mov_b32 s13, -1
	s_and_saveexec_b32 s29, s40
; %bb.911:                              ;   in Loop: Header=BB4_903 Depth=2
	s_xor_b32 s13, exec_lo, -1
; %bb.912:                              ;   in Loop: Header=BB4_903 Depth=2
	s_or_b32 exec_lo, exec_lo, s29
	s_and_b32 s13, s13, exec_lo
	s_or_saveexec_b32 s14, s14
	v_mov_b32_e32 v81, 0x7f800001
	s_xor_b32 exec_lo, exec_lo, s14
	s_cbranch_execnz .LBB4_1224
.LBB4_913:                              ;   in Loop: Header=BB4_903 Depth=2
	s_or_b32 exec_lo, exec_lo, s14
	s_and_saveexec_b32 s14, s13
	s_cbranch_execz .LBB4_915
.LBB4_914:                              ;   in Loop: Header=BB4_903 Depth=2
	v_and_b32_e32 v81, 7, v10
	v_bfe_u32 v119, v10, 3, 4
	v_lshlrev_b32_e32 v40, 24, v10
	v_ffbh_u32_e32 v82, v81
	v_cmp_eq_u32_e64 s13, 0, v119
	v_min_u32_e32 v82, 32, v82
	v_subrev_nc_u32_e32 v83, 28, v82
	v_sub_nc_u32_e32 v82, 29, v82
	v_lshlrev_b32_e32 v83, v83, v10
	v_cndmask_b32_e64 v82, v119, v82, s13
	v_and_b32_e32 v83, 7, v83
	v_lshl_add_u32 v82, v82, 23, 0x3b800000
	v_cndmask_b32_e64 v81, v81, v83, s13
	v_and_b32_e32 v83, 0x80000000, v40
	v_lshlrev_b32_e32 v81, 20, v81
	v_or3_b32 v81, v83, v82, v81
.LBB4_915:                              ;   in Loop: Header=BB4_903 Depth=2
	s_or_b32 exec_lo, exec_lo, s14
	v_add_f32_e32 v81, v80, v81
	v_and_b32_e32 v80, 0x7f800000, v81
	v_cmp_ne_u32_e64 s13, 0x7f800000, v80
	v_mov_b32_e32 v80, 0x80
	s_and_saveexec_b32 s29, s13
	s_cbranch_execz .LBB4_923
; %bb.916:                              ;   in Loop: Header=BB4_903 Depth=2
	v_mov_b32_e32 v80, 0
	s_mov_b32 s40, exec_lo
	v_cmpx_ne_u32_e32 0, v81
	s_cbranch_execz .LBB4_922
; %bb.917:                              ;   in Loop: Header=BB4_903 Depth=2
	v_bfe_u32 v80, v81, 23, 8
	v_and_b32_e32 v82, 0x7fffff, v81
	v_sub_nc_u32_e32 v83, 0x78, v80
	v_cmp_gt_u32_e64 s13, 0x79, v80
	v_or_b32_e32 v119, 0x800000, v82
	v_cndmask_b32_e64 v83, 0, v83, s13
	v_cmp_eq_u32_e64 s13, 0, v80
	v_add_nc_u32_e32 v80, 0xffffff89, v80
	v_cndmask_b32_e64 v83, v83, 0x77, s13
	v_cndmask_b32_e64 v82, v119, v82, s13
	;; [unrolled: 1-line block ×3, first 2 shown]
	v_lshl_add_u32 v119, 0x100000, v83, -1
	v_lshrrev_b32_e32 v40, v83, v82
	v_lshlrev_b32_e64 v42, v83, 0x80000
	v_add_nc_u32_e32 v83, v83, v80
	v_and_b32_e32 v82, v119, v82
	v_bfe_u32 v41, v40, 20, 1
	v_cmp_eq_u32_e64 s14, v82, v42
	v_add_nc_u32_e32 v119, -1, v41
	v_cndmask_b32_e64 v82, 0, v119, s14
	v_lshrrev_b32_e32 v119, 23, v40
	s_mov_b32 s14, exec_lo
	v_add_nc_u32_e32 v82, v82, v40
	v_xor_b32_e32 v119, 1, v119
	v_and_b32_e32 v80, 0xfffff, v82
	v_add_nc_u32_e32 v82, v80, v40
                                        ; implicit-def: $vgpr80
	v_cmpx_ne_u32_e64 v83, v119
	s_xor_b32 s14, exec_lo, s14
; %bb.918:                              ;   in Loop: Header=BB4_903 Depth=2
	v_cmp_lt_u32_e64 s13, 0xffffff, v82
	v_sub_nc_u32_e32 v80, v83, v119
	v_cndmask_b32_e64 v83, 0, 1, s13
	v_add_co_ci_u32_e64 v80, null, 0, v80, s13
	v_lshrrev_b32_e32 v82, v83, v82
; %bb.919:                              ;   in Loop: Header=BB4_903 Depth=2
	s_andn2_saveexec_b32 s13, s14
; %bb.920:                              ;   in Loop: Header=BB4_903 Depth=2
	v_bfe_u32 v80, v82, 23, 1
; %bb.921:                              ;   in Loop: Header=BB4_903 Depth=2
	s_or_b32 exec_lo, exec_lo, s13
	v_lshrrev_b32_e32 v82, 20, v82
	v_min_i32_e32 v83, 15, v80
	v_cmp_gt_i32_e64 s13, 16, v80
	v_and_b32_sdwa v81, v81, v114 dst_sel:DWORD dst_unused:UNUSED_PAD src0_sel:BYTE_3 src1_sel:DWORD
	v_lshlrev_b32_e32 v83, 3, v83
	v_cndmask_b32_e64 v82, 7, v82, s13
	v_and_b32_e32 v83, 0xf8, v83
	v_and_b32_e32 v119, 7, v82
	v_or_b32_e32 v80, v80, v82
	v_or3_b32 v81, v83, v81, v119
	v_cmp_ne_u32_e64 s13, 0, v80
	v_cndmask_b32_e64 v80, 0, v81, s13
.LBB4_922:                              ;   in Loop: Header=BB4_903 Depth=2
	s_or_b32 exec_lo, exec_lo, s40
.LBB4_923:                              ;   in Loop: Header=BB4_903 Depth=2
	s_or_b32 exec_lo, exec_lo, s29
	v_cmp_gt_i16_sdwa s14, v14, v101 src0_sel:BYTE_1 src1_sel:DWORD
	s_mov_b32 s13, 0
	s_and_saveexec_b32 s29, s14
	s_xor_b32 s14, exec_lo, s29
	s_cbranch_execz .LBB4_1225
; %bb.924:                              ;   in Loop: Header=BB4_903 Depth=2
	v_cmp_eq_u16_sdwa s40, v14, v114 src0_sel:BYTE_1 src1_sel:DWORD
	s_mov_b32 s13, -1
	s_and_saveexec_b32 s29, s40
; %bb.925:                              ;   in Loop: Header=BB4_903 Depth=2
	s_xor_b32 s13, exec_lo, -1
; %bb.926:                              ;   in Loop: Header=BB4_903 Depth=2
	s_or_b32 exec_lo, exec_lo, s29
	s_and_b32 s13, s13, exec_lo
	s_or_saveexec_b32 s14, s14
	v_mov_b32_e32 v81, 0x7f800001
	s_xor_b32 exec_lo, exec_lo, s14
	s_cbranch_execnz .LBB4_1226
.LBB4_927:                              ;   in Loop: Header=BB4_903 Depth=2
	s_or_b32 exec_lo, exec_lo, s14
	s_and_saveexec_b32 s14, s13
	s_cbranch_execz .LBB4_929
.LBB4_928:                              ;   in Loop: Header=BB4_903 Depth=2
	v_and_b32_sdwa v81, v115, v14 dst_sel:DWORD dst_unused:UNUSED_PAD src0_sel:DWORD src1_sel:BYTE_1
	v_and_b32_e32 v82, 7, v81
	v_bfe_u32 v40, v81, 3, 4
	v_ffbh_u32_e32 v83, v82
	v_cmp_eq_u32_e64 s13, 0, v40
	v_min_u32_e32 v83, 32, v83
	v_subrev_nc_u32_e32 v119, 28, v83
	v_sub_nc_u32_e32 v83, 29, v83
	v_lshlrev_b32_e32 v81, v119, v81
	v_lshlrev_b32_sdwa v119, v116, v14 dst_sel:DWORD dst_unused:UNUSED_PAD src0_sel:DWORD src1_sel:BYTE_1
	v_cndmask_b32_e64 v83, v40, v83, s13
	v_and_b32_e32 v81, 7, v81
	v_lshl_add_u32 v83, v83, 23, 0x3b800000
	v_cndmask_b32_e64 v81, v82, v81, s13
	v_and_b32_e32 v82, 0x80000000, v119
	v_lshlrev_b32_e32 v81, 20, v81
	v_or3_b32 v81, v82, v83, v81
.LBB4_929:                              ;   in Loop: Header=BB4_903 Depth=2
	s_or_b32 exec_lo, exec_lo, s14
	v_cmp_gt_i16_sdwa s14, v10, v101 src0_sel:BYTE_1 src1_sel:DWORD
	s_mov_b32 s13, 0
	s_and_saveexec_b32 s29, s14
	s_xor_b32 s14, exec_lo, s29
	s_cbranch_execz .LBB4_1227
; %bb.930:                              ;   in Loop: Header=BB4_903 Depth=2
	v_cmp_eq_u16_sdwa s40, v10, v114 src0_sel:BYTE_1 src1_sel:DWORD
	s_mov_b32 s13, -1
	s_and_saveexec_b32 s29, s40
; %bb.931:                              ;   in Loop: Header=BB4_903 Depth=2
	s_xor_b32 s13, exec_lo, -1
; %bb.932:                              ;   in Loop: Header=BB4_903 Depth=2
	s_or_b32 exec_lo, exec_lo, s29
	s_and_b32 s13, s13, exec_lo
	s_or_saveexec_b32 s14, s14
	v_mov_b32_e32 v82, 0x7f800001
	s_xor_b32 exec_lo, exec_lo, s14
	s_cbranch_execnz .LBB4_1228
.LBB4_933:                              ;   in Loop: Header=BB4_903 Depth=2
	s_or_b32 exec_lo, exec_lo, s14
	s_and_saveexec_b32 s14, s13
	s_cbranch_execz .LBB4_935
.LBB4_934:                              ;   in Loop: Header=BB4_903 Depth=2
	v_and_b32_sdwa v82, v115, v10 dst_sel:DWORD dst_unused:UNUSED_PAD src0_sel:DWORD src1_sel:BYTE_1
	v_and_b32_e32 v83, 7, v82
	v_bfe_u32 v41, v82, 3, 4
	v_ffbh_u32_e32 v119, v83
	v_cmp_eq_u32_e64 s13, 0, v41
	v_min_u32_e32 v119, 32, v119
	v_subrev_nc_u32_e32 v40, 28, v119
	v_sub_nc_u32_e32 v119, 29, v119
	v_lshlrev_b32_e32 v82, v40, v82
	v_lshlrev_b32_sdwa v40, v116, v10 dst_sel:DWORD dst_unused:UNUSED_PAD src0_sel:DWORD src1_sel:BYTE_1
	v_cndmask_b32_e64 v119, v41, v119, s13
	v_and_b32_e32 v82, 7, v82
	v_lshl_add_u32 v119, v119, 23, 0x3b800000
	v_cndmask_b32_e64 v82, v83, v82, s13
	v_and_b32_e32 v83, 0x80000000, v40
	v_lshlrev_b32_e32 v82, 20, v82
	v_or3_b32 v82, v83, v119, v82
.LBB4_935:                              ;   in Loop: Header=BB4_903 Depth=2
	s_or_b32 exec_lo, exec_lo, s14
	v_add_f32_e32 v82, v81, v82
	v_and_b32_e32 v81, 0x7f800000, v82
	v_cmp_ne_u32_e64 s13, 0x7f800000, v81
	v_mov_b32_e32 v81, 0x8000
	s_and_saveexec_b32 s29, s13
	s_cbranch_execz .LBB4_943
; %bb.936:                              ;   in Loop: Header=BB4_903 Depth=2
	v_mov_b32_e32 v81, 0
	s_mov_b32 s40, exec_lo
	v_cmpx_ne_u32_e32 0, v82
	s_cbranch_execz .LBB4_942
; %bb.937:                              ;   in Loop: Header=BB4_903 Depth=2
	v_bfe_u32 v81, v82, 23, 8
	v_and_b32_e32 v83, 0x7fffff, v82
	v_sub_nc_u32_e32 v119, 0x78, v81
	v_cmp_gt_u32_e64 s13, 0x79, v81
	v_or_b32_e32 v40, 0x800000, v83
	v_cndmask_b32_e64 v119, 0, v119, s13
	v_cmp_eq_u32_e64 s13, 0, v81
	v_add_nc_u32_e32 v81, 0xffffff89, v81
	v_cndmask_b32_e64 v119, v119, 0x77, s13
	v_cndmask_b32_e64 v83, v40, v83, s13
	;; [unrolled: 1-line block ×3, first 2 shown]
	v_lshl_add_u32 v40, 0x100000, v119, -1
	v_lshrrev_b32_e32 v41, v119, v83
	v_lshlrev_b32_e64 v43, v119, 0x80000
	v_add_nc_u32_e32 v119, v119, v81
	v_and_b32_e32 v83, v40, v83
	v_bfe_u32 v42, v41, 20, 1
	v_cmp_eq_u32_e64 s14, v83, v43
	v_add_nc_u32_e32 v40, -1, v42
	v_cndmask_b32_e64 v83, 0, v40, s14
	v_lshrrev_b32_e32 v40, 23, v41
	s_mov_b32 s14, exec_lo
	v_add_nc_u32_e32 v83, v83, v41
	v_xor_b32_e32 v40, 1, v40
	v_and_b32_e32 v81, 0xfffff, v83
	v_add_nc_u32_e32 v83, v81, v41
                                        ; implicit-def: $vgpr81
	v_cmpx_ne_u32_e64 v119, v40
	s_xor_b32 s14, exec_lo, s14
; %bb.938:                              ;   in Loop: Header=BB4_903 Depth=2
	v_cmp_lt_u32_e64 s13, 0xffffff, v83
	v_sub_nc_u32_e32 v81, v119, v40
	v_cndmask_b32_e64 v119, 0, 1, s13
	v_add_co_ci_u32_e64 v81, null, 0, v81, s13
	v_lshrrev_b32_e32 v83, v119, v83
; %bb.939:                              ;   in Loop: Header=BB4_903 Depth=2
	s_andn2_saveexec_b32 s13, s14
; %bb.940:                              ;   in Loop: Header=BB4_903 Depth=2
	v_bfe_u32 v81, v83, 23, 1
; %bb.941:                              ;   in Loop: Header=BB4_903 Depth=2
	s_or_b32 exec_lo, exec_lo, s13
	v_lshrrev_b32_e32 v83, 20, v83
	v_min_i32_e32 v119, 15, v81
	v_cmp_gt_i32_e64 s13, 16, v81
	v_and_b32_sdwa v82, v82, v114 dst_sel:DWORD dst_unused:UNUSED_PAD src0_sel:BYTE_3 src1_sel:DWORD
	v_lshlrev_b32_e32 v119, 3, v119
	v_cndmask_b32_e64 v83, 7, v83, s13
	v_and_b32_e32 v119, 0xf8, v119
	v_and_b32_e32 v40, 7, v83
	v_or_b32_e32 v81, v81, v83
	v_or3_b32 v82, v82, v119, v40
	v_cmp_ne_u32_e64 s13, 0, v81
	v_lshlrev_b32_e32 v82, 8, v82
	v_cndmask_b32_e64 v81, 0, v82, s13
.LBB4_942:                              ;   in Loop: Header=BB4_903 Depth=2
	s_or_b32 exec_lo, exec_lo, s40
.LBB4_943:                              ;   in Loop: Header=BB4_903 Depth=2
	s_or_b32 exec_lo, exec_lo, s29
	v_and_b32_sdwa v83, v14, v117 dst_sel:DWORD dst_unused:UNUSED_PAD src0_sel:WORD_1 src1_sel:DWORD
	s_mov_b32 s14, 0
	s_mov_b32 s29, exec_lo
	v_cmpx_lt_i16_e32 0x7f, v83
	s_xor_b32 s29, exec_lo, s29
	s_cbranch_execz .LBB4_1229
; %bb.944:                              ;   in Loop: Header=BB4_903 Depth=2
	s_mov_b32 s14, -1
	s_mov_b32 s40, exec_lo
	v_cmpx_eq_u16_e32 0x80, v83
; %bb.945:                              ;   in Loop: Header=BB4_903 Depth=2
	s_xor_b32 s14, exec_lo, -1
; %bb.946:                              ;   in Loop: Header=BB4_903 Depth=2
	s_or_b32 exec_lo, exec_lo, s40
	s_and_b32 s14, s14, exec_lo
                                        ; implicit-def: $vgpr83
	s_or_saveexec_b32 s29, s29
	v_mov_b32_e32 v82, 0x7f800001
	s_xor_b32 exec_lo, exec_lo, s29
	s_cbranch_execnz .LBB4_1230
.LBB4_947:                              ;   in Loop: Header=BB4_903 Depth=2
	s_or_b32 exec_lo, exec_lo, s29
	s_and_saveexec_b32 s29, s14
	s_cbranch_execz .LBB4_949
.LBB4_948:                              ;   in Loop: Header=BB4_903 Depth=2
	v_bfe_u32 v82, v14, 16, 3
	v_bfe_u32 v40, v14, 19, 4
	v_lshlrev_b32_e32 v41, 8, v14
	v_ffbh_u32_e32 v83, v82
	v_cmp_eq_u32_e64 s13, 0, v40
	v_min_u32_e32 v83, 32, v83
	v_subrev_nc_u32_e32 v119, 28, v83
	v_sub_nc_u32_e32 v83, 29, v83
	v_lshlrev_b32_sdwa v119, v119, v14 dst_sel:DWORD dst_unused:UNUSED_PAD src0_sel:DWORD src1_sel:WORD_1
	v_cndmask_b32_e64 v83, v40, v83, s13
	v_and_b32_e32 v119, 7, v119
	v_lshl_add_u32 v83, v83, 23, 0x3b800000
	v_cndmask_b32_e64 v82, v82, v119, s13
	v_and_b32_e32 v119, 0x80000000, v41
	v_lshlrev_b32_e32 v82, 20, v82
	v_or3_b32 v82, v119, v83, v82
.LBB4_949:                              ;   in Loop: Header=BB4_903 Depth=2
	s_or_b32 exec_lo, exec_lo, s29
	v_and_b32_sdwa v119, v10, v117 dst_sel:DWORD dst_unused:UNUSED_PAD src0_sel:WORD_1 src1_sel:DWORD
	s_mov_b32 s14, 0
	s_mov_b32 s29, exec_lo
	v_cmpx_lt_i16_e32 0x7f, v119
	s_xor_b32 s29, exec_lo, s29
	s_cbranch_execz .LBB4_1231
; %bb.950:                              ;   in Loop: Header=BB4_903 Depth=2
	s_mov_b32 s14, -1
	s_mov_b32 s40, exec_lo
	v_cmpx_eq_u16_e32 0x80, v119
; %bb.951:                              ;   in Loop: Header=BB4_903 Depth=2
	s_xor_b32 s14, exec_lo, -1
; %bb.952:                              ;   in Loop: Header=BB4_903 Depth=2
	s_or_b32 exec_lo, exec_lo, s40
	s_and_b32 s14, s14, exec_lo
                                        ; implicit-def: $vgpr119
	s_or_saveexec_b32 s29, s29
	v_mov_b32_e32 v83, 0x7f800001
	s_xor_b32 exec_lo, exec_lo, s29
	s_cbranch_execnz .LBB4_1232
.LBB4_953:                              ;   in Loop: Header=BB4_903 Depth=2
	s_or_b32 exec_lo, exec_lo, s29
	s_and_saveexec_b32 s29, s14
	s_cbranch_execz .LBB4_955
.LBB4_954:                              ;   in Loop: Header=BB4_903 Depth=2
	v_and_b32_sdwa v83, v10, v118 dst_sel:DWORD dst_unused:UNUSED_PAD src0_sel:WORD_1 src1_sel:DWORD
	v_bfe_u32 v41, v10, 19, 4
	v_lshlrev_b32_sdwa v42, v116, v10 dst_sel:DWORD dst_unused:UNUSED_PAD src0_sel:DWORD src1_sel:WORD_1
	v_ffbh_u32_e32 v119, v83
	v_cmp_eq_u32_e64 s13, 0, v41
	v_min_u32_e32 v119, 32, v119
	v_subrev_nc_u32_e32 v40, 28, v119
	v_sub_nc_u32_e32 v119, 29, v119
	v_lshlrev_b32_sdwa v40, v40, v10 dst_sel:DWORD dst_unused:UNUSED_PAD src0_sel:DWORD src1_sel:WORD_1
	v_cndmask_b32_e64 v119, v41, v119, s13
	v_and_b32_e32 v40, 7, v40
	v_lshl_add_u32 v119, v119, 23, 0x3b800000
	v_cndmask_b32_e64 v83, v83, v40, s13
	v_and_b32_e32 v40, 0x80000000, v42
	v_lshlrev_b32_e32 v83, 20, v83
	v_or3_b32 v83, v40, v119, v83
.LBB4_955:                              ;   in Loop: Header=BB4_903 Depth=2
	s_or_b32 exec_lo, exec_lo, s29
	v_add_f32_e32 v83, v82, v83
	v_and_b32_e32 v82, 0x7f800000, v83
	v_cmp_ne_u32_e64 s13, 0x7f800000, v82
	v_mov_b32_e32 v82, 0x80
	s_and_saveexec_b32 s29, s13
	s_cbranch_execz .LBB4_963
; %bb.956:                              ;   in Loop: Header=BB4_903 Depth=2
	v_mov_b32_e32 v82, 0
	s_mov_b32 s40, exec_lo
	v_cmpx_ne_u32_e32 0, v83
	s_cbranch_execz .LBB4_962
; %bb.957:                              ;   in Loop: Header=BB4_903 Depth=2
	v_bfe_u32 v82, v83, 23, 8
	v_and_b32_e32 v119, 0x7fffff, v83
	v_sub_nc_u32_e32 v40, 0x78, v82
	v_cmp_gt_u32_e64 s13, 0x79, v82
	v_or_b32_e32 v41, 0x800000, v119
	v_cndmask_b32_e64 v40, 0, v40, s13
	v_cmp_eq_u32_e64 s13, 0, v82
	v_add_nc_u32_e32 v82, 0xffffff89, v82
	v_cndmask_b32_e64 v40, v40, 0x77, s13
	v_cndmask_b32_e64 v119, v41, v119, s13
	;; [unrolled: 1-line block ×3, first 2 shown]
	v_lshl_add_u32 v41, 0x100000, v40, -1
	v_lshrrev_b32_e32 v42, v40, v119
	v_lshlrev_b32_e64 v44, v40, 0x80000
	v_add_nc_u32_e32 v40, v40, v82
	v_and_b32_e32 v119, v41, v119
	v_bfe_u32 v43, v42, 20, 1
	v_cmp_eq_u32_e64 s14, v119, v44
	v_add_nc_u32_e32 v41, -1, v43
	v_cndmask_b32_e64 v119, 0, v41, s14
	v_lshrrev_b32_e32 v41, 23, v42
	s_mov_b32 s14, exec_lo
	v_add_nc_u32_e32 v119, v119, v42
	v_xor_b32_e32 v41, 1, v41
	v_and_b32_e32 v82, 0xfffff, v119
	v_add_nc_u32_e32 v119, v82, v42
                                        ; implicit-def: $vgpr82
	v_cmpx_ne_u32_e64 v40, v41
	s_xor_b32 s14, exec_lo, s14
; %bb.958:                              ;   in Loop: Header=BB4_903 Depth=2
	v_cmp_lt_u32_e64 s13, 0xffffff, v119
	v_sub_nc_u32_e32 v82, v40, v41
	v_cndmask_b32_e64 v40, 0, 1, s13
	v_add_co_ci_u32_e64 v82, null, 0, v82, s13
	v_lshrrev_b32_e32 v119, v40, v119
; %bb.959:                              ;   in Loop: Header=BB4_903 Depth=2
	s_andn2_saveexec_b32 s13, s14
; %bb.960:                              ;   in Loop: Header=BB4_903 Depth=2
	v_bfe_u32 v82, v119, 23, 1
; %bb.961:                              ;   in Loop: Header=BB4_903 Depth=2
	s_or_b32 exec_lo, exec_lo, s13
	v_lshrrev_b32_e32 v119, 20, v119
	v_min_i32_e32 v40, 15, v82
	v_cmp_gt_i32_e64 s13, 16, v82
	v_and_b32_sdwa v83, v83, v114 dst_sel:DWORD dst_unused:UNUSED_PAD src0_sel:BYTE_3 src1_sel:DWORD
	v_lshlrev_b32_e32 v40, 3, v40
	v_cndmask_b32_e64 v119, 7, v119, s13
	v_and_b32_e32 v40, 0xf8, v40
	v_and_b32_e32 v41, 7, v119
	v_or_b32_e32 v82, v82, v119
	v_or3_b32 v83, v40, v83, v41
	v_cmp_ne_u32_e64 s13, 0, v82
	v_cndmask_b32_e64 v82, 0, v83, s13
.LBB4_962:                              ;   in Loop: Header=BB4_903 Depth=2
	s_or_b32 exec_lo, exec_lo, s40
.LBB4_963:                              ;   in Loop: Header=BB4_903 Depth=2
	s_or_b32 exec_lo, exec_lo, s29
	v_cmp_gt_i16_sdwa s14, v14, v101 src0_sel:BYTE_3 src1_sel:DWORD
	s_mov_b32 s13, 0
	s_and_saveexec_b32 s29, s14
	s_xor_b32 s14, exec_lo, s29
	s_cbranch_execz .LBB4_1233
; %bb.964:                              ;   in Loop: Header=BB4_903 Depth=2
	v_cmp_eq_u16_sdwa s40, v14, v114 src0_sel:BYTE_3 src1_sel:DWORD
	s_mov_b32 s13, -1
	s_and_saveexec_b32 s29, s40
; %bb.965:                              ;   in Loop: Header=BB4_903 Depth=2
	s_xor_b32 s13, exec_lo, -1
; %bb.966:                              ;   in Loop: Header=BB4_903 Depth=2
	s_or_b32 exec_lo, exec_lo, s29
	s_and_b32 s13, s13, exec_lo
	s_or_saveexec_b32 s14, s14
	v_mov_b32_e32 v83, 0x7f800001
	s_xor_b32 exec_lo, exec_lo, s14
	s_cbranch_execnz .LBB4_1234
.LBB4_967:                              ;   in Loop: Header=BB4_903 Depth=2
	s_or_b32 exec_lo, exec_lo, s14
	s_and_saveexec_b32 s14, s13
	s_cbranch_execz .LBB4_969
.LBB4_968:                              ;   in Loop: Header=BB4_903 Depth=2
	v_bfe_u32 v83, v14, 24, 3
	v_bfe_u32 v41, v14, 27, 4
	v_ffbh_u32_e32 v119, v83
	v_cmp_eq_u32_e64 s13, 0, v41
	v_min_u32_e32 v119, 32, v119
	v_subrev_nc_u32_e32 v40, 28, v119
	v_sub_nc_u32_e32 v119, 29, v119
	v_lshlrev_b32_sdwa v40, v40, v14 dst_sel:DWORD dst_unused:UNUSED_PAD src0_sel:DWORD src1_sel:BYTE_3
	v_cndmask_b32_e64 v119, v41, v119, s13
	v_and_b32_e32 v14, 0x80000000, v14
	v_and_b32_e32 v40, 7, v40
	v_lshl_add_u32 v119, v119, 23, 0x3b800000
	v_cndmask_b32_e64 v83, v83, v40, s13
	v_lshlrev_b32_e32 v83, 20, v83
	v_or3_b32 v83, v14, v119, v83
.LBB4_969:                              ;   in Loop: Header=BB4_903 Depth=2
	s_or_b32 exec_lo, exec_lo, s14
	v_cmp_gt_i16_sdwa s14, v10, v101 src0_sel:BYTE_3 src1_sel:DWORD
	s_mov_b32 s13, 0
	s_and_saveexec_b32 s29, s14
	s_xor_b32 s14, exec_lo, s29
	s_cbranch_execz .LBB4_1235
; %bb.970:                              ;   in Loop: Header=BB4_903 Depth=2
	v_cmp_eq_u16_sdwa s40, v10, v114 src0_sel:BYTE_3 src1_sel:DWORD
	s_mov_b32 s13, -1
	s_and_saveexec_b32 s29, s40
; %bb.971:                              ;   in Loop: Header=BB4_903 Depth=2
	s_xor_b32 s13, exec_lo, -1
; %bb.972:                              ;   in Loop: Header=BB4_903 Depth=2
	s_or_b32 exec_lo, exec_lo, s29
	s_and_b32 s13, s13, exec_lo
	s_or_saveexec_b32 s14, s14
	v_mov_b32_e32 v14, 0x7f800001
	s_xor_b32 exec_lo, exec_lo, s14
	s_cbranch_execnz .LBB4_1236
.LBB4_973:                              ;   in Loop: Header=BB4_903 Depth=2
	s_or_b32 exec_lo, exec_lo, s14
	s_and_saveexec_b32 s14, s13
	s_cbranch_execz .LBB4_975
.LBB4_974:                              ;   in Loop: Header=BB4_903 Depth=2
	v_and_b32_sdwa v14, v10, v118 dst_sel:DWORD dst_unused:UNUSED_PAD src0_sel:BYTE_3 src1_sel:DWORD
	v_bfe_u32 v41, v10, 27, 4
	v_ffbh_u32_e32 v119, v14
	v_cmp_eq_u32_e64 s13, 0, v41
	v_min_u32_e32 v119, 32, v119
	v_subrev_nc_u32_e32 v40, 28, v119
	v_sub_nc_u32_e32 v119, 29, v119
	v_lshlrev_b32_sdwa v40, v40, v10 dst_sel:DWORD dst_unused:UNUSED_PAD src0_sel:DWORD src1_sel:BYTE_3
	v_cndmask_b32_e64 v119, v41, v119, s13
	v_and_b32_e32 v10, 0x80000000, v10
	v_and_b32_e32 v40, 7, v40
	v_lshl_add_u32 v119, v119, 23, 0x3b800000
	v_cndmask_b32_e64 v14, v14, v40, s13
	v_lshlrev_b32_e32 v14, 20, v14
	v_or3_b32 v14, v10, v119, v14
.LBB4_975:                              ;   in Loop: Header=BB4_903 Depth=2
	s_or_b32 exec_lo, exec_lo, s14
	v_add_f32_e32 v14, v83, v14
	v_and_b32_e32 v10, 0x7f800000, v14
	v_cmp_ne_u32_e64 s13, 0x7f800000, v10
	v_mov_b32_e32 v10, 0x8000
	s_and_saveexec_b32 s29, s13
	s_cbranch_execz .LBB4_983
; %bb.976:                              ;   in Loop: Header=BB4_903 Depth=2
	v_mov_b32_e32 v10, 0
	s_mov_b32 s40, exec_lo
	v_cmpx_ne_u32_e32 0, v14
	s_cbranch_execz .LBB4_982
; %bb.977:                              ;   in Loop: Header=BB4_903 Depth=2
	v_bfe_u32 v10, v14, 23, 8
	v_and_b32_e32 v83, 0x7fffff, v14
	v_sub_nc_u32_e32 v119, 0x78, v10
	v_cmp_gt_u32_e64 s13, 0x79, v10
	v_or_b32_e32 v40, 0x800000, v83
	v_cndmask_b32_e64 v119, 0, v119, s13
	v_cmp_eq_u32_e64 s13, 0, v10
	v_add_nc_u32_e32 v10, 0xffffff89, v10
	v_cndmask_b32_e64 v119, v119, 0x77, s13
	v_cndmask_b32_e64 v83, v40, v83, s13
	;; [unrolled: 1-line block ×3, first 2 shown]
	v_lshl_add_u32 v40, 0x100000, v119, -1
	v_lshrrev_b32_e32 v41, v119, v83
	v_lshlrev_b32_e64 v43, v119, 0x80000
	v_add_nc_u32_e32 v119, v119, v10
	v_and_b32_e32 v83, v40, v83
	v_bfe_u32 v42, v41, 20, 1
	v_cmp_eq_u32_e64 s14, v83, v43
	v_add_nc_u32_e32 v40, -1, v42
	v_cndmask_b32_e64 v83, 0, v40, s14
	v_lshrrev_b32_e32 v40, 23, v41
	s_mov_b32 s14, exec_lo
	v_add_nc_u32_e32 v83, v83, v41
	v_xor_b32_e32 v40, 1, v40
	v_and_b32_e32 v10, 0xfffff, v83
	v_add_nc_u32_e32 v83, v10, v41
                                        ; implicit-def: $vgpr10
	v_cmpx_ne_u32_e64 v119, v40
	s_xor_b32 s14, exec_lo, s14
; %bb.978:                              ;   in Loop: Header=BB4_903 Depth=2
	v_cmp_lt_u32_e64 s13, 0xffffff, v83
	v_sub_nc_u32_e32 v10, v119, v40
	v_cndmask_b32_e64 v119, 0, 1, s13
	v_add_co_ci_u32_e64 v10, null, 0, v10, s13
	v_lshrrev_b32_e32 v83, v119, v83
; %bb.979:                              ;   in Loop: Header=BB4_903 Depth=2
	s_andn2_saveexec_b32 s13, s14
; %bb.980:                              ;   in Loop: Header=BB4_903 Depth=2
	v_bfe_u32 v10, v83, 23, 1
; %bb.981:                              ;   in Loop: Header=BB4_903 Depth=2
	s_or_b32 exec_lo, exec_lo, s13
	v_lshrrev_b32_e32 v83, 20, v83
	v_min_i32_e32 v119, 15, v10
	v_cmp_gt_i32_e64 s13, 16, v10
	v_and_b32_sdwa v14, v14, v114 dst_sel:DWORD dst_unused:UNUSED_PAD src0_sel:BYTE_3 src1_sel:DWORD
	v_lshlrev_b32_e32 v119, 3, v119
	v_cndmask_b32_e64 v83, 7, v83, s13
	v_and_b32_e32 v119, 0xf8, v119
	v_and_b32_e32 v40, 7, v83
	v_or_b32_e32 v10, v10, v83
	v_or3_b32 v14, v14, v119, v40
	v_cmp_ne_u32_e64 s13, 0, v10
	v_lshlrev_b32_e32 v14, 8, v14
	v_cndmask_b32_e64 v10, 0, v14, s13
.LBB4_982:                              ;   in Loop: Header=BB4_903 Depth=2
	s_or_b32 exec_lo, exec_lo, s40
.LBB4_983:                              ;   in Loop: Header=BB4_903 Depth=2
	s_or_b32 exec_lo, exec_lo, s29
	v_cmp_gt_i16_sdwa s14, v15, v101 src0_sel:BYTE_0 src1_sel:DWORD
	s_mov_b32 s13, 0
	s_and_saveexec_b32 s29, s14
	s_xor_b32 s14, exec_lo, s29
	s_cbranch_execz .LBB4_1237
; %bb.984:                              ;   in Loop: Header=BB4_903 Depth=2
	v_cmp_eq_u16_sdwa s40, v15, v114 src0_sel:BYTE_0 src1_sel:DWORD
	s_mov_b32 s13, -1
	s_and_saveexec_b32 s29, s40
; %bb.985:                              ;   in Loop: Header=BB4_903 Depth=2
	s_xor_b32 s13, exec_lo, -1
; %bb.986:                              ;   in Loop: Header=BB4_903 Depth=2
	s_or_b32 exec_lo, exec_lo, s29
	s_and_b32 s13, s13, exec_lo
	s_or_saveexec_b32 s14, s14
	v_mov_b32_e32 v14, 0x7f800001
	s_xor_b32 exec_lo, exec_lo, s14
	s_cbranch_execnz .LBB4_1238
.LBB4_987:                              ;   in Loop: Header=BB4_903 Depth=2
	s_or_b32 exec_lo, exec_lo, s14
	s_and_saveexec_b32 s14, s13
	s_cbranch_execz .LBB4_989
.LBB4_988:                              ;   in Loop: Header=BB4_903 Depth=2
	v_and_b32_e32 v14, 7, v15
	v_bfe_u32 v40, v15, 3, 4
	v_lshlrev_b32_e32 v41, 24, v15
	v_ffbh_u32_e32 v83, v14
	v_cmp_eq_u32_e64 s13, 0, v40
	v_min_u32_e32 v83, 32, v83
	v_subrev_nc_u32_e32 v119, 28, v83
	v_sub_nc_u32_e32 v83, 29, v83
	v_lshlrev_b32_e32 v119, v119, v15
	v_cndmask_b32_e64 v83, v40, v83, s13
	v_and_b32_e32 v119, 7, v119
	v_lshl_add_u32 v83, v83, 23, 0x3b800000
	v_cndmask_b32_e64 v14, v14, v119, s13
	v_and_b32_e32 v119, 0x80000000, v41
	v_lshlrev_b32_e32 v14, 20, v14
	v_or3_b32 v14, v119, v83, v14
.LBB4_989:                              ;   in Loop: Header=BB4_903 Depth=2
	s_or_b32 exec_lo, exec_lo, s14
	v_cmp_gt_i16_sdwa s14, v11, v101 src0_sel:BYTE_0 src1_sel:DWORD
	s_mov_b32 s13, 0
	s_and_saveexec_b32 s29, s14
	s_xor_b32 s14, exec_lo, s29
	s_cbranch_execz .LBB4_1239
; %bb.990:                              ;   in Loop: Header=BB4_903 Depth=2
	v_cmp_eq_u16_sdwa s40, v11, v114 src0_sel:BYTE_0 src1_sel:DWORD
	s_mov_b32 s13, -1
	s_and_saveexec_b32 s29, s40
; %bb.991:                              ;   in Loop: Header=BB4_903 Depth=2
	s_xor_b32 s13, exec_lo, -1
; %bb.992:                              ;   in Loop: Header=BB4_903 Depth=2
	s_or_b32 exec_lo, exec_lo, s29
	s_and_b32 s13, s13, exec_lo
	s_or_saveexec_b32 s14, s14
	v_mov_b32_e32 v83, 0x7f800001
	s_xor_b32 exec_lo, exec_lo, s14
	s_cbranch_execnz .LBB4_1240
.LBB4_993:                              ;   in Loop: Header=BB4_903 Depth=2
	s_or_b32 exec_lo, exec_lo, s14
	s_and_saveexec_b32 s14, s13
	s_cbranch_execz .LBB4_995
.LBB4_994:                              ;   in Loop: Header=BB4_903 Depth=2
	v_and_b32_e32 v83, 7, v11
	v_bfe_u32 v41, v11, 3, 4
	v_lshlrev_b32_e32 v42, 24, v11
	v_ffbh_u32_e32 v119, v83
	v_cmp_eq_u32_e64 s13, 0, v41
	v_min_u32_e32 v119, 32, v119
	v_subrev_nc_u32_e32 v40, 28, v119
	v_sub_nc_u32_e32 v119, 29, v119
	v_lshlrev_b32_e32 v40, v40, v11
	v_cndmask_b32_e64 v119, v41, v119, s13
	v_and_b32_e32 v40, 7, v40
	v_lshl_add_u32 v119, v119, 23, 0x3b800000
	v_cndmask_b32_e64 v83, v83, v40, s13
	v_and_b32_e32 v40, 0x80000000, v42
	v_lshlrev_b32_e32 v83, 20, v83
	v_or3_b32 v83, v40, v119, v83
.LBB4_995:                              ;   in Loop: Header=BB4_903 Depth=2
	s_or_b32 exec_lo, exec_lo, s14
	v_add_f32_e32 v83, v14, v83
	v_and_b32_e32 v14, 0x7f800000, v83
	v_cmp_ne_u32_e64 s13, 0x7f800000, v14
	v_mov_b32_e32 v14, 0x80
	s_and_saveexec_b32 s29, s13
	s_cbranch_execz .LBB4_1003
; %bb.996:                              ;   in Loop: Header=BB4_903 Depth=2
	v_mov_b32_e32 v14, 0
	s_mov_b32 s40, exec_lo
	v_cmpx_ne_u32_e32 0, v83
	s_cbranch_execz .LBB4_1002
; %bb.997:                              ;   in Loop: Header=BB4_903 Depth=2
	v_bfe_u32 v14, v83, 23, 8
	v_and_b32_e32 v119, 0x7fffff, v83
	v_sub_nc_u32_e32 v40, 0x78, v14
	v_cmp_gt_u32_e64 s13, 0x79, v14
	v_or_b32_e32 v41, 0x800000, v119
	v_cndmask_b32_e64 v40, 0, v40, s13
	v_cmp_eq_u32_e64 s13, 0, v14
	v_add_nc_u32_e32 v14, 0xffffff89, v14
	v_cndmask_b32_e64 v40, v40, 0x77, s13
	v_cndmask_b32_e64 v119, v41, v119, s13
	;; [unrolled: 1-line block ×3, first 2 shown]
	v_lshl_add_u32 v41, 0x100000, v40, -1
	v_lshrrev_b32_e32 v42, v40, v119
	v_lshlrev_b32_e64 v44, v40, 0x80000
	v_add_nc_u32_e32 v40, v40, v14
	v_and_b32_e32 v119, v41, v119
	v_bfe_u32 v43, v42, 20, 1
	v_cmp_eq_u32_e64 s14, v119, v44
	v_add_nc_u32_e32 v41, -1, v43
	v_cndmask_b32_e64 v119, 0, v41, s14
	v_lshrrev_b32_e32 v41, 23, v42
	s_mov_b32 s14, exec_lo
	v_add_nc_u32_e32 v119, v119, v42
	v_xor_b32_e32 v41, 1, v41
	v_and_b32_e32 v14, 0xfffff, v119
	v_add_nc_u32_e32 v119, v14, v42
                                        ; implicit-def: $vgpr14
	v_cmpx_ne_u32_e64 v40, v41
	s_xor_b32 s14, exec_lo, s14
; %bb.998:                              ;   in Loop: Header=BB4_903 Depth=2
	v_cmp_lt_u32_e64 s13, 0xffffff, v119
	v_sub_nc_u32_e32 v14, v40, v41
	v_cndmask_b32_e64 v40, 0, 1, s13
	v_add_co_ci_u32_e64 v14, null, 0, v14, s13
	v_lshrrev_b32_e32 v119, v40, v119
; %bb.999:                              ;   in Loop: Header=BB4_903 Depth=2
	s_andn2_saveexec_b32 s13, s14
; %bb.1000:                             ;   in Loop: Header=BB4_903 Depth=2
	v_bfe_u32 v14, v119, 23, 1
; %bb.1001:                             ;   in Loop: Header=BB4_903 Depth=2
	s_or_b32 exec_lo, exec_lo, s13
	v_lshrrev_b32_e32 v119, 20, v119
	v_min_i32_e32 v40, 15, v14
	v_cmp_gt_i32_e64 s13, 16, v14
	v_and_b32_sdwa v83, v83, v114 dst_sel:DWORD dst_unused:UNUSED_PAD src0_sel:BYTE_3 src1_sel:DWORD
	v_lshlrev_b32_e32 v40, 3, v40
	v_cndmask_b32_e64 v119, 7, v119, s13
	v_and_b32_e32 v40, 0xf8, v40
	v_and_b32_e32 v41, 7, v119
	v_or_b32_e32 v14, v14, v119
	v_or3_b32 v83, v40, v83, v41
	v_cmp_ne_u32_e64 s13, 0, v14
	v_cndmask_b32_e64 v14, 0, v83, s13
.LBB4_1002:                             ;   in Loop: Header=BB4_903 Depth=2
	s_or_b32 exec_lo, exec_lo, s40
.LBB4_1003:                             ;   in Loop: Header=BB4_903 Depth=2
	s_or_b32 exec_lo, exec_lo, s29
	v_cmp_gt_i16_sdwa s14, v15, v101 src0_sel:BYTE_1 src1_sel:DWORD
	s_mov_b32 s13, 0
	s_and_saveexec_b32 s29, s14
	s_xor_b32 s14, exec_lo, s29
	s_cbranch_execz .LBB4_1241
; %bb.1004:                             ;   in Loop: Header=BB4_903 Depth=2
	v_cmp_eq_u16_sdwa s40, v15, v114 src0_sel:BYTE_1 src1_sel:DWORD
	s_mov_b32 s13, -1
	s_and_saveexec_b32 s29, s40
; %bb.1005:                             ;   in Loop: Header=BB4_903 Depth=2
	s_xor_b32 s13, exec_lo, -1
; %bb.1006:                             ;   in Loop: Header=BB4_903 Depth=2
	s_or_b32 exec_lo, exec_lo, s29
	s_and_b32 s13, s13, exec_lo
	s_or_saveexec_b32 s14, s14
	v_mov_b32_e32 v83, 0x7f800001
	s_xor_b32 exec_lo, exec_lo, s14
	s_cbranch_execnz .LBB4_1242
.LBB4_1007:                             ;   in Loop: Header=BB4_903 Depth=2
	s_or_b32 exec_lo, exec_lo, s14
	s_and_saveexec_b32 s14, s13
	s_cbranch_execz .LBB4_1009
.LBB4_1008:                             ;   in Loop: Header=BB4_903 Depth=2
	v_and_b32_sdwa v83, v115, v15 dst_sel:DWORD dst_unused:UNUSED_PAD src0_sel:DWORD src1_sel:BYTE_1
	v_and_b32_e32 v119, 7, v83
	v_bfe_u32 v42, v83, 3, 4
	v_ffbh_u32_e32 v40, v119
	v_cmp_eq_u32_e64 s13, 0, v42
	v_min_u32_e32 v40, 32, v40
	v_subrev_nc_u32_e32 v41, 28, v40
	v_sub_nc_u32_e32 v40, 29, v40
	v_lshlrev_b32_e32 v83, v41, v83
	v_lshlrev_b32_sdwa v41, v116, v15 dst_sel:DWORD dst_unused:UNUSED_PAD src0_sel:DWORD src1_sel:BYTE_1
	v_cndmask_b32_e64 v40, v42, v40, s13
	v_and_b32_e32 v83, 7, v83
	v_lshl_add_u32 v40, v40, 23, 0x3b800000
	v_cndmask_b32_e64 v83, v119, v83, s13
	v_and_b32_e32 v119, 0x80000000, v41
	v_lshlrev_b32_e32 v83, 20, v83
	v_or3_b32 v83, v119, v40, v83
.LBB4_1009:                             ;   in Loop: Header=BB4_903 Depth=2
	s_or_b32 exec_lo, exec_lo, s14
	v_cmp_gt_i16_sdwa s14, v11, v101 src0_sel:BYTE_1 src1_sel:DWORD
	s_mov_b32 s13, 0
	s_and_saveexec_b32 s29, s14
	s_xor_b32 s14, exec_lo, s29
	s_cbranch_execz .LBB4_1243
; %bb.1010:                             ;   in Loop: Header=BB4_903 Depth=2
	v_cmp_eq_u16_sdwa s40, v11, v114 src0_sel:BYTE_1 src1_sel:DWORD
	s_mov_b32 s13, -1
	s_and_saveexec_b32 s29, s40
; %bb.1011:                             ;   in Loop: Header=BB4_903 Depth=2
	s_xor_b32 s13, exec_lo, -1
; %bb.1012:                             ;   in Loop: Header=BB4_903 Depth=2
	s_or_b32 exec_lo, exec_lo, s29
	s_and_b32 s13, s13, exec_lo
	s_or_saveexec_b32 s14, s14
	v_mov_b32_e32 v119, 0x7f800001
	s_xor_b32 exec_lo, exec_lo, s14
	s_cbranch_execnz .LBB4_1244
.LBB4_1013:                             ;   in Loop: Header=BB4_903 Depth=2
	s_or_b32 exec_lo, exec_lo, s14
	s_and_saveexec_b32 s14, s13
	s_cbranch_execz .LBB4_1015
.LBB4_1014:                             ;   in Loop: Header=BB4_903 Depth=2
	v_and_b32_sdwa v119, v115, v11 dst_sel:DWORD dst_unused:UNUSED_PAD src0_sel:DWORD src1_sel:BYTE_1
	v_and_b32_e32 v40, 7, v119
	v_bfe_u32 v43, v119, 3, 4
	v_ffbh_u32_e32 v41, v40
	v_cmp_eq_u32_e64 s13, 0, v43
	v_min_u32_e32 v41, 32, v41
	v_subrev_nc_u32_e32 v42, 28, v41
	v_sub_nc_u32_e32 v41, 29, v41
	v_lshlrev_b32_e32 v119, v42, v119
	v_lshlrev_b32_sdwa v42, v116, v11 dst_sel:DWORD dst_unused:UNUSED_PAD src0_sel:DWORD src1_sel:BYTE_1
	v_cndmask_b32_e64 v41, v43, v41, s13
	v_and_b32_e32 v119, 7, v119
	v_lshl_add_u32 v41, v41, 23, 0x3b800000
	v_cndmask_b32_e64 v119, v40, v119, s13
	v_and_b32_e32 v40, 0x80000000, v42
	v_lshlrev_b32_e32 v119, 20, v119
	v_or3_b32 v119, v40, v41, v119
.LBB4_1015:                             ;   in Loop: Header=BB4_903 Depth=2
	s_or_b32 exec_lo, exec_lo, s14
	v_add_f32_e32 v119, v83, v119
	v_and_b32_e32 v83, 0x7f800000, v119
	v_cmp_ne_u32_e64 s13, 0x7f800000, v83
	v_mov_b32_e32 v83, 0x8000
	s_and_saveexec_b32 s29, s13
	s_cbranch_execz .LBB4_1023
; %bb.1016:                             ;   in Loop: Header=BB4_903 Depth=2
	v_mov_b32_e32 v83, 0
	s_mov_b32 s40, exec_lo
	v_cmpx_ne_u32_e32 0, v119
	s_cbranch_execz .LBB4_1022
; %bb.1017:                             ;   in Loop: Header=BB4_903 Depth=2
	v_bfe_u32 v83, v119, 23, 8
	v_and_b32_e32 v40, 0x7fffff, v119
	v_sub_nc_u32_e32 v41, 0x78, v83
	v_cmp_gt_u32_e64 s13, 0x79, v83
	v_or_b32_e32 v42, 0x800000, v40
	v_cndmask_b32_e64 v41, 0, v41, s13
	v_cmp_eq_u32_e64 s13, 0, v83
	v_add_nc_u32_e32 v83, 0xffffff89, v83
	v_cndmask_b32_e64 v41, v41, 0x77, s13
	v_cndmask_b32_e64 v40, v42, v40, s13
	;; [unrolled: 1-line block ×3, first 2 shown]
	v_lshl_add_u32 v42, 0x100000, v41, -1
	v_lshrrev_b32_e32 v43, v41, v40
	v_lshlrev_b32_e64 v45, v41, 0x80000
	v_add_nc_u32_e32 v41, v41, v83
	v_and_b32_e32 v40, v42, v40
	v_bfe_u32 v44, v43, 20, 1
	v_cmp_eq_u32_e64 s14, v40, v45
	v_add_nc_u32_e32 v42, -1, v44
	v_cndmask_b32_e64 v40, 0, v42, s14
	v_lshrrev_b32_e32 v42, 23, v43
	s_mov_b32 s14, exec_lo
	v_add_nc_u32_e32 v40, v40, v43
	v_xor_b32_e32 v42, 1, v42
	v_and_b32_e32 v83, 0xfffff, v40
	v_add_nc_u32_e32 v40, v83, v43
                                        ; implicit-def: $vgpr83
	v_cmpx_ne_u32_e64 v41, v42
	s_xor_b32 s14, exec_lo, s14
; %bb.1018:                             ;   in Loop: Header=BB4_903 Depth=2
	v_cmp_lt_u32_e64 s13, 0xffffff, v40
	v_sub_nc_u32_e32 v83, v41, v42
	v_cndmask_b32_e64 v41, 0, 1, s13
	v_add_co_ci_u32_e64 v83, null, 0, v83, s13
	v_lshrrev_b32_e32 v40, v41, v40
; %bb.1019:                             ;   in Loop: Header=BB4_903 Depth=2
	s_andn2_saveexec_b32 s13, s14
; %bb.1020:                             ;   in Loop: Header=BB4_903 Depth=2
	v_bfe_u32 v83, v40, 23, 1
; %bb.1021:                             ;   in Loop: Header=BB4_903 Depth=2
	s_or_b32 exec_lo, exec_lo, s13
	v_lshrrev_b32_e32 v40, 20, v40
	v_min_i32_e32 v41, 15, v83
	v_cmp_gt_i32_e64 s13, 16, v83
	v_and_b32_sdwa v119, v119, v114 dst_sel:DWORD dst_unused:UNUSED_PAD src0_sel:BYTE_3 src1_sel:DWORD
	v_lshlrev_b32_e32 v41, 3, v41
	v_cndmask_b32_e64 v40, 7, v40, s13
	v_and_b32_e32 v41, 0xf8, v41
	v_and_b32_e32 v42, 7, v40
	v_or_b32_e32 v83, v83, v40
	v_or3_b32 v119, v119, v41, v42
	v_cmp_ne_u32_e64 s13, 0, v83
	v_lshlrev_b32_e32 v119, 8, v119
	v_cndmask_b32_e64 v83, 0, v119, s13
.LBB4_1022:                             ;   in Loop: Header=BB4_903 Depth=2
	s_or_b32 exec_lo, exec_lo, s40
.LBB4_1023:                             ;   in Loop: Header=BB4_903 Depth=2
	s_or_b32 exec_lo, exec_lo, s29
	v_and_b32_sdwa v40, v15, v117 dst_sel:DWORD dst_unused:UNUSED_PAD src0_sel:WORD_1 src1_sel:DWORD
	s_mov_b32 s14, 0
	s_mov_b32 s29, exec_lo
	v_cmpx_lt_i16_e32 0x7f, v40
	s_xor_b32 s29, exec_lo, s29
	s_cbranch_execz .LBB4_1245
; %bb.1024:                             ;   in Loop: Header=BB4_903 Depth=2
	s_mov_b32 s14, -1
	s_mov_b32 s40, exec_lo
	v_cmpx_eq_u16_e32 0x80, v40
; %bb.1025:                             ;   in Loop: Header=BB4_903 Depth=2
	s_xor_b32 s14, exec_lo, -1
; %bb.1026:                             ;   in Loop: Header=BB4_903 Depth=2
	s_or_b32 exec_lo, exec_lo, s40
	s_and_b32 s14, s14, exec_lo
                                        ; implicit-def: $vgpr40
	s_or_saveexec_b32 s29, s29
	v_mov_b32_e32 v119, 0x7f800001
	s_xor_b32 exec_lo, exec_lo, s29
	s_cbranch_execnz .LBB4_1246
.LBB4_1027:                             ;   in Loop: Header=BB4_903 Depth=2
	s_or_b32 exec_lo, exec_lo, s29
	s_and_saveexec_b32 s29, s14
	s_cbranch_execz .LBB4_1029
.LBB4_1028:                             ;   in Loop: Header=BB4_903 Depth=2
	v_bfe_u32 v119, v15, 16, 3
	v_bfe_u32 v42, v15, 19, 4
	v_lshlrev_b32_e32 v43, 8, v15
	v_ffbh_u32_e32 v40, v119
	v_cmp_eq_u32_e64 s13, 0, v42
	v_min_u32_e32 v40, 32, v40
	v_subrev_nc_u32_e32 v41, 28, v40
	v_sub_nc_u32_e32 v40, 29, v40
	v_lshlrev_b32_sdwa v41, v41, v15 dst_sel:DWORD dst_unused:UNUSED_PAD src0_sel:DWORD src1_sel:WORD_1
	v_cndmask_b32_e64 v40, v42, v40, s13
	v_and_b32_e32 v41, 7, v41
	v_lshl_add_u32 v40, v40, 23, 0x3b800000
	v_cndmask_b32_e64 v119, v119, v41, s13
	v_and_b32_e32 v41, 0x80000000, v43
	v_lshlrev_b32_e32 v119, 20, v119
	v_or3_b32 v119, v41, v40, v119
.LBB4_1029:                             ;   in Loop: Header=BB4_903 Depth=2
	s_or_b32 exec_lo, exec_lo, s29
	v_and_b32_sdwa v41, v11, v117 dst_sel:DWORD dst_unused:UNUSED_PAD src0_sel:WORD_1 src1_sel:DWORD
	s_mov_b32 s14, 0
	s_mov_b32 s29, exec_lo
	v_cmpx_lt_i16_e32 0x7f, v41
	s_xor_b32 s29, exec_lo, s29
	s_cbranch_execz .LBB4_1247
; %bb.1030:                             ;   in Loop: Header=BB4_903 Depth=2
	s_mov_b32 s14, -1
	s_mov_b32 s40, exec_lo
	v_cmpx_eq_u16_e32 0x80, v41
; %bb.1031:                             ;   in Loop: Header=BB4_903 Depth=2
	s_xor_b32 s14, exec_lo, -1
; %bb.1032:                             ;   in Loop: Header=BB4_903 Depth=2
	s_or_b32 exec_lo, exec_lo, s40
	s_and_b32 s14, s14, exec_lo
                                        ; implicit-def: $vgpr41
	s_or_saveexec_b32 s29, s29
	v_mov_b32_e32 v40, 0x7f800001
	s_xor_b32 exec_lo, exec_lo, s29
	s_cbranch_execnz .LBB4_1248
.LBB4_1033:                             ;   in Loop: Header=BB4_903 Depth=2
	s_or_b32 exec_lo, exec_lo, s29
	s_and_saveexec_b32 s29, s14
	s_cbranch_execz .LBB4_1035
.LBB4_1034:                             ;   in Loop: Header=BB4_903 Depth=2
	v_and_b32_sdwa v40, v11, v118 dst_sel:DWORD dst_unused:UNUSED_PAD src0_sel:WORD_1 src1_sel:DWORD
	v_bfe_u32 v43, v11, 19, 4
	v_lshlrev_b32_sdwa v44, v116, v11 dst_sel:DWORD dst_unused:UNUSED_PAD src0_sel:DWORD src1_sel:WORD_1
	v_ffbh_u32_e32 v41, v40
	v_cmp_eq_u32_e64 s13, 0, v43
	v_min_u32_e32 v41, 32, v41
	v_subrev_nc_u32_e32 v42, 28, v41
	v_sub_nc_u32_e32 v41, 29, v41
	v_lshlrev_b32_sdwa v42, v42, v11 dst_sel:DWORD dst_unused:UNUSED_PAD src0_sel:DWORD src1_sel:WORD_1
	v_cndmask_b32_e64 v41, v43, v41, s13
	v_and_b32_e32 v42, 7, v42
	v_lshl_add_u32 v41, v41, 23, 0x3b800000
	v_cndmask_b32_e64 v40, v40, v42, s13
	v_and_b32_e32 v42, 0x80000000, v44
	v_lshlrev_b32_e32 v40, 20, v40
	v_or3_b32 v40, v42, v41, v40
.LBB4_1035:                             ;   in Loop: Header=BB4_903 Depth=2
	s_or_b32 exec_lo, exec_lo, s29
	v_add_f32_e32 v40, v119, v40
	v_and_b32_e32 v119, 0x7f800000, v40
	v_cmp_ne_u32_e64 s13, 0x7f800000, v119
	v_mov_b32_e32 v119, 0x80
	s_and_saveexec_b32 s29, s13
	s_cbranch_execz .LBB4_1043
; %bb.1036:                             ;   in Loop: Header=BB4_903 Depth=2
	v_mov_b32_e32 v119, 0
	s_mov_b32 s40, exec_lo
	v_cmpx_ne_u32_e32 0, v40
	s_cbranch_execz .LBB4_1042
; %bb.1037:                             ;   in Loop: Header=BB4_903 Depth=2
	v_bfe_u32 v119, v40, 23, 8
	v_and_b32_e32 v41, 0x7fffff, v40
	v_sub_nc_u32_e32 v42, 0x78, v119
	v_cmp_gt_u32_e64 s13, 0x79, v119
	v_or_b32_e32 v43, 0x800000, v41
	v_cndmask_b32_e64 v42, 0, v42, s13
	v_cmp_eq_u32_e64 s13, 0, v119
	v_add_nc_u32_e32 v119, 0xffffff89, v119
	v_cndmask_b32_e64 v42, v42, 0x77, s13
	v_cndmask_b32_e64 v41, v43, v41, s13
	;; [unrolled: 1-line block ×3, first 2 shown]
	v_lshl_add_u32 v43, 0x100000, v42, -1
	v_lshrrev_b32_e32 v44, v42, v41
	v_lshlrev_b32_e64 v46, v42, 0x80000
	v_add_nc_u32_e32 v42, v42, v119
	v_and_b32_e32 v41, v43, v41
	v_bfe_u32 v45, v44, 20, 1
	v_cmp_eq_u32_e64 s14, v41, v46
	v_add_nc_u32_e32 v43, -1, v45
	v_cndmask_b32_e64 v41, 0, v43, s14
	v_lshrrev_b32_e32 v43, 23, v44
	s_mov_b32 s14, exec_lo
	v_add_nc_u32_e32 v41, v41, v44
	v_xor_b32_e32 v43, 1, v43
	v_and_b32_e32 v119, 0xfffff, v41
	v_add_nc_u32_e32 v41, v119, v44
                                        ; implicit-def: $vgpr119
	v_cmpx_ne_u32_e64 v42, v43
	s_xor_b32 s14, exec_lo, s14
; %bb.1038:                             ;   in Loop: Header=BB4_903 Depth=2
	v_cmp_lt_u32_e64 s13, 0xffffff, v41
	v_sub_nc_u32_e32 v119, v42, v43
	v_cndmask_b32_e64 v42, 0, 1, s13
	v_add_co_ci_u32_e64 v119, null, 0, v119, s13
	v_lshrrev_b32_e32 v41, v42, v41
; %bb.1039:                             ;   in Loop: Header=BB4_903 Depth=2
	s_andn2_saveexec_b32 s13, s14
; %bb.1040:                             ;   in Loop: Header=BB4_903 Depth=2
	v_bfe_u32 v119, v41, 23, 1
; %bb.1041:                             ;   in Loop: Header=BB4_903 Depth=2
	s_or_b32 exec_lo, exec_lo, s13
	v_lshrrev_b32_e32 v41, 20, v41
	v_min_i32_e32 v42, 15, v119
	v_cmp_gt_i32_e64 s13, 16, v119
	v_and_b32_sdwa v40, v40, v114 dst_sel:DWORD dst_unused:UNUSED_PAD src0_sel:BYTE_3 src1_sel:DWORD
	v_lshlrev_b32_e32 v42, 3, v42
	v_cndmask_b32_e64 v41, 7, v41, s13
	v_and_b32_e32 v42, 0xf8, v42
	v_and_b32_e32 v43, 7, v41
	v_or_b32_e32 v119, v119, v41
	v_or3_b32 v40, v42, v40, v43
	v_cmp_ne_u32_e64 s13, 0, v119
	v_cndmask_b32_e64 v119, 0, v40, s13
.LBB4_1042:                             ;   in Loop: Header=BB4_903 Depth=2
	s_or_b32 exec_lo, exec_lo, s40
.LBB4_1043:                             ;   in Loop: Header=BB4_903 Depth=2
	s_or_b32 exec_lo, exec_lo, s29
	v_cmp_gt_i16_sdwa s14, v15, v101 src0_sel:BYTE_3 src1_sel:DWORD
	s_mov_b32 s13, 0
	s_and_saveexec_b32 s29, s14
	s_xor_b32 s14, exec_lo, s29
	s_cbranch_execz .LBB4_1249
; %bb.1044:                             ;   in Loop: Header=BB4_903 Depth=2
	v_cmp_eq_u16_sdwa s40, v15, v114 src0_sel:BYTE_3 src1_sel:DWORD
	s_mov_b32 s13, -1
	s_and_saveexec_b32 s29, s40
; %bb.1045:                             ;   in Loop: Header=BB4_903 Depth=2
	s_xor_b32 s13, exec_lo, -1
; %bb.1046:                             ;   in Loop: Header=BB4_903 Depth=2
	s_or_b32 exec_lo, exec_lo, s29
	s_and_b32 s13, s13, exec_lo
	s_or_saveexec_b32 s14, s14
	v_mov_b32_e32 v40, 0x7f800001
	s_xor_b32 exec_lo, exec_lo, s14
	s_cbranch_execnz .LBB4_1250
.LBB4_1047:                             ;   in Loop: Header=BB4_903 Depth=2
	s_or_b32 exec_lo, exec_lo, s14
	s_and_saveexec_b32 s14, s13
	s_cbranch_execz .LBB4_1049
.LBB4_1048:                             ;   in Loop: Header=BB4_903 Depth=2
	v_bfe_u32 v40, v15, 24, 3
	v_bfe_u32 v43, v15, 27, 4
	v_ffbh_u32_e32 v41, v40
	v_cmp_eq_u32_e64 s13, 0, v43
	v_min_u32_e32 v41, 32, v41
	v_subrev_nc_u32_e32 v42, 28, v41
	v_sub_nc_u32_e32 v41, 29, v41
	v_lshlrev_b32_sdwa v42, v42, v15 dst_sel:DWORD dst_unused:UNUSED_PAD src0_sel:DWORD src1_sel:BYTE_3
	v_cndmask_b32_e64 v41, v43, v41, s13
	v_and_b32_e32 v15, 0x80000000, v15
	v_and_b32_e32 v42, 7, v42
	v_lshl_add_u32 v41, v41, 23, 0x3b800000
	v_cndmask_b32_e64 v40, v40, v42, s13
	v_lshlrev_b32_e32 v40, 20, v40
	v_or3_b32 v40, v15, v41, v40
.LBB4_1049:                             ;   in Loop: Header=BB4_903 Depth=2
	s_or_b32 exec_lo, exec_lo, s14
	v_cmp_gt_i16_sdwa s14, v11, v101 src0_sel:BYTE_3 src1_sel:DWORD
	s_mov_b32 s13, 0
	s_and_saveexec_b32 s29, s14
	s_xor_b32 s14, exec_lo, s29
	s_cbranch_execz .LBB4_1251
; %bb.1050:                             ;   in Loop: Header=BB4_903 Depth=2
	v_cmp_eq_u16_sdwa s40, v11, v114 src0_sel:BYTE_3 src1_sel:DWORD
	s_mov_b32 s13, -1
	s_and_saveexec_b32 s29, s40
; %bb.1051:                             ;   in Loop: Header=BB4_903 Depth=2
	s_xor_b32 s13, exec_lo, -1
; %bb.1052:                             ;   in Loop: Header=BB4_903 Depth=2
	s_or_b32 exec_lo, exec_lo, s29
	s_and_b32 s13, s13, exec_lo
	s_or_saveexec_b32 s14, s14
	v_mov_b32_e32 v15, 0x7f800001
	s_xor_b32 exec_lo, exec_lo, s14
	s_cbranch_execnz .LBB4_1252
.LBB4_1053:                             ;   in Loop: Header=BB4_903 Depth=2
	s_or_b32 exec_lo, exec_lo, s14
	s_and_saveexec_b32 s14, s13
	s_cbranch_execz .LBB4_1055
.LBB4_1054:                             ;   in Loop: Header=BB4_903 Depth=2
	v_and_b32_sdwa v15, v11, v118 dst_sel:DWORD dst_unused:UNUSED_PAD src0_sel:BYTE_3 src1_sel:DWORD
	v_bfe_u32 v43, v11, 27, 4
	v_ffbh_u32_e32 v41, v15
	v_cmp_eq_u32_e64 s13, 0, v43
	v_min_u32_e32 v41, 32, v41
	v_subrev_nc_u32_e32 v42, 28, v41
	v_sub_nc_u32_e32 v41, 29, v41
	v_lshlrev_b32_sdwa v42, v42, v11 dst_sel:DWORD dst_unused:UNUSED_PAD src0_sel:DWORD src1_sel:BYTE_3
	v_cndmask_b32_e64 v41, v43, v41, s13
	v_and_b32_e32 v11, 0x80000000, v11
	v_and_b32_e32 v42, 7, v42
	v_lshl_add_u32 v41, v41, 23, 0x3b800000
	v_cndmask_b32_e64 v15, v15, v42, s13
	v_lshlrev_b32_e32 v15, 20, v15
	v_or3_b32 v15, v11, v41, v15
.LBB4_1055:                             ;   in Loop: Header=BB4_903 Depth=2
	s_or_b32 exec_lo, exec_lo, s14
	v_add_f32_e32 v15, v40, v15
	v_and_b32_e32 v11, 0x7f800000, v15
	v_cmp_ne_u32_e64 s13, 0x7f800000, v11
	v_mov_b32_e32 v11, 0x8000
	s_and_saveexec_b32 s29, s13
	s_cbranch_execz .LBB4_1063
; %bb.1056:                             ;   in Loop: Header=BB4_903 Depth=2
	v_mov_b32_e32 v11, 0
	s_mov_b32 s40, exec_lo
	v_cmpx_ne_u32_e32 0, v15
	s_cbranch_execz .LBB4_1062
; %bb.1057:                             ;   in Loop: Header=BB4_903 Depth=2
	v_bfe_u32 v11, v15, 23, 8
	v_and_b32_e32 v40, 0x7fffff, v15
	v_sub_nc_u32_e32 v41, 0x78, v11
	v_cmp_gt_u32_e64 s13, 0x79, v11
	v_or_b32_e32 v42, 0x800000, v40
	v_cndmask_b32_e64 v41, 0, v41, s13
	v_cmp_eq_u32_e64 s13, 0, v11
	v_add_nc_u32_e32 v11, 0xffffff89, v11
	v_cndmask_b32_e64 v41, v41, 0x77, s13
	v_cndmask_b32_e64 v40, v42, v40, s13
	;; [unrolled: 1-line block ×3, first 2 shown]
	v_lshl_add_u32 v42, 0x100000, v41, -1
	v_lshrrev_b32_e32 v43, v41, v40
	v_lshlrev_b32_e64 v45, v41, 0x80000
	v_add_nc_u32_e32 v41, v41, v11
	v_and_b32_e32 v40, v42, v40
	v_bfe_u32 v44, v43, 20, 1
	v_cmp_eq_u32_e64 s14, v40, v45
	v_add_nc_u32_e32 v42, -1, v44
	v_cndmask_b32_e64 v40, 0, v42, s14
	v_lshrrev_b32_e32 v42, 23, v43
	s_mov_b32 s14, exec_lo
	v_add_nc_u32_e32 v40, v40, v43
	v_xor_b32_e32 v42, 1, v42
	v_and_b32_e32 v11, 0xfffff, v40
	v_add_nc_u32_e32 v40, v11, v43
                                        ; implicit-def: $vgpr11
	v_cmpx_ne_u32_e64 v41, v42
	s_xor_b32 s14, exec_lo, s14
; %bb.1058:                             ;   in Loop: Header=BB4_903 Depth=2
	v_cmp_lt_u32_e64 s13, 0xffffff, v40
	v_sub_nc_u32_e32 v11, v41, v42
	v_cndmask_b32_e64 v41, 0, 1, s13
	v_add_co_ci_u32_e64 v11, null, 0, v11, s13
	v_lshrrev_b32_e32 v40, v41, v40
; %bb.1059:                             ;   in Loop: Header=BB4_903 Depth=2
	s_andn2_saveexec_b32 s13, s14
; %bb.1060:                             ;   in Loop: Header=BB4_903 Depth=2
	v_bfe_u32 v11, v40, 23, 1
; %bb.1061:                             ;   in Loop: Header=BB4_903 Depth=2
	s_or_b32 exec_lo, exec_lo, s13
	v_lshrrev_b32_e32 v40, 20, v40
	v_min_i32_e32 v41, 15, v11
	v_cmp_gt_i32_e64 s13, 16, v11
	v_and_b32_sdwa v15, v15, v114 dst_sel:DWORD dst_unused:UNUSED_PAD src0_sel:BYTE_3 src1_sel:DWORD
	v_lshlrev_b32_e32 v41, 3, v41
	v_cndmask_b32_e64 v40, 7, v40, s13
	v_and_b32_e32 v41, 0xf8, v41
	v_and_b32_e32 v42, 7, v40
	v_or_b32_e32 v11, v11, v40
	v_or3_b32 v15, v15, v41, v42
	v_cmp_ne_u32_e64 s13, 0, v11
	v_lshlrev_b32_e32 v15, 8, v15
	v_cndmask_b32_e64 v11, 0, v15, s13
.LBB4_1062:                             ;   in Loop: Header=BB4_903 Depth=2
	s_or_b32 exec_lo, exec_lo, s40
.LBB4_1063:                             ;   in Loop: Header=BB4_903 Depth=2
	s_or_b32 exec_lo, exec_lo, s29
	v_cmp_gt_i16_sdwa s14, v16, v101 src0_sel:BYTE_0 src1_sel:DWORD
	s_mov_b32 s13, 0
	s_and_saveexec_b32 s29, s14
	s_xor_b32 s14, exec_lo, s29
	s_cbranch_execz .LBB4_1253
; %bb.1064:                             ;   in Loop: Header=BB4_903 Depth=2
	v_cmp_eq_u16_sdwa s40, v16, v114 src0_sel:BYTE_0 src1_sel:DWORD
	s_mov_b32 s13, -1
	s_and_saveexec_b32 s29, s40
; %bb.1065:                             ;   in Loop: Header=BB4_903 Depth=2
	s_xor_b32 s13, exec_lo, -1
; %bb.1066:                             ;   in Loop: Header=BB4_903 Depth=2
	s_or_b32 exec_lo, exec_lo, s29
	s_and_b32 s13, s13, exec_lo
	s_or_saveexec_b32 s14, s14
	v_mov_b32_e32 v15, 0x7f800001
	s_xor_b32 exec_lo, exec_lo, s14
	s_cbranch_execnz .LBB4_1254
.LBB4_1067:                             ;   in Loop: Header=BB4_903 Depth=2
	s_or_b32 exec_lo, exec_lo, s14
	s_and_saveexec_b32 s14, s13
	s_cbranch_execz .LBB4_1069
.LBB4_1068:                             ;   in Loop: Header=BB4_903 Depth=2
	v_and_b32_e32 v15, 7, v16
	v_bfe_u32 v42, v16, 3, 4
	v_lshlrev_b32_e32 v43, 24, v16
	v_ffbh_u32_e32 v40, v15
	v_cmp_eq_u32_e64 s13, 0, v42
	v_min_u32_e32 v40, 32, v40
	v_subrev_nc_u32_e32 v41, 28, v40
	v_sub_nc_u32_e32 v40, 29, v40
	v_lshlrev_b32_e32 v41, v41, v16
	v_cndmask_b32_e64 v40, v42, v40, s13
	v_and_b32_e32 v41, 7, v41
	v_lshl_add_u32 v40, v40, 23, 0x3b800000
	v_cndmask_b32_e64 v15, v15, v41, s13
	v_and_b32_e32 v41, 0x80000000, v43
	v_lshlrev_b32_e32 v15, 20, v15
	v_or3_b32 v15, v41, v40, v15
.LBB4_1069:                             ;   in Loop: Header=BB4_903 Depth=2
	s_or_b32 exec_lo, exec_lo, s14
	v_cmp_gt_i16_sdwa s14, v12, v101 src0_sel:BYTE_0 src1_sel:DWORD
	s_mov_b32 s13, 0
	s_and_saveexec_b32 s29, s14
	s_xor_b32 s14, exec_lo, s29
	s_cbranch_execz .LBB4_1255
; %bb.1070:                             ;   in Loop: Header=BB4_903 Depth=2
	v_cmp_eq_u16_sdwa s40, v12, v114 src0_sel:BYTE_0 src1_sel:DWORD
	s_mov_b32 s13, -1
	s_and_saveexec_b32 s29, s40
; %bb.1071:                             ;   in Loop: Header=BB4_903 Depth=2
	s_xor_b32 s13, exec_lo, -1
; %bb.1072:                             ;   in Loop: Header=BB4_903 Depth=2
	s_or_b32 exec_lo, exec_lo, s29
	s_and_b32 s13, s13, exec_lo
	s_or_saveexec_b32 s14, s14
	v_mov_b32_e32 v40, 0x7f800001
	s_xor_b32 exec_lo, exec_lo, s14
	s_cbranch_execnz .LBB4_1256
.LBB4_1073:                             ;   in Loop: Header=BB4_903 Depth=2
	s_or_b32 exec_lo, exec_lo, s14
	s_and_saveexec_b32 s14, s13
	s_cbranch_execz .LBB4_1075
.LBB4_1074:                             ;   in Loop: Header=BB4_903 Depth=2
	v_and_b32_e32 v40, 7, v12
	v_bfe_u32 v43, v12, 3, 4
	v_lshlrev_b32_e32 v44, 24, v12
	v_ffbh_u32_e32 v41, v40
	v_cmp_eq_u32_e64 s13, 0, v43
	v_min_u32_e32 v41, 32, v41
	v_subrev_nc_u32_e32 v42, 28, v41
	v_sub_nc_u32_e32 v41, 29, v41
	v_lshlrev_b32_e32 v42, v42, v12
	v_cndmask_b32_e64 v41, v43, v41, s13
	v_and_b32_e32 v42, 7, v42
	v_lshl_add_u32 v41, v41, 23, 0x3b800000
	v_cndmask_b32_e64 v40, v40, v42, s13
	v_and_b32_e32 v42, 0x80000000, v44
	v_lshlrev_b32_e32 v40, 20, v40
	v_or3_b32 v40, v42, v41, v40
.LBB4_1075:                             ;   in Loop: Header=BB4_903 Depth=2
	s_or_b32 exec_lo, exec_lo, s14
	v_add_f32_e32 v40, v15, v40
	v_and_b32_e32 v15, 0x7f800000, v40
	v_cmp_ne_u32_e64 s13, 0x7f800000, v15
	v_mov_b32_e32 v15, 0x80
	s_and_saveexec_b32 s29, s13
	s_cbranch_execz .LBB4_1083
; %bb.1076:                             ;   in Loop: Header=BB4_903 Depth=2
	v_mov_b32_e32 v15, 0
	s_mov_b32 s40, exec_lo
	v_cmpx_ne_u32_e32 0, v40
	s_cbranch_execz .LBB4_1082
; %bb.1077:                             ;   in Loop: Header=BB4_903 Depth=2
	v_bfe_u32 v15, v40, 23, 8
	v_and_b32_e32 v41, 0x7fffff, v40
	v_sub_nc_u32_e32 v42, 0x78, v15
	v_cmp_gt_u32_e64 s13, 0x79, v15
	v_or_b32_e32 v43, 0x800000, v41
	v_cndmask_b32_e64 v42, 0, v42, s13
	v_cmp_eq_u32_e64 s13, 0, v15
	v_add_nc_u32_e32 v15, 0xffffff89, v15
	v_cndmask_b32_e64 v42, v42, 0x77, s13
	v_cndmask_b32_e64 v41, v43, v41, s13
	;; [unrolled: 1-line block ×3, first 2 shown]
	v_lshl_add_u32 v43, 0x100000, v42, -1
	v_lshrrev_b32_e32 v44, v42, v41
	v_lshlrev_b32_e64 v46, v42, 0x80000
	v_add_nc_u32_e32 v42, v42, v15
	v_and_b32_e32 v41, v43, v41
	v_bfe_u32 v45, v44, 20, 1
	v_cmp_eq_u32_e64 s14, v41, v46
	v_add_nc_u32_e32 v43, -1, v45
	v_cndmask_b32_e64 v41, 0, v43, s14
	v_lshrrev_b32_e32 v43, 23, v44
	s_mov_b32 s14, exec_lo
	v_add_nc_u32_e32 v41, v41, v44
	v_xor_b32_e32 v43, 1, v43
	v_and_b32_e32 v15, 0xfffff, v41
	v_add_nc_u32_e32 v41, v15, v44
                                        ; implicit-def: $vgpr15
	v_cmpx_ne_u32_e64 v42, v43
	s_xor_b32 s14, exec_lo, s14
; %bb.1078:                             ;   in Loop: Header=BB4_903 Depth=2
	v_cmp_lt_u32_e64 s13, 0xffffff, v41
	v_sub_nc_u32_e32 v15, v42, v43
	v_cndmask_b32_e64 v42, 0, 1, s13
	v_add_co_ci_u32_e64 v15, null, 0, v15, s13
	v_lshrrev_b32_e32 v41, v42, v41
; %bb.1079:                             ;   in Loop: Header=BB4_903 Depth=2
	s_andn2_saveexec_b32 s13, s14
; %bb.1080:                             ;   in Loop: Header=BB4_903 Depth=2
	v_bfe_u32 v15, v41, 23, 1
; %bb.1081:                             ;   in Loop: Header=BB4_903 Depth=2
	s_or_b32 exec_lo, exec_lo, s13
	v_lshrrev_b32_e32 v41, 20, v41
	v_min_i32_e32 v42, 15, v15
	v_cmp_gt_i32_e64 s13, 16, v15
	v_and_b32_sdwa v40, v40, v114 dst_sel:DWORD dst_unused:UNUSED_PAD src0_sel:BYTE_3 src1_sel:DWORD
	v_lshlrev_b32_e32 v42, 3, v42
	v_cndmask_b32_e64 v41, 7, v41, s13
	v_and_b32_e32 v42, 0xf8, v42
	v_and_b32_e32 v43, 7, v41
	v_or_b32_e32 v15, v15, v41
	v_or3_b32 v40, v42, v40, v43
	v_cmp_ne_u32_e64 s13, 0, v15
	v_cndmask_b32_e64 v15, 0, v40, s13
.LBB4_1082:                             ;   in Loop: Header=BB4_903 Depth=2
	s_or_b32 exec_lo, exec_lo, s40
.LBB4_1083:                             ;   in Loop: Header=BB4_903 Depth=2
	s_or_b32 exec_lo, exec_lo, s29
	v_cmp_gt_i16_sdwa s14, v16, v101 src0_sel:BYTE_1 src1_sel:DWORD
	s_mov_b32 s13, 0
	s_and_saveexec_b32 s29, s14
	s_xor_b32 s14, exec_lo, s29
	s_cbranch_execz .LBB4_1257
; %bb.1084:                             ;   in Loop: Header=BB4_903 Depth=2
	v_cmp_eq_u16_sdwa s40, v16, v114 src0_sel:BYTE_1 src1_sel:DWORD
	s_mov_b32 s13, -1
	s_and_saveexec_b32 s29, s40
; %bb.1085:                             ;   in Loop: Header=BB4_903 Depth=2
	s_xor_b32 s13, exec_lo, -1
; %bb.1086:                             ;   in Loop: Header=BB4_903 Depth=2
	s_or_b32 exec_lo, exec_lo, s29
	s_and_b32 s13, s13, exec_lo
	s_or_saveexec_b32 s14, s14
	v_mov_b32_e32 v40, 0x7f800001
	s_xor_b32 exec_lo, exec_lo, s14
	s_cbranch_execnz .LBB4_1258
.LBB4_1087:                             ;   in Loop: Header=BB4_903 Depth=2
	s_or_b32 exec_lo, exec_lo, s14
	s_and_saveexec_b32 s14, s13
	s_cbranch_execz .LBB4_1089
.LBB4_1088:                             ;   in Loop: Header=BB4_903 Depth=2
	v_and_b32_sdwa v40, v115, v16 dst_sel:DWORD dst_unused:UNUSED_PAD src0_sel:DWORD src1_sel:BYTE_1
	v_and_b32_e32 v41, 7, v40
	v_bfe_u32 v44, v40, 3, 4
	v_ffbh_u32_e32 v42, v41
	v_cmp_eq_u32_e64 s13, 0, v44
	v_min_u32_e32 v42, 32, v42
	v_subrev_nc_u32_e32 v43, 28, v42
	v_sub_nc_u32_e32 v42, 29, v42
	v_lshlrev_b32_e32 v40, v43, v40
	v_lshlrev_b32_sdwa v43, v116, v16 dst_sel:DWORD dst_unused:UNUSED_PAD src0_sel:DWORD src1_sel:BYTE_1
	v_cndmask_b32_e64 v42, v44, v42, s13
	v_and_b32_e32 v40, 7, v40
	v_lshl_add_u32 v42, v42, 23, 0x3b800000
	v_cndmask_b32_e64 v40, v41, v40, s13
	v_and_b32_e32 v41, 0x80000000, v43
	v_lshlrev_b32_e32 v40, 20, v40
	v_or3_b32 v40, v41, v42, v40
.LBB4_1089:                             ;   in Loop: Header=BB4_903 Depth=2
	s_or_b32 exec_lo, exec_lo, s14
	v_cmp_gt_i16_sdwa s14, v12, v101 src0_sel:BYTE_1 src1_sel:DWORD
	s_mov_b32 s13, 0
	s_and_saveexec_b32 s29, s14
	s_xor_b32 s14, exec_lo, s29
	s_cbranch_execz .LBB4_1259
; %bb.1090:                             ;   in Loop: Header=BB4_903 Depth=2
	v_cmp_eq_u16_sdwa s40, v12, v114 src0_sel:BYTE_1 src1_sel:DWORD
	s_mov_b32 s13, -1
	s_and_saveexec_b32 s29, s40
; %bb.1091:                             ;   in Loop: Header=BB4_903 Depth=2
	s_xor_b32 s13, exec_lo, -1
; %bb.1092:                             ;   in Loop: Header=BB4_903 Depth=2
	s_or_b32 exec_lo, exec_lo, s29
	s_and_b32 s13, s13, exec_lo
	s_or_saveexec_b32 s14, s14
	v_mov_b32_e32 v41, 0x7f800001
	s_xor_b32 exec_lo, exec_lo, s14
	s_cbranch_execnz .LBB4_1260
.LBB4_1093:                             ;   in Loop: Header=BB4_903 Depth=2
	s_or_b32 exec_lo, exec_lo, s14
	s_and_saveexec_b32 s14, s13
	s_cbranch_execz .LBB4_1095
.LBB4_1094:                             ;   in Loop: Header=BB4_903 Depth=2
	v_and_b32_sdwa v41, v115, v12 dst_sel:DWORD dst_unused:UNUSED_PAD src0_sel:DWORD src1_sel:BYTE_1
	v_and_b32_e32 v42, 7, v41
	v_bfe_u32 v45, v41, 3, 4
	v_ffbh_u32_e32 v43, v42
	v_cmp_eq_u32_e64 s13, 0, v45
	v_min_u32_e32 v43, 32, v43
	v_subrev_nc_u32_e32 v44, 28, v43
	v_sub_nc_u32_e32 v43, 29, v43
	v_lshlrev_b32_e32 v41, v44, v41
	v_lshlrev_b32_sdwa v44, v116, v12 dst_sel:DWORD dst_unused:UNUSED_PAD src0_sel:DWORD src1_sel:BYTE_1
	v_cndmask_b32_e64 v43, v45, v43, s13
	v_and_b32_e32 v41, 7, v41
	v_lshl_add_u32 v43, v43, 23, 0x3b800000
	v_cndmask_b32_e64 v41, v42, v41, s13
	v_and_b32_e32 v42, 0x80000000, v44
	v_lshlrev_b32_e32 v41, 20, v41
	v_or3_b32 v41, v42, v43, v41
.LBB4_1095:                             ;   in Loop: Header=BB4_903 Depth=2
	s_or_b32 exec_lo, exec_lo, s14
	v_add_f32_e32 v41, v40, v41
	v_and_b32_e32 v40, 0x7f800000, v41
	v_cmp_ne_u32_e64 s13, 0x7f800000, v40
	v_mov_b32_e32 v40, 0x8000
	s_and_saveexec_b32 s29, s13
	s_cbranch_execz .LBB4_1103
; %bb.1096:                             ;   in Loop: Header=BB4_903 Depth=2
	v_mov_b32_e32 v40, 0
	s_mov_b32 s40, exec_lo
	v_cmpx_ne_u32_e32 0, v41
	s_cbranch_execz .LBB4_1102
; %bb.1097:                             ;   in Loop: Header=BB4_903 Depth=2
	v_bfe_u32 v40, v41, 23, 8
	v_and_b32_e32 v42, 0x7fffff, v41
	v_sub_nc_u32_e32 v43, 0x78, v40
	v_cmp_gt_u32_e64 s13, 0x79, v40
	v_or_b32_e32 v44, 0x800000, v42
	v_cndmask_b32_e64 v43, 0, v43, s13
	v_cmp_eq_u32_e64 s13, 0, v40
	v_add_nc_u32_e32 v40, 0xffffff89, v40
	v_cndmask_b32_e64 v43, v43, 0x77, s13
	v_cndmask_b32_e64 v42, v44, v42, s13
	;; [unrolled: 1-line block ×3, first 2 shown]
	v_lshl_add_u32 v44, 0x100000, v43, -1
	v_lshrrev_b32_e32 v45, v43, v42
	v_lshlrev_b32_e64 v47, v43, 0x80000
	v_add_nc_u32_e32 v43, v43, v40
	v_and_b32_e32 v42, v44, v42
	v_bfe_u32 v46, v45, 20, 1
	v_cmp_eq_u32_e64 s14, v42, v47
	v_add_nc_u32_e32 v44, -1, v46
	v_cndmask_b32_e64 v42, 0, v44, s14
	v_lshrrev_b32_e32 v44, 23, v45
	s_mov_b32 s14, exec_lo
	v_add_nc_u32_e32 v42, v42, v45
	v_xor_b32_e32 v44, 1, v44
	v_and_b32_e32 v40, 0xfffff, v42
	v_add_nc_u32_e32 v42, v40, v45
                                        ; implicit-def: $vgpr40
	v_cmpx_ne_u32_e64 v43, v44
	s_xor_b32 s14, exec_lo, s14
; %bb.1098:                             ;   in Loop: Header=BB4_903 Depth=2
	v_cmp_lt_u32_e64 s13, 0xffffff, v42
	v_sub_nc_u32_e32 v40, v43, v44
	v_cndmask_b32_e64 v43, 0, 1, s13
	v_add_co_ci_u32_e64 v40, null, 0, v40, s13
	v_lshrrev_b32_e32 v42, v43, v42
; %bb.1099:                             ;   in Loop: Header=BB4_903 Depth=2
	s_andn2_saveexec_b32 s13, s14
; %bb.1100:                             ;   in Loop: Header=BB4_903 Depth=2
	v_bfe_u32 v40, v42, 23, 1
; %bb.1101:                             ;   in Loop: Header=BB4_903 Depth=2
	s_or_b32 exec_lo, exec_lo, s13
	v_lshrrev_b32_e32 v42, 20, v42
	v_min_i32_e32 v43, 15, v40
	v_cmp_gt_i32_e64 s13, 16, v40
	v_and_b32_sdwa v41, v41, v114 dst_sel:DWORD dst_unused:UNUSED_PAD src0_sel:BYTE_3 src1_sel:DWORD
	v_lshlrev_b32_e32 v43, 3, v43
	v_cndmask_b32_e64 v42, 7, v42, s13
	v_and_b32_e32 v43, 0xf8, v43
	v_and_b32_e32 v44, 7, v42
	v_or_b32_e32 v40, v40, v42
	v_or3_b32 v41, v41, v43, v44
	v_cmp_ne_u32_e64 s13, 0, v40
	v_lshlrev_b32_e32 v41, 8, v41
	v_cndmask_b32_e64 v40, 0, v41, s13
.LBB4_1102:                             ;   in Loop: Header=BB4_903 Depth=2
	s_or_b32 exec_lo, exec_lo, s40
.LBB4_1103:                             ;   in Loop: Header=BB4_903 Depth=2
	s_or_b32 exec_lo, exec_lo, s29
	v_and_b32_sdwa v42, v16, v117 dst_sel:DWORD dst_unused:UNUSED_PAD src0_sel:WORD_1 src1_sel:DWORD
	s_mov_b32 s14, 0
	s_mov_b32 s29, exec_lo
	v_cmpx_lt_i16_e32 0x7f, v42
	s_xor_b32 s29, exec_lo, s29
	s_cbranch_execz .LBB4_1261
; %bb.1104:                             ;   in Loop: Header=BB4_903 Depth=2
	s_mov_b32 s14, -1
	s_mov_b32 s40, exec_lo
	v_cmpx_eq_u16_e32 0x80, v42
; %bb.1105:                             ;   in Loop: Header=BB4_903 Depth=2
	s_xor_b32 s14, exec_lo, -1
; %bb.1106:                             ;   in Loop: Header=BB4_903 Depth=2
	s_or_b32 exec_lo, exec_lo, s40
	s_and_b32 s14, s14, exec_lo
                                        ; implicit-def: $vgpr42
	s_or_saveexec_b32 s29, s29
	v_mov_b32_e32 v41, 0x7f800001
	s_xor_b32 exec_lo, exec_lo, s29
	s_cbranch_execnz .LBB4_1262
.LBB4_1107:                             ;   in Loop: Header=BB4_903 Depth=2
	s_or_b32 exec_lo, exec_lo, s29
	s_and_saveexec_b32 s29, s14
	s_cbranch_execz .LBB4_1109
.LBB4_1108:                             ;   in Loop: Header=BB4_903 Depth=2
	v_bfe_u32 v41, v16, 16, 3
	v_bfe_u32 v44, v16, 19, 4
	v_lshlrev_b32_e32 v45, 8, v16
	v_ffbh_u32_e32 v42, v41
	v_cmp_eq_u32_e64 s13, 0, v44
	v_min_u32_e32 v42, 32, v42
	v_subrev_nc_u32_e32 v43, 28, v42
	v_sub_nc_u32_e32 v42, 29, v42
	v_lshlrev_b32_sdwa v43, v43, v16 dst_sel:DWORD dst_unused:UNUSED_PAD src0_sel:DWORD src1_sel:WORD_1
	v_cndmask_b32_e64 v42, v44, v42, s13
	v_and_b32_e32 v43, 7, v43
	v_lshl_add_u32 v42, v42, 23, 0x3b800000
	v_cndmask_b32_e64 v41, v41, v43, s13
	v_and_b32_e32 v43, 0x80000000, v45
	v_lshlrev_b32_e32 v41, 20, v41
	v_or3_b32 v41, v43, v42, v41
.LBB4_1109:                             ;   in Loop: Header=BB4_903 Depth=2
	s_or_b32 exec_lo, exec_lo, s29
	v_and_b32_sdwa v43, v12, v117 dst_sel:DWORD dst_unused:UNUSED_PAD src0_sel:WORD_1 src1_sel:DWORD
	s_mov_b32 s14, 0
	s_mov_b32 s29, exec_lo
	v_cmpx_lt_i16_e32 0x7f, v43
	s_xor_b32 s29, exec_lo, s29
	s_cbranch_execz .LBB4_1263
; %bb.1110:                             ;   in Loop: Header=BB4_903 Depth=2
	s_mov_b32 s14, -1
	s_mov_b32 s40, exec_lo
	v_cmpx_eq_u16_e32 0x80, v43
; %bb.1111:                             ;   in Loop: Header=BB4_903 Depth=2
	s_xor_b32 s14, exec_lo, -1
; %bb.1112:                             ;   in Loop: Header=BB4_903 Depth=2
	s_or_b32 exec_lo, exec_lo, s40
	s_and_b32 s14, s14, exec_lo
                                        ; implicit-def: $vgpr43
	s_or_saveexec_b32 s29, s29
	v_mov_b32_e32 v42, 0x7f800001
	s_xor_b32 exec_lo, exec_lo, s29
	s_cbranch_execnz .LBB4_1264
.LBB4_1113:                             ;   in Loop: Header=BB4_903 Depth=2
	s_or_b32 exec_lo, exec_lo, s29
	s_and_saveexec_b32 s29, s14
	s_cbranch_execz .LBB4_1115
.LBB4_1114:                             ;   in Loop: Header=BB4_903 Depth=2
	v_and_b32_sdwa v42, v12, v118 dst_sel:DWORD dst_unused:UNUSED_PAD src0_sel:WORD_1 src1_sel:DWORD
	v_bfe_u32 v45, v12, 19, 4
	v_lshlrev_b32_sdwa v46, v116, v12 dst_sel:DWORD dst_unused:UNUSED_PAD src0_sel:DWORD src1_sel:WORD_1
	v_ffbh_u32_e32 v43, v42
	v_cmp_eq_u32_e64 s13, 0, v45
	v_min_u32_e32 v43, 32, v43
	v_subrev_nc_u32_e32 v44, 28, v43
	v_sub_nc_u32_e32 v43, 29, v43
	v_lshlrev_b32_sdwa v44, v44, v12 dst_sel:DWORD dst_unused:UNUSED_PAD src0_sel:DWORD src1_sel:WORD_1
	v_cndmask_b32_e64 v43, v45, v43, s13
	v_and_b32_e32 v44, 7, v44
	v_lshl_add_u32 v43, v43, 23, 0x3b800000
	v_cndmask_b32_e64 v42, v42, v44, s13
	v_and_b32_e32 v44, 0x80000000, v46
	v_lshlrev_b32_e32 v42, 20, v42
	v_or3_b32 v42, v44, v43, v42
.LBB4_1115:                             ;   in Loop: Header=BB4_903 Depth=2
	s_or_b32 exec_lo, exec_lo, s29
	v_add_f32_e32 v42, v41, v42
	v_and_b32_e32 v41, 0x7f800000, v42
	v_cmp_ne_u32_e64 s13, 0x7f800000, v41
	v_mov_b32_e32 v41, 0x80
	s_and_saveexec_b32 s29, s13
	s_cbranch_execz .LBB4_1123
; %bb.1116:                             ;   in Loop: Header=BB4_903 Depth=2
	v_mov_b32_e32 v41, 0
	s_mov_b32 s40, exec_lo
	v_cmpx_ne_u32_e32 0, v42
	s_cbranch_execz .LBB4_1122
; %bb.1117:                             ;   in Loop: Header=BB4_903 Depth=2
	v_bfe_u32 v41, v42, 23, 8
	v_and_b32_e32 v43, 0x7fffff, v42
	v_sub_nc_u32_e32 v44, 0x78, v41
	v_cmp_gt_u32_e64 s13, 0x79, v41
	v_or_b32_e32 v45, 0x800000, v43
	v_cndmask_b32_e64 v44, 0, v44, s13
	v_cmp_eq_u32_e64 s13, 0, v41
	v_add_nc_u32_e32 v41, 0xffffff89, v41
	v_cndmask_b32_e64 v44, v44, 0x77, s13
	v_cndmask_b32_e64 v43, v45, v43, s13
	;; [unrolled: 1-line block ×3, first 2 shown]
	v_lshl_add_u32 v45, 0x100000, v44, -1
	v_lshrrev_b32_e32 v46, v44, v43
	v_lshlrev_b32_e64 v56, v44, 0x80000
	v_add_nc_u32_e32 v44, v44, v41
	v_and_b32_e32 v43, v45, v43
	v_bfe_u32 v47, v46, 20, 1
	v_cmp_eq_u32_e64 s14, v43, v56
	v_add_nc_u32_e32 v45, -1, v47
	v_cndmask_b32_e64 v43, 0, v45, s14
	v_lshrrev_b32_e32 v45, 23, v46
	s_mov_b32 s14, exec_lo
	v_add_nc_u32_e32 v43, v43, v46
	v_xor_b32_e32 v45, 1, v45
	v_and_b32_e32 v41, 0xfffff, v43
	v_add_nc_u32_e32 v43, v41, v46
                                        ; implicit-def: $vgpr41
	v_cmpx_ne_u32_e64 v44, v45
	s_xor_b32 s14, exec_lo, s14
; %bb.1118:                             ;   in Loop: Header=BB4_903 Depth=2
	v_cmp_lt_u32_e64 s13, 0xffffff, v43
	v_sub_nc_u32_e32 v41, v44, v45
	v_cndmask_b32_e64 v44, 0, 1, s13
	v_add_co_ci_u32_e64 v41, null, 0, v41, s13
	v_lshrrev_b32_e32 v43, v44, v43
; %bb.1119:                             ;   in Loop: Header=BB4_903 Depth=2
	s_andn2_saveexec_b32 s13, s14
; %bb.1120:                             ;   in Loop: Header=BB4_903 Depth=2
	v_bfe_u32 v41, v43, 23, 1
; %bb.1121:                             ;   in Loop: Header=BB4_903 Depth=2
	s_or_b32 exec_lo, exec_lo, s13
	v_lshrrev_b32_e32 v43, 20, v43
	v_min_i32_e32 v44, 15, v41
	v_cmp_gt_i32_e64 s13, 16, v41
	v_and_b32_sdwa v42, v42, v114 dst_sel:DWORD dst_unused:UNUSED_PAD src0_sel:BYTE_3 src1_sel:DWORD
	v_lshlrev_b32_e32 v44, 3, v44
	v_cndmask_b32_e64 v43, 7, v43, s13
	v_and_b32_e32 v44, 0xf8, v44
	v_and_b32_e32 v45, 7, v43
	v_or_b32_e32 v41, v41, v43
	v_or3_b32 v42, v44, v42, v45
	v_cmp_ne_u32_e64 s13, 0, v41
	v_cndmask_b32_e64 v41, 0, v42, s13
.LBB4_1122:                             ;   in Loop: Header=BB4_903 Depth=2
	s_or_b32 exec_lo, exec_lo, s40
.LBB4_1123:                             ;   in Loop: Header=BB4_903 Depth=2
	s_or_b32 exec_lo, exec_lo, s29
	v_cmp_gt_i16_sdwa s14, v16, v101 src0_sel:BYTE_3 src1_sel:DWORD
	s_mov_b32 s13, 0
	s_and_saveexec_b32 s29, s14
	s_xor_b32 s14, exec_lo, s29
	s_cbranch_execz .LBB4_1265
; %bb.1124:                             ;   in Loop: Header=BB4_903 Depth=2
	v_cmp_eq_u16_sdwa s40, v16, v114 src0_sel:BYTE_3 src1_sel:DWORD
	s_mov_b32 s13, -1
	s_and_saveexec_b32 s29, s40
; %bb.1125:                             ;   in Loop: Header=BB4_903 Depth=2
	s_xor_b32 s13, exec_lo, -1
; %bb.1126:                             ;   in Loop: Header=BB4_903 Depth=2
	s_or_b32 exec_lo, exec_lo, s29
	s_and_b32 s13, s13, exec_lo
	s_or_saveexec_b32 s14, s14
	v_mov_b32_e32 v42, 0x7f800001
	s_xor_b32 exec_lo, exec_lo, s14
	s_cbranch_execnz .LBB4_1266
.LBB4_1127:                             ;   in Loop: Header=BB4_903 Depth=2
	s_or_b32 exec_lo, exec_lo, s14
	s_and_saveexec_b32 s14, s13
	s_cbranch_execz .LBB4_1129
.LBB4_1128:                             ;   in Loop: Header=BB4_903 Depth=2
	v_bfe_u32 v42, v16, 24, 3
	v_bfe_u32 v45, v16, 27, 4
	v_ffbh_u32_e32 v43, v42
	v_cmp_eq_u32_e64 s13, 0, v45
	v_min_u32_e32 v43, 32, v43
	v_subrev_nc_u32_e32 v44, 28, v43
	v_sub_nc_u32_e32 v43, 29, v43
	v_lshlrev_b32_sdwa v44, v44, v16 dst_sel:DWORD dst_unused:UNUSED_PAD src0_sel:DWORD src1_sel:BYTE_3
	v_cndmask_b32_e64 v43, v45, v43, s13
	v_and_b32_e32 v16, 0x80000000, v16
	v_and_b32_e32 v44, 7, v44
	v_lshl_add_u32 v43, v43, 23, 0x3b800000
	v_cndmask_b32_e64 v42, v42, v44, s13
	v_lshlrev_b32_e32 v42, 20, v42
	v_or3_b32 v42, v16, v43, v42
.LBB4_1129:                             ;   in Loop: Header=BB4_903 Depth=2
	s_or_b32 exec_lo, exec_lo, s14
	v_cmp_gt_i16_sdwa s14, v12, v101 src0_sel:BYTE_3 src1_sel:DWORD
	s_mov_b32 s13, 0
	s_and_saveexec_b32 s29, s14
	s_xor_b32 s14, exec_lo, s29
	s_cbranch_execz .LBB4_1267
; %bb.1130:                             ;   in Loop: Header=BB4_903 Depth=2
	v_cmp_eq_u16_sdwa s40, v12, v114 src0_sel:BYTE_3 src1_sel:DWORD
	s_mov_b32 s13, -1
	s_and_saveexec_b32 s29, s40
; %bb.1131:                             ;   in Loop: Header=BB4_903 Depth=2
	s_xor_b32 s13, exec_lo, -1
; %bb.1132:                             ;   in Loop: Header=BB4_903 Depth=2
	s_or_b32 exec_lo, exec_lo, s29
	s_and_b32 s13, s13, exec_lo
	s_or_saveexec_b32 s14, s14
	v_mov_b32_e32 v16, 0x7f800001
	s_xor_b32 exec_lo, exec_lo, s14
	s_cbranch_execnz .LBB4_1268
.LBB4_1133:                             ;   in Loop: Header=BB4_903 Depth=2
	s_or_b32 exec_lo, exec_lo, s14
	s_and_saveexec_b32 s14, s13
	s_cbranch_execz .LBB4_1135
.LBB4_1134:                             ;   in Loop: Header=BB4_903 Depth=2
	v_and_b32_sdwa v16, v12, v118 dst_sel:DWORD dst_unused:UNUSED_PAD src0_sel:BYTE_3 src1_sel:DWORD
	v_bfe_u32 v45, v12, 27, 4
	v_ffbh_u32_e32 v43, v16
	v_cmp_eq_u32_e64 s13, 0, v45
	v_min_u32_e32 v43, 32, v43
	v_subrev_nc_u32_e32 v44, 28, v43
	v_sub_nc_u32_e32 v43, 29, v43
	v_lshlrev_b32_sdwa v44, v44, v12 dst_sel:DWORD dst_unused:UNUSED_PAD src0_sel:DWORD src1_sel:BYTE_3
	v_cndmask_b32_e64 v43, v45, v43, s13
	v_and_b32_e32 v12, 0x80000000, v12
	v_and_b32_e32 v44, 7, v44
	v_lshl_add_u32 v43, v43, 23, 0x3b800000
	v_cndmask_b32_e64 v16, v16, v44, s13
	v_lshlrev_b32_e32 v16, 20, v16
	v_or3_b32 v16, v12, v43, v16
.LBB4_1135:                             ;   in Loop: Header=BB4_903 Depth=2
	s_or_b32 exec_lo, exec_lo, s14
	v_add_f32_e32 v16, v42, v16
	v_and_b32_e32 v12, 0x7f800000, v16
	v_cmp_ne_u32_e64 s13, 0x7f800000, v12
	v_mov_b32_e32 v12, 0x8000
	s_and_saveexec_b32 s29, s13
	s_cbranch_execz .LBB4_1143
; %bb.1136:                             ;   in Loop: Header=BB4_903 Depth=2
	v_mov_b32_e32 v12, 0
	s_mov_b32 s40, exec_lo
	v_cmpx_ne_u32_e32 0, v16
	s_cbranch_execz .LBB4_1142
; %bb.1137:                             ;   in Loop: Header=BB4_903 Depth=2
	v_bfe_u32 v12, v16, 23, 8
	v_and_b32_e32 v42, 0x7fffff, v16
	v_sub_nc_u32_e32 v43, 0x78, v12
	v_cmp_gt_u32_e64 s13, 0x79, v12
	v_or_b32_e32 v44, 0x800000, v42
	v_cndmask_b32_e64 v43, 0, v43, s13
	v_cmp_eq_u32_e64 s13, 0, v12
	v_add_nc_u32_e32 v12, 0xffffff89, v12
	v_cndmask_b32_e64 v43, v43, 0x77, s13
	v_cndmask_b32_e64 v42, v44, v42, s13
	;; [unrolled: 1-line block ×3, first 2 shown]
	v_lshl_add_u32 v44, 0x100000, v43, -1
	v_lshrrev_b32_e32 v45, v43, v42
	v_lshlrev_b32_e64 v47, v43, 0x80000
	v_add_nc_u32_e32 v43, v43, v12
	v_and_b32_e32 v42, v44, v42
	v_bfe_u32 v46, v45, 20, 1
	v_cmp_eq_u32_e64 s14, v42, v47
	v_add_nc_u32_e32 v44, -1, v46
	v_cndmask_b32_e64 v42, 0, v44, s14
	v_lshrrev_b32_e32 v44, 23, v45
	s_mov_b32 s14, exec_lo
	v_add_nc_u32_e32 v42, v42, v45
	v_xor_b32_e32 v44, 1, v44
	v_and_b32_e32 v12, 0xfffff, v42
	v_add_nc_u32_e32 v42, v12, v45
                                        ; implicit-def: $vgpr12
	v_cmpx_ne_u32_e64 v43, v44
	s_xor_b32 s14, exec_lo, s14
; %bb.1138:                             ;   in Loop: Header=BB4_903 Depth=2
	v_cmp_lt_u32_e64 s13, 0xffffff, v42
	v_sub_nc_u32_e32 v12, v43, v44
	v_cndmask_b32_e64 v43, 0, 1, s13
	v_add_co_ci_u32_e64 v12, null, 0, v12, s13
	v_lshrrev_b32_e32 v42, v43, v42
; %bb.1139:                             ;   in Loop: Header=BB4_903 Depth=2
	s_andn2_saveexec_b32 s13, s14
; %bb.1140:                             ;   in Loop: Header=BB4_903 Depth=2
	v_bfe_u32 v12, v42, 23, 1
; %bb.1141:                             ;   in Loop: Header=BB4_903 Depth=2
	s_or_b32 exec_lo, exec_lo, s13
	v_lshrrev_b32_e32 v42, 20, v42
	v_min_i32_e32 v43, 15, v12
	v_cmp_gt_i32_e64 s13, 16, v12
	v_and_b32_sdwa v16, v16, v114 dst_sel:DWORD dst_unused:UNUSED_PAD src0_sel:BYTE_3 src1_sel:DWORD
	v_lshlrev_b32_e32 v43, 3, v43
	v_cndmask_b32_e64 v42, 7, v42, s13
	v_and_b32_e32 v43, 0xf8, v43
	v_and_b32_e32 v44, 7, v42
	v_or_b32_e32 v12, v12, v42
	v_or3_b32 v16, v16, v43, v44
	v_cmp_ne_u32_e64 s13, 0, v12
	v_lshlrev_b32_e32 v16, 8, v16
	v_cndmask_b32_e64 v12, 0, v16, s13
.LBB4_1142:                             ;   in Loop: Header=BB4_903 Depth=2
	s_or_b32 exec_lo, exec_lo, s40
.LBB4_1143:                             ;   in Loop: Header=BB4_903 Depth=2
	s_or_b32 exec_lo, exec_lo, s29
	v_cmp_gt_i16_sdwa s14, v17, v101 src0_sel:BYTE_0 src1_sel:DWORD
	s_mov_b32 s13, 0
	s_and_saveexec_b32 s29, s14
	s_xor_b32 s14, exec_lo, s29
	s_cbranch_execz .LBB4_1269
; %bb.1144:                             ;   in Loop: Header=BB4_903 Depth=2
	v_cmp_eq_u16_sdwa s40, v17, v114 src0_sel:BYTE_0 src1_sel:DWORD
	s_mov_b32 s13, -1
	s_and_saveexec_b32 s29, s40
; %bb.1145:                             ;   in Loop: Header=BB4_903 Depth=2
	s_xor_b32 s13, exec_lo, -1
; %bb.1146:                             ;   in Loop: Header=BB4_903 Depth=2
	s_or_b32 exec_lo, exec_lo, s29
	s_and_b32 s13, s13, exec_lo
	s_or_saveexec_b32 s14, s14
	v_mov_b32_e32 v16, 0x7f800001
	s_xor_b32 exec_lo, exec_lo, s14
	s_cbranch_execnz .LBB4_1270
.LBB4_1147:                             ;   in Loop: Header=BB4_903 Depth=2
	s_or_b32 exec_lo, exec_lo, s14
	s_and_saveexec_b32 s14, s13
	s_cbranch_execz .LBB4_1149
.LBB4_1148:                             ;   in Loop: Header=BB4_903 Depth=2
	v_and_b32_e32 v16, 7, v17
	v_bfe_u32 v44, v17, 3, 4
	v_lshlrev_b32_e32 v45, 24, v17
	v_ffbh_u32_e32 v42, v16
	v_cmp_eq_u32_e64 s13, 0, v44
	v_min_u32_e32 v42, 32, v42
	v_subrev_nc_u32_e32 v43, 28, v42
	v_sub_nc_u32_e32 v42, 29, v42
	v_lshlrev_b32_e32 v43, v43, v17
	v_cndmask_b32_e64 v42, v44, v42, s13
	v_and_b32_e32 v43, 7, v43
	v_lshl_add_u32 v42, v42, 23, 0x3b800000
	v_cndmask_b32_e64 v16, v16, v43, s13
	v_and_b32_e32 v43, 0x80000000, v45
	v_lshlrev_b32_e32 v16, 20, v16
	v_or3_b32 v16, v43, v42, v16
.LBB4_1149:                             ;   in Loop: Header=BB4_903 Depth=2
	s_or_b32 exec_lo, exec_lo, s14
	v_cmp_gt_i16_sdwa s14, v13, v101 src0_sel:BYTE_0 src1_sel:DWORD
	s_mov_b32 s13, 0
	s_and_saveexec_b32 s29, s14
	s_xor_b32 s14, exec_lo, s29
	s_cbranch_execz .LBB4_1271
; %bb.1150:                             ;   in Loop: Header=BB4_903 Depth=2
	v_cmp_eq_u16_sdwa s40, v13, v114 src0_sel:BYTE_0 src1_sel:DWORD
	s_mov_b32 s13, -1
	s_and_saveexec_b32 s29, s40
; %bb.1151:                             ;   in Loop: Header=BB4_903 Depth=2
	s_xor_b32 s13, exec_lo, -1
; %bb.1152:                             ;   in Loop: Header=BB4_903 Depth=2
	s_or_b32 exec_lo, exec_lo, s29
	s_and_b32 s13, s13, exec_lo
	s_or_saveexec_b32 s14, s14
	v_mov_b32_e32 v42, 0x7f800001
	s_xor_b32 exec_lo, exec_lo, s14
	s_cbranch_execnz .LBB4_1272
.LBB4_1153:                             ;   in Loop: Header=BB4_903 Depth=2
	s_or_b32 exec_lo, exec_lo, s14
	s_and_saveexec_b32 s14, s13
	s_cbranch_execz .LBB4_1155
.LBB4_1154:                             ;   in Loop: Header=BB4_903 Depth=2
	v_and_b32_e32 v42, 7, v13
	v_bfe_u32 v45, v13, 3, 4
	v_lshlrev_b32_e32 v46, 24, v13
	v_ffbh_u32_e32 v43, v42
	v_cmp_eq_u32_e64 s13, 0, v45
	v_min_u32_e32 v43, 32, v43
	v_subrev_nc_u32_e32 v44, 28, v43
	v_sub_nc_u32_e32 v43, 29, v43
	v_lshlrev_b32_e32 v44, v44, v13
	v_cndmask_b32_e64 v43, v45, v43, s13
	v_and_b32_e32 v44, 7, v44
	v_lshl_add_u32 v43, v43, 23, 0x3b800000
	v_cndmask_b32_e64 v42, v42, v44, s13
	v_and_b32_e32 v44, 0x80000000, v46
	v_lshlrev_b32_e32 v42, 20, v42
	v_or3_b32 v42, v44, v43, v42
.LBB4_1155:                             ;   in Loop: Header=BB4_903 Depth=2
	s_or_b32 exec_lo, exec_lo, s14
	v_add_f32_e32 v42, v16, v42
	v_and_b32_e32 v16, 0x7f800000, v42
	v_cmp_ne_u32_e64 s13, 0x7f800000, v16
	v_mov_b32_e32 v16, 0x80
	s_and_saveexec_b32 s29, s13
	s_cbranch_execz .LBB4_1163
; %bb.1156:                             ;   in Loop: Header=BB4_903 Depth=2
	v_mov_b32_e32 v16, 0
	s_mov_b32 s40, exec_lo
	v_cmpx_ne_u32_e32 0, v42
	s_cbranch_execz .LBB4_1162
; %bb.1157:                             ;   in Loop: Header=BB4_903 Depth=2
	v_bfe_u32 v16, v42, 23, 8
	v_and_b32_e32 v43, 0x7fffff, v42
	v_sub_nc_u32_e32 v44, 0x78, v16
	v_cmp_gt_u32_e64 s13, 0x79, v16
	v_or_b32_e32 v45, 0x800000, v43
	v_cndmask_b32_e64 v44, 0, v44, s13
	v_cmp_eq_u32_e64 s13, 0, v16
	v_add_nc_u32_e32 v16, 0xffffff89, v16
	v_cndmask_b32_e64 v44, v44, 0x77, s13
	v_cndmask_b32_e64 v43, v45, v43, s13
	;; [unrolled: 1-line block ×3, first 2 shown]
	v_lshl_add_u32 v45, 0x100000, v44, -1
	v_lshrrev_b32_e32 v46, v44, v43
	v_lshlrev_b32_e64 v56, v44, 0x80000
	v_add_nc_u32_e32 v44, v44, v16
	v_and_b32_e32 v43, v45, v43
	v_bfe_u32 v47, v46, 20, 1
	v_cmp_eq_u32_e64 s14, v43, v56
	v_add_nc_u32_e32 v45, -1, v47
	v_cndmask_b32_e64 v43, 0, v45, s14
	v_lshrrev_b32_e32 v45, 23, v46
	s_mov_b32 s14, exec_lo
	v_add_nc_u32_e32 v43, v43, v46
	v_xor_b32_e32 v45, 1, v45
	v_and_b32_e32 v16, 0xfffff, v43
	v_add_nc_u32_e32 v43, v16, v46
                                        ; implicit-def: $vgpr16
	v_cmpx_ne_u32_e64 v44, v45
	s_xor_b32 s14, exec_lo, s14
; %bb.1158:                             ;   in Loop: Header=BB4_903 Depth=2
	v_cmp_lt_u32_e64 s13, 0xffffff, v43
	v_sub_nc_u32_e32 v16, v44, v45
	v_cndmask_b32_e64 v44, 0, 1, s13
	v_add_co_ci_u32_e64 v16, null, 0, v16, s13
	v_lshrrev_b32_e32 v43, v44, v43
; %bb.1159:                             ;   in Loop: Header=BB4_903 Depth=2
	s_andn2_saveexec_b32 s13, s14
; %bb.1160:                             ;   in Loop: Header=BB4_903 Depth=2
	v_bfe_u32 v16, v43, 23, 1
; %bb.1161:                             ;   in Loop: Header=BB4_903 Depth=2
	s_or_b32 exec_lo, exec_lo, s13
	v_lshrrev_b32_e32 v43, 20, v43
	v_min_i32_e32 v44, 15, v16
	v_cmp_gt_i32_e64 s13, 16, v16
	v_and_b32_sdwa v42, v42, v114 dst_sel:DWORD dst_unused:UNUSED_PAD src0_sel:BYTE_3 src1_sel:DWORD
	v_lshlrev_b32_e32 v44, 3, v44
	v_cndmask_b32_e64 v43, 7, v43, s13
	v_and_b32_e32 v44, 0xf8, v44
	v_and_b32_e32 v45, 7, v43
	v_or_b32_e32 v16, v16, v43
	v_or3_b32 v42, v44, v42, v45
	v_cmp_ne_u32_e64 s13, 0, v16
	v_cndmask_b32_e64 v16, 0, v42, s13
.LBB4_1162:                             ;   in Loop: Header=BB4_903 Depth=2
	s_or_b32 exec_lo, exec_lo, s40
.LBB4_1163:                             ;   in Loop: Header=BB4_903 Depth=2
	s_or_b32 exec_lo, exec_lo, s29
	v_cmp_gt_i16_sdwa s14, v17, v101 src0_sel:BYTE_1 src1_sel:DWORD
	s_mov_b32 s13, 0
	s_and_saveexec_b32 s29, s14
	s_xor_b32 s14, exec_lo, s29
	s_cbranch_execz .LBB4_1273
; %bb.1164:                             ;   in Loop: Header=BB4_903 Depth=2
	v_cmp_eq_u16_sdwa s40, v17, v114 src0_sel:BYTE_1 src1_sel:DWORD
	s_mov_b32 s13, -1
	s_and_saveexec_b32 s29, s40
; %bb.1165:                             ;   in Loop: Header=BB4_903 Depth=2
	s_xor_b32 s13, exec_lo, -1
; %bb.1166:                             ;   in Loop: Header=BB4_903 Depth=2
	s_or_b32 exec_lo, exec_lo, s29
	s_and_b32 s13, s13, exec_lo
	s_or_saveexec_b32 s14, s14
	v_mov_b32_e32 v42, 0x7f800001
	s_xor_b32 exec_lo, exec_lo, s14
	s_cbranch_execnz .LBB4_1274
.LBB4_1167:                             ;   in Loop: Header=BB4_903 Depth=2
	s_or_b32 exec_lo, exec_lo, s14
	s_and_saveexec_b32 s14, s13
	s_cbranch_execz .LBB4_1169
.LBB4_1168:                             ;   in Loop: Header=BB4_903 Depth=2
	v_and_b32_sdwa v42, v115, v17 dst_sel:DWORD dst_unused:UNUSED_PAD src0_sel:DWORD src1_sel:BYTE_1
	v_and_b32_e32 v43, 7, v42
	v_bfe_u32 v46, v42, 3, 4
	v_ffbh_u32_e32 v44, v43
	v_cmp_eq_u32_e64 s13, 0, v46
	v_min_u32_e32 v44, 32, v44
	v_subrev_nc_u32_e32 v45, 28, v44
	v_sub_nc_u32_e32 v44, 29, v44
	v_lshlrev_b32_e32 v42, v45, v42
	v_lshlrev_b32_sdwa v45, v116, v17 dst_sel:DWORD dst_unused:UNUSED_PAD src0_sel:DWORD src1_sel:BYTE_1
	v_cndmask_b32_e64 v44, v46, v44, s13
	v_and_b32_e32 v42, 7, v42
	v_lshl_add_u32 v44, v44, 23, 0x3b800000
	v_cndmask_b32_e64 v42, v43, v42, s13
	v_and_b32_e32 v43, 0x80000000, v45
	v_lshlrev_b32_e32 v42, 20, v42
	v_or3_b32 v42, v43, v44, v42
.LBB4_1169:                             ;   in Loop: Header=BB4_903 Depth=2
	s_or_b32 exec_lo, exec_lo, s14
	v_cmp_gt_i16_sdwa s14, v13, v101 src0_sel:BYTE_1 src1_sel:DWORD
	s_mov_b32 s13, 0
	s_and_saveexec_b32 s29, s14
	s_xor_b32 s14, exec_lo, s29
	s_cbranch_execz .LBB4_1275
; %bb.1170:                             ;   in Loop: Header=BB4_903 Depth=2
	v_cmp_eq_u16_sdwa s40, v13, v114 src0_sel:BYTE_1 src1_sel:DWORD
	s_mov_b32 s13, -1
	s_and_saveexec_b32 s29, s40
; %bb.1171:                             ;   in Loop: Header=BB4_903 Depth=2
	s_xor_b32 s13, exec_lo, -1
; %bb.1172:                             ;   in Loop: Header=BB4_903 Depth=2
	s_or_b32 exec_lo, exec_lo, s29
	s_and_b32 s13, s13, exec_lo
	s_or_saveexec_b32 s14, s14
	v_mov_b32_e32 v43, 0x7f800001
	s_xor_b32 exec_lo, exec_lo, s14
	s_cbranch_execnz .LBB4_1276
.LBB4_1173:                             ;   in Loop: Header=BB4_903 Depth=2
	s_or_b32 exec_lo, exec_lo, s14
	s_and_saveexec_b32 s14, s13
	s_cbranch_execz .LBB4_1175
.LBB4_1174:                             ;   in Loop: Header=BB4_903 Depth=2
	v_and_b32_sdwa v43, v115, v13 dst_sel:DWORD dst_unused:UNUSED_PAD src0_sel:DWORD src1_sel:BYTE_1
	v_and_b32_e32 v44, 7, v43
	v_bfe_u32 v47, v43, 3, 4
	v_ffbh_u32_e32 v45, v44
	v_cmp_eq_u32_e64 s13, 0, v47
	v_min_u32_e32 v45, 32, v45
	v_subrev_nc_u32_e32 v46, 28, v45
	v_sub_nc_u32_e32 v45, 29, v45
	v_lshlrev_b32_e32 v43, v46, v43
	v_lshlrev_b32_sdwa v46, v116, v13 dst_sel:DWORD dst_unused:UNUSED_PAD src0_sel:DWORD src1_sel:BYTE_1
	v_cndmask_b32_e64 v45, v47, v45, s13
	v_and_b32_e32 v43, 7, v43
	v_lshl_add_u32 v45, v45, 23, 0x3b800000
	v_cndmask_b32_e64 v43, v44, v43, s13
	v_and_b32_e32 v44, 0x80000000, v46
	v_lshlrev_b32_e32 v43, 20, v43
	v_or3_b32 v43, v44, v45, v43
.LBB4_1175:                             ;   in Loop: Header=BB4_903 Depth=2
	s_or_b32 exec_lo, exec_lo, s14
	v_add_f32_e32 v43, v42, v43
	v_and_b32_e32 v42, 0x7f800000, v43
	v_cmp_ne_u32_e64 s13, 0x7f800000, v42
	v_mov_b32_e32 v42, 0x8000
	s_and_saveexec_b32 s29, s13
	s_cbranch_execz .LBB4_1183
; %bb.1176:                             ;   in Loop: Header=BB4_903 Depth=2
	v_mov_b32_e32 v42, 0
	s_mov_b32 s40, exec_lo
	v_cmpx_ne_u32_e32 0, v43
	s_cbranch_execz .LBB4_1182
; %bb.1177:                             ;   in Loop: Header=BB4_903 Depth=2
	v_bfe_u32 v42, v43, 23, 8
	v_and_b32_e32 v44, 0x7fffff, v43
	v_sub_nc_u32_e32 v45, 0x78, v42
	v_cmp_gt_u32_e64 s13, 0x79, v42
	v_or_b32_e32 v46, 0x800000, v44
	v_cndmask_b32_e64 v45, 0, v45, s13
	v_cmp_eq_u32_e64 s13, 0, v42
	v_add_nc_u32_e32 v42, 0xffffff89, v42
	v_cndmask_b32_e64 v45, v45, 0x77, s13
	v_cndmask_b32_e64 v44, v46, v44, s13
	v_cndmask_b32_e64 v42, v42, 0xffffff8a, s13
	v_lshl_add_u32 v46, 0x100000, v45, -1
	v_lshrrev_b32_e32 v47, v45, v44
	v_lshlrev_b32_e64 v57, v45, 0x80000
	v_add_nc_u32_e32 v45, v45, v42
	v_and_b32_e32 v44, v46, v44
	v_bfe_u32 v56, v47, 20, 1
	v_cmp_eq_u32_e64 s14, v44, v57
	v_add_nc_u32_e32 v46, -1, v56
	v_cndmask_b32_e64 v44, 0, v46, s14
	v_lshrrev_b32_e32 v46, 23, v47
	s_mov_b32 s14, exec_lo
	v_add_nc_u32_e32 v44, v44, v47
	v_xor_b32_e32 v46, 1, v46
	v_and_b32_e32 v42, 0xfffff, v44
	v_add_nc_u32_e32 v44, v42, v47
                                        ; implicit-def: $vgpr42
	v_cmpx_ne_u32_e64 v45, v46
	s_xor_b32 s14, exec_lo, s14
; %bb.1178:                             ;   in Loop: Header=BB4_903 Depth=2
	v_cmp_lt_u32_e64 s13, 0xffffff, v44
	v_sub_nc_u32_e32 v42, v45, v46
	v_cndmask_b32_e64 v45, 0, 1, s13
	v_add_co_ci_u32_e64 v42, null, 0, v42, s13
	v_lshrrev_b32_e32 v44, v45, v44
; %bb.1179:                             ;   in Loop: Header=BB4_903 Depth=2
	s_andn2_saveexec_b32 s13, s14
; %bb.1180:                             ;   in Loop: Header=BB4_903 Depth=2
	v_bfe_u32 v42, v44, 23, 1
; %bb.1181:                             ;   in Loop: Header=BB4_903 Depth=2
	s_or_b32 exec_lo, exec_lo, s13
	v_lshrrev_b32_e32 v44, 20, v44
	v_min_i32_e32 v45, 15, v42
	v_cmp_gt_i32_e64 s13, 16, v42
	v_and_b32_sdwa v43, v43, v114 dst_sel:DWORD dst_unused:UNUSED_PAD src0_sel:BYTE_3 src1_sel:DWORD
	v_lshlrev_b32_e32 v45, 3, v45
	v_cndmask_b32_e64 v44, 7, v44, s13
	v_and_b32_e32 v45, 0xf8, v45
	v_and_b32_e32 v46, 7, v44
	v_or_b32_e32 v42, v42, v44
	v_or3_b32 v43, v43, v45, v46
	v_cmp_ne_u32_e64 s13, 0, v42
	v_lshlrev_b32_e32 v43, 8, v43
	v_cndmask_b32_e64 v42, 0, v43, s13
.LBB4_1182:                             ;   in Loop: Header=BB4_903 Depth=2
	s_or_b32 exec_lo, exec_lo, s40
.LBB4_1183:                             ;   in Loop: Header=BB4_903 Depth=2
	s_or_b32 exec_lo, exec_lo, s29
	v_and_b32_sdwa v44, v17, v117 dst_sel:DWORD dst_unused:UNUSED_PAD src0_sel:WORD_1 src1_sel:DWORD
	s_mov_b32 s14, 0
	s_mov_b32 s29, exec_lo
	v_cmpx_lt_i16_e32 0x7f, v44
	s_xor_b32 s29, exec_lo, s29
	s_cbranch_execz .LBB4_1277
; %bb.1184:                             ;   in Loop: Header=BB4_903 Depth=2
	s_mov_b32 s14, -1
	s_mov_b32 s40, exec_lo
	v_cmpx_eq_u16_e32 0x80, v44
; %bb.1185:                             ;   in Loop: Header=BB4_903 Depth=2
	s_xor_b32 s14, exec_lo, -1
; %bb.1186:                             ;   in Loop: Header=BB4_903 Depth=2
	s_or_b32 exec_lo, exec_lo, s40
	s_and_b32 s14, s14, exec_lo
                                        ; implicit-def: $vgpr44
	s_or_saveexec_b32 s29, s29
	v_mov_b32_e32 v43, 0x7f800001
	s_xor_b32 exec_lo, exec_lo, s29
	s_cbranch_execnz .LBB4_1278
.LBB4_1187:                             ;   in Loop: Header=BB4_903 Depth=2
	s_or_b32 exec_lo, exec_lo, s29
	s_and_saveexec_b32 s29, s14
	s_cbranch_execz .LBB4_1189
.LBB4_1188:                             ;   in Loop: Header=BB4_903 Depth=2
	v_bfe_u32 v43, v17, 16, 3
	v_bfe_u32 v46, v17, 19, 4
	v_lshlrev_b32_e32 v47, 8, v17
	v_ffbh_u32_e32 v44, v43
	v_cmp_eq_u32_e64 s13, 0, v46
	v_min_u32_e32 v44, 32, v44
	v_subrev_nc_u32_e32 v45, 28, v44
	v_sub_nc_u32_e32 v44, 29, v44
	v_lshlrev_b32_sdwa v45, v45, v17 dst_sel:DWORD dst_unused:UNUSED_PAD src0_sel:DWORD src1_sel:WORD_1
	v_cndmask_b32_e64 v44, v46, v44, s13
	v_and_b32_e32 v45, 7, v45
	v_lshl_add_u32 v44, v44, 23, 0x3b800000
	v_cndmask_b32_e64 v43, v43, v45, s13
	v_and_b32_e32 v45, 0x80000000, v47
	v_lshlrev_b32_e32 v43, 20, v43
	v_or3_b32 v43, v45, v44, v43
.LBB4_1189:                             ;   in Loop: Header=BB4_903 Depth=2
	s_or_b32 exec_lo, exec_lo, s29
	v_and_b32_sdwa v45, v13, v117 dst_sel:DWORD dst_unused:UNUSED_PAD src0_sel:WORD_1 src1_sel:DWORD
	s_mov_b32 s14, 0
	s_mov_b32 s29, exec_lo
	v_cmpx_lt_i16_e32 0x7f, v45
	s_xor_b32 s29, exec_lo, s29
	s_cbranch_execz .LBB4_1279
; %bb.1190:                             ;   in Loop: Header=BB4_903 Depth=2
	s_mov_b32 s14, -1
	s_mov_b32 s40, exec_lo
	v_cmpx_eq_u16_e32 0x80, v45
; %bb.1191:                             ;   in Loop: Header=BB4_903 Depth=2
	s_xor_b32 s14, exec_lo, -1
; %bb.1192:                             ;   in Loop: Header=BB4_903 Depth=2
	s_or_b32 exec_lo, exec_lo, s40
	s_and_b32 s14, s14, exec_lo
                                        ; implicit-def: $vgpr45
	s_or_saveexec_b32 s29, s29
	v_mov_b32_e32 v44, 0x7f800001
	s_xor_b32 exec_lo, exec_lo, s29
	s_cbranch_execnz .LBB4_1280
.LBB4_1193:                             ;   in Loop: Header=BB4_903 Depth=2
	s_or_b32 exec_lo, exec_lo, s29
	s_and_saveexec_b32 s29, s14
	s_cbranch_execz .LBB4_1195
.LBB4_1194:                             ;   in Loop: Header=BB4_903 Depth=2
	v_and_b32_sdwa v44, v13, v118 dst_sel:DWORD dst_unused:UNUSED_PAD src0_sel:WORD_1 src1_sel:DWORD
	v_bfe_u32 v47, v13, 19, 4
	v_lshlrev_b32_sdwa v56, v116, v13 dst_sel:DWORD dst_unused:UNUSED_PAD src0_sel:DWORD src1_sel:WORD_1
	v_ffbh_u32_e32 v45, v44
	v_cmp_eq_u32_e64 s13, 0, v47
	v_min_u32_e32 v45, 32, v45
	v_subrev_nc_u32_e32 v46, 28, v45
	v_sub_nc_u32_e32 v45, 29, v45
	v_lshlrev_b32_sdwa v46, v46, v13 dst_sel:DWORD dst_unused:UNUSED_PAD src0_sel:DWORD src1_sel:WORD_1
	v_cndmask_b32_e64 v45, v47, v45, s13
	v_and_b32_e32 v46, 7, v46
	v_lshl_add_u32 v45, v45, 23, 0x3b800000
	v_cndmask_b32_e64 v44, v44, v46, s13
	v_and_b32_e32 v46, 0x80000000, v56
	v_lshlrev_b32_e32 v44, 20, v44
	v_or3_b32 v44, v46, v45, v44
.LBB4_1195:                             ;   in Loop: Header=BB4_903 Depth=2
	s_or_b32 exec_lo, exec_lo, s29
	v_add_f32_e32 v44, v43, v44
	v_and_b32_e32 v43, 0x7f800000, v44
	v_cmp_ne_u32_e64 s13, 0x7f800000, v43
	v_mov_b32_e32 v43, 0x80
	s_and_saveexec_b32 s29, s13
	s_cbranch_execz .LBB4_1203
; %bb.1196:                             ;   in Loop: Header=BB4_903 Depth=2
	v_mov_b32_e32 v43, 0
	s_mov_b32 s40, exec_lo
	v_cmpx_ne_u32_e32 0, v44
	s_cbranch_execz .LBB4_1202
; %bb.1197:                             ;   in Loop: Header=BB4_903 Depth=2
	v_bfe_u32 v43, v44, 23, 8
	v_and_b32_e32 v45, 0x7fffff, v44
	v_sub_nc_u32_e32 v46, 0x78, v43
	v_cmp_gt_u32_e64 s13, 0x79, v43
	v_or_b32_e32 v47, 0x800000, v45
	v_cndmask_b32_e64 v46, 0, v46, s13
	v_cmp_eq_u32_e64 s13, 0, v43
	v_add_nc_u32_e32 v43, 0xffffff89, v43
	v_cndmask_b32_e64 v46, v46, 0x77, s13
	v_cndmask_b32_e64 v45, v47, v45, s13
	;; [unrolled: 1-line block ×3, first 2 shown]
	v_lshl_add_u32 v47, 0x100000, v46, -1
	v_lshrrev_b32_e32 v56, v46, v45
	v_lshlrev_b32_e64 v58, v46, 0x80000
	v_add_nc_u32_e32 v46, v46, v43
	v_and_b32_e32 v45, v47, v45
	v_bfe_u32 v57, v56, 20, 1
	v_cmp_eq_u32_e64 s14, v45, v58
	v_add_nc_u32_e32 v47, -1, v57
	v_cndmask_b32_e64 v45, 0, v47, s14
	v_lshrrev_b32_e32 v47, 23, v56
	s_mov_b32 s14, exec_lo
	v_add_nc_u32_e32 v45, v45, v56
	v_xor_b32_e32 v47, 1, v47
	v_and_b32_e32 v43, 0xfffff, v45
	v_add_nc_u32_e32 v45, v43, v56
                                        ; implicit-def: $vgpr43
	v_cmpx_ne_u32_e64 v46, v47
	s_xor_b32 s14, exec_lo, s14
; %bb.1198:                             ;   in Loop: Header=BB4_903 Depth=2
	v_cmp_lt_u32_e64 s13, 0xffffff, v45
	v_sub_nc_u32_e32 v43, v46, v47
	v_cndmask_b32_e64 v46, 0, 1, s13
	v_add_co_ci_u32_e64 v43, null, 0, v43, s13
	v_lshrrev_b32_e32 v45, v46, v45
; %bb.1199:                             ;   in Loop: Header=BB4_903 Depth=2
	s_andn2_saveexec_b32 s13, s14
; %bb.1200:                             ;   in Loop: Header=BB4_903 Depth=2
	v_bfe_u32 v43, v45, 23, 1
; %bb.1201:                             ;   in Loop: Header=BB4_903 Depth=2
	s_or_b32 exec_lo, exec_lo, s13
	v_lshrrev_b32_e32 v45, 20, v45
	v_min_i32_e32 v46, 15, v43
	v_cmp_gt_i32_e64 s13, 16, v43
	v_and_b32_sdwa v44, v44, v114 dst_sel:DWORD dst_unused:UNUSED_PAD src0_sel:BYTE_3 src1_sel:DWORD
	v_lshlrev_b32_e32 v46, 3, v46
	v_cndmask_b32_e64 v45, 7, v45, s13
	v_and_b32_e32 v46, 0xf8, v46
	v_and_b32_e32 v47, 7, v45
	v_or_b32_e32 v43, v43, v45
	v_or3_b32 v44, v46, v44, v47
	v_cmp_ne_u32_e64 s13, 0, v43
	v_cndmask_b32_e64 v43, 0, v44, s13
.LBB4_1202:                             ;   in Loop: Header=BB4_903 Depth=2
	s_or_b32 exec_lo, exec_lo, s40
.LBB4_1203:                             ;   in Loop: Header=BB4_903 Depth=2
	s_or_b32 exec_lo, exec_lo, s29
	v_cmp_gt_i16_sdwa s14, v17, v101 src0_sel:BYTE_3 src1_sel:DWORD
	s_mov_b32 s13, 0
	s_and_saveexec_b32 s29, s14
	s_xor_b32 s14, exec_lo, s29
	s_cbranch_execz .LBB4_1281
; %bb.1204:                             ;   in Loop: Header=BB4_903 Depth=2
	v_cmp_eq_u16_sdwa s40, v17, v114 src0_sel:BYTE_3 src1_sel:DWORD
	s_mov_b32 s13, -1
	s_and_saveexec_b32 s29, s40
; %bb.1205:                             ;   in Loop: Header=BB4_903 Depth=2
	s_xor_b32 s13, exec_lo, -1
; %bb.1206:                             ;   in Loop: Header=BB4_903 Depth=2
	s_or_b32 exec_lo, exec_lo, s29
	s_and_b32 s13, s13, exec_lo
	s_or_saveexec_b32 s14, s14
	v_mov_b32_e32 v44, 0x7f800001
	s_xor_b32 exec_lo, exec_lo, s14
	s_cbranch_execnz .LBB4_1282
.LBB4_1207:                             ;   in Loop: Header=BB4_903 Depth=2
	s_or_b32 exec_lo, exec_lo, s14
	s_and_saveexec_b32 s14, s13
	s_cbranch_execz .LBB4_1209
.LBB4_1208:                             ;   in Loop: Header=BB4_903 Depth=2
	v_bfe_u32 v44, v17, 24, 3
	v_bfe_u32 v47, v17, 27, 4
	v_ffbh_u32_e32 v45, v44
	v_cmp_eq_u32_e64 s13, 0, v47
	v_min_u32_e32 v45, 32, v45
	v_subrev_nc_u32_e32 v46, 28, v45
	v_sub_nc_u32_e32 v45, 29, v45
	v_lshlrev_b32_sdwa v46, v46, v17 dst_sel:DWORD dst_unused:UNUSED_PAD src0_sel:DWORD src1_sel:BYTE_3
	v_cndmask_b32_e64 v45, v47, v45, s13
	v_and_b32_e32 v17, 0x80000000, v17
	v_and_b32_e32 v46, 7, v46
	v_lshl_add_u32 v45, v45, 23, 0x3b800000
	v_cndmask_b32_e64 v44, v44, v46, s13
	v_lshlrev_b32_e32 v44, 20, v44
	v_or3_b32 v44, v17, v45, v44
.LBB4_1209:                             ;   in Loop: Header=BB4_903 Depth=2
	s_or_b32 exec_lo, exec_lo, s14
	v_cmp_gt_i16_sdwa s14, v13, v101 src0_sel:BYTE_3 src1_sel:DWORD
	s_mov_b32 s13, 0
	s_and_saveexec_b32 s29, s14
	s_xor_b32 s14, exec_lo, s29
	s_cbranch_execz .LBB4_1283
; %bb.1210:                             ;   in Loop: Header=BB4_903 Depth=2
	v_cmp_eq_u16_sdwa s40, v13, v114 src0_sel:BYTE_3 src1_sel:DWORD
	s_mov_b32 s13, -1
	s_and_saveexec_b32 s29, s40
; %bb.1211:                             ;   in Loop: Header=BB4_903 Depth=2
	s_xor_b32 s13, exec_lo, -1
; %bb.1212:                             ;   in Loop: Header=BB4_903 Depth=2
	s_or_b32 exec_lo, exec_lo, s29
	s_and_b32 s13, s13, exec_lo
	s_or_saveexec_b32 s14, s14
	v_mov_b32_e32 v17, 0x7f800001
	s_xor_b32 exec_lo, exec_lo, s14
	s_cbranch_execnz .LBB4_1284
.LBB4_1213:                             ;   in Loop: Header=BB4_903 Depth=2
	s_or_b32 exec_lo, exec_lo, s14
	s_and_saveexec_b32 s14, s13
	s_cbranch_execz .LBB4_1215
.LBB4_1214:                             ;   in Loop: Header=BB4_903 Depth=2
	v_and_b32_sdwa v17, v13, v118 dst_sel:DWORD dst_unused:UNUSED_PAD src0_sel:BYTE_3 src1_sel:DWORD
	v_bfe_u32 v47, v13, 27, 4
	v_ffbh_u32_e32 v45, v17
	v_cmp_eq_u32_e64 s13, 0, v47
	v_min_u32_e32 v45, 32, v45
	v_subrev_nc_u32_e32 v46, 28, v45
	v_sub_nc_u32_e32 v45, 29, v45
	v_lshlrev_b32_sdwa v46, v46, v13 dst_sel:DWORD dst_unused:UNUSED_PAD src0_sel:DWORD src1_sel:BYTE_3
	v_cndmask_b32_e64 v45, v47, v45, s13
	v_and_b32_e32 v13, 0x80000000, v13
	v_and_b32_e32 v46, 7, v46
	v_lshl_add_u32 v45, v45, 23, 0x3b800000
	v_cndmask_b32_e64 v17, v17, v46, s13
	v_lshlrev_b32_e32 v17, 20, v17
	v_or3_b32 v17, v13, v45, v17
.LBB4_1215:                             ;   in Loop: Header=BB4_903 Depth=2
	s_or_b32 exec_lo, exec_lo, s14
	v_add_f32_e32 v13, v44, v17
	v_and_b32_e32 v17, 0x7f800000, v13
	v_cmp_ne_u32_e64 s13, 0x7f800000, v17
	v_mov_b32_e32 v17, 0x8000
	s_and_saveexec_b32 s29, s13
	s_cbranch_execz .LBB4_902
; %bb.1216:                             ;   in Loop: Header=BB4_903 Depth=2
	v_mov_b32_e32 v17, 0
	s_mov_b32 s40, exec_lo
	v_cmpx_ne_u32_e32 0, v13
	s_cbranch_execz .LBB4_901
; %bb.1217:                             ;   in Loop: Header=BB4_903 Depth=2
	v_bfe_u32 v17, v13, 23, 8
	v_and_b32_e32 v44, 0x7fffff, v13
	v_sub_nc_u32_e32 v45, 0x78, v17
	v_cmp_gt_u32_e64 s13, 0x79, v17
	v_or_b32_e32 v46, 0x800000, v44
	v_cndmask_b32_e64 v45, 0, v45, s13
	v_cmp_eq_u32_e64 s13, 0, v17
	v_add_nc_u32_e32 v17, 0xffffff89, v17
	v_cndmask_b32_e64 v45, v45, 0x77, s13
	v_cndmask_b32_e64 v44, v46, v44, s13
	;; [unrolled: 1-line block ×3, first 2 shown]
	v_lshl_add_u32 v46, 0x100000, v45, -1
	v_lshrrev_b32_e32 v47, v45, v44
	v_lshlrev_b32_e64 v57, v45, 0x80000
	v_add_nc_u32_e32 v45, v45, v17
	v_and_b32_e32 v44, v46, v44
	v_bfe_u32 v56, v47, 20, 1
	v_cmp_eq_u32_e64 s14, v44, v57
	v_add_nc_u32_e32 v46, -1, v56
	v_cndmask_b32_e64 v44, 0, v46, s14
	v_lshrrev_b32_e32 v46, 23, v47
	s_mov_b32 s14, exec_lo
	v_add_nc_u32_e32 v44, v44, v47
	v_xor_b32_e32 v46, 1, v46
	v_and_b32_e32 v17, 0xfffff, v44
	v_add_nc_u32_e32 v44, v17, v47
                                        ; implicit-def: $vgpr17
	v_cmpx_ne_u32_e64 v45, v46
	s_xor_b32 s14, exec_lo, s14
; %bb.1218:                             ;   in Loop: Header=BB4_903 Depth=2
	v_cmp_lt_u32_e64 s13, 0xffffff, v44
	v_sub_nc_u32_e32 v17, v45, v46
	v_cndmask_b32_e64 v45, 0, 1, s13
	v_add_co_ci_u32_e64 v17, null, 0, v17, s13
	v_lshrrev_b32_e32 v44, v45, v44
; %bb.1219:                             ;   in Loop: Header=BB4_903 Depth=2
	s_andn2_saveexec_b32 s13, s14
	s_cbranch_execz .LBB4_900
; %bb.1220:                             ;   in Loop: Header=BB4_903 Depth=2
	v_bfe_u32 v17, v44, 23, 1
	s_branch .LBB4_900
.LBB4_1221:                             ;   in Loop: Header=BB4_903 Depth=2
	s_or_saveexec_b32 s14, s14
	v_mov_b32_e32 v80, 0x7f800001
	s_xor_b32 exec_lo, exec_lo, s14
	s_cbranch_execz .LBB4_907
.LBB4_1222:                             ;   in Loop: Header=BB4_903 Depth=2
	v_cmp_ne_u16_sdwa s29, v14, v52 src0_sel:BYTE_0 src1_sel:DWORD
	v_mov_b32_e32 v80, 0
	s_andn2_b32 s13, s13, exec_lo
	s_and_b32 s29, s29, exec_lo
	s_or_b32 s13, s13, s29
	s_or_b32 exec_lo, exec_lo, s14
	s_and_saveexec_b32 s14, s13
	s_cbranch_execnz .LBB4_908
	s_branch .LBB4_909
.LBB4_1223:                             ;   in Loop: Header=BB4_903 Depth=2
	s_or_saveexec_b32 s14, s14
	v_mov_b32_e32 v81, 0x7f800001
	s_xor_b32 exec_lo, exec_lo, s14
	s_cbranch_execz .LBB4_913
.LBB4_1224:                             ;   in Loop: Header=BB4_903 Depth=2
	v_cmp_ne_u16_sdwa s29, v10, v52 src0_sel:BYTE_0 src1_sel:DWORD
	v_mov_b32_e32 v81, 0
	s_andn2_b32 s13, s13, exec_lo
	s_and_b32 s29, s29, exec_lo
	s_or_b32 s13, s13, s29
	s_or_b32 exec_lo, exec_lo, s14
	s_and_saveexec_b32 s14, s13
	s_cbranch_execnz .LBB4_914
	s_branch .LBB4_915
.LBB4_1225:                             ;   in Loop: Header=BB4_903 Depth=2
	s_or_saveexec_b32 s14, s14
	v_mov_b32_e32 v81, 0x7f800001
	s_xor_b32 exec_lo, exec_lo, s14
	s_cbranch_execz .LBB4_927
.LBB4_1226:                             ;   in Loop: Header=BB4_903 Depth=2
	v_cmp_ne_u16_sdwa s29, v14, v52 src0_sel:BYTE_1 src1_sel:DWORD
	v_mov_b32_e32 v81, 0
	s_andn2_b32 s13, s13, exec_lo
	s_and_b32 s29, s29, exec_lo
	s_or_b32 s13, s13, s29
	s_or_b32 exec_lo, exec_lo, s14
	s_and_saveexec_b32 s14, s13
	s_cbranch_execnz .LBB4_928
	s_branch .LBB4_929
.LBB4_1227:                             ;   in Loop: Header=BB4_903 Depth=2
	s_or_saveexec_b32 s14, s14
	v_mov_b32_e32 v82, 0x7f800001
	s_xor_b32 exec_lo, exec_lo, s14
	s_cbranch_execz .LBB4_933
.LBB4_1228:                             ;   in Loop: Header=BB4_903 Depth=2
	v_cmp_ne_u16_sdwa s29, v10, v52 src0_sel:BYTE_1 src1_sel:DWORD
	v_mov_b32_e32 v82, 0
	s_andn2_b32 s13, s13, exec_lo
	s_and_b32 s29, s29, exec_lo
	s_or_b32 s13, s13, s29
	s_or_b32 exec_lo, exec_lo, s14
	s_and_saveexec_b32 s14, s13
	s_cbranch_execnz .LBB4_934
	s_branch .LBB4_935
.LBB4_1229:                             ;   in Loop: Header=BB4_903 Depth=2
	s_or_saveexec_b32 s29, s29
	v_mov_b32_e32 v82, 0x7f800001
	s_xor_b32 exec_lo, exec_lo, s29
	s_cbranch_execz .LBB4_947
.LBB4_1230:                             ;   in Loop: Header=BB4_903 Depth=2
	v_cmp_ne_u16_e64 s13, 0, v83
	v_mov_b32_e32 v82, 0
	s_andn2_b32 s14, s14, exec_lo
	s_and_b32 s13, s13, exec_lo
	s_or_b32 s14, s14, s13
	s_or_b32 exec_lo, exec_lo, s29
	s_and_saveexec_b32 s29, s14
	s_cbranch_execnz .LBB4_948
	s_branch .LBB4_949
.LBB4_1231:                             ;   in Loop: Header=BB4_903 Depth=2
	s_or_saveexec_b32 s29, s29
	v_mov_b32_e32 v83, 0x7f800001
	s_xor_b32 exec_lo, exec_lo, s29
	s_cbranch_execz .LBB4_953
.LBB4_1232:                             ;   in Loop: Header=BB4_903 Depth=2
	v_cmp_ne_u16_e64 s13, 0, v119
	v_mov_b32_e32 v83, 0
	s_andn2_b32 s14, s14, exec_lo
	s_and_b32 s13, s13, exec_lo
	s_or_b32 s14, s14, s13
	s_or_b32 exec_lo, exec_lo, s29
	s_and_saveexec_b32 s29, s14
	s_cbranch_execnz .LBB4_954
	s_branch .LBB4_955
.LBB4_1233:                             ;   in Loop: Header=BB4_903 Depth=2
	s_or_saveexec_b32 s14, s14
	v_mov_b32_e32 v83, 0x7f800001
	s_xor_b32 exec_lo, exec_lo, s14
	s_cbranch_execz .LBB4_967
.LBB4_1234:                             ;   in Loop: Header=BB4_903 Depth=2
	v_cmp_ne_u16_sdwa s29, v14, v52 src0_sel:BYTE_3 src1_sel:DWORD
	v_mov_b32_e32 v83, 0
	s_andn2_b32 s13, s13, exec_lo
	s_and_b32 s29, s29, exec_lo
	s_or_b32 s13, s13, s29
	s_or_b32 exec_lo, exec_lo, s14
	s_and_saveexec_b32 s14, s13
	s_cbranch_execnz .LBB4_968
	s_branch .LBB4_969
.LBB4_1235:                             ;   in Loop: Header=BB4_903 Depth=2
	s_or_saveexec_b32 s14, s14
	v_mov_b32_e32 v14, 0x7f800001
	s_xor_b32 exec_lo, exec_lo, s14
	s_cbranch_execz .LBB4_973
.LBB4_1236:                             ;   in Loop: Header=BB4_903 Depth=2
	v_cmp_ne_u16_sdwa s29, v10, v52 src0_sel:BYTE_3 src1_sel:DWORD
	v_mov_b32_e32 v14, 0
	s_andn2_b32 s13, s13, exec_lo
	s_and_b32 s29, s29, exec_lo
	s_or_b32 s13, s13, s29
	s_or_b32 exec_lo, exec_lo, s14
	s_and_saveexec_b32 s14, s13
	s_cbranch_execnz .LBB4_974
	s_branch .LBB4_975
.LBB4_1237:                             ;   in Loop: Header=BB4_903 Depth=2
	s_or_saveexec_b32 s14, s14
	v_mov_b32_e32 v14, 0x7f800001
	s_xor_b32 exec_lo, exec_lo, s14
	s_cbranch_execz .LBB4_987
.LBB4_1238:                             ;   in Loop: Header=BB4_903 Depth=2
	v_cmp_ne_u16_sdwa s29, v15, v52 src0_sel:BYTE_0 src1_sel:DWORD
	v_mov_b32_e32 v14, 0
	s_andn2_b32 s13, s13, exec_lo
	s_and_b32 s29, s29, exec_lo
	s_or_b32 s13, s13, s29
	s_or_b32 exec_lo, exec_lo, s14
	s_and_saveexec_b32 s14, s13
	s_cbranch_execnz .LBB4_988
	s_branch .LBB4_989
.LBB4_1239:                             ;   in Loop: Header=BB4_903 Depth=2
	s_or_saveexec_b32 s14, s14
	v_mov_b32_e32 v83, 0x7f800001
	s_xor_b32 exec_lo, exec_lo, s14
	s_cbranch_execz .LBB4_993
.LBB4_1240:                             ;   in Loop: Header=BB4_903 Depth=2
	v_cmp_ne_u16_sdwa s29, v11, v52 src0_sel:BYTE_0 src1_sel:DWORD
	v_mov_b32_e32 v83, 0
	s_andn2_b32 s13, s13, exec_lo
	s_and_b32 s29, s29, exec_lo
	s_or_b32 s13, s13, s29
	s_or_b32 exec_lo, exec_lo, s14
	s_and_saveexec_b32 s14, s13
	s_cbranch_execnz .LBB4_994
	s_branch .LBB4_995
.LBB4_1241:                             ;   in Loop: Header=BB4_903 Depth=2
	s_or_saveexec_b32 s14, s14
	v_mov_b32_e32 v83, 0x7f800001
	s_xor_b32 exec_lo, exec_lo, s14
	s_cbranch_execz .LBB4_1007
.LBB4_1242:                             ;   in Loop: Header=BB4_903 Depth=2
	v_cmp_ne_u16_sdwa s29, v15, v52 src0_sel:BYTE_1 src1_sel:DWORD
	v_mov_b32_e32 v83, 0
	s_andn2_b32 s13, s13, exec_lo
	s_and_b32 s29, s29, exec_lo
	s_or_b32 s13, s13, s29
	s_or_b32 exec_lo, exec_lo, s14
	s_and_saveexec_b32 s14, s13
	s_cbranch_execnz .LBB4_1008
	s_branch .LBB4_1009
.LBB4_1243:                             ;   in Loop: Header=BB4_903 Depth=2
	s_or_saveexec_b32 s14, s14
	v_mov_b32_e32 v119, 0x7f800001
	s_xor_b32 exec_lo, exec_lo, s14
	s_cbranch_execz .LBB4_1013
.LBB4_1244:                             ;   in Loop: Header=BB4_903 Depth=2
	v_cmp_ne_u16_sdwa s29, v11, v52 src0_sel:BYTE_1 src1_sel:DWORD
	v_mov_b32_e32 v119, 0
	s_andn2_b32 s13, s13, exec_lo
	s_and_b32 s29, s29, exec_lo
	s_or_b32 s13, s13, s29
	s_or_b32 exec_lo, exec_lo, s14
	s_and_saveexec_b32 s14, s13
	s_cbranch_execnz .LBB4_1014
	s_branch .LBB4_1015
.LBB4_1245:                             ;   in Loop: Header=BB4_903 Depth=2
	s_or_saveexec_b32 s29, s29
	v_mov_b32_e32 v119, 0x7f800001
	s_xor_b32 exec_lo, exec_lo, s29
	s_cbranch_execz .LBB4_1027
.LBB4_1246:                             ;   in Loop: Header=BB4_903 Depth=2
	v_cmp_ne_u16_e64 s13, 0, v40
	v_mov_b32_e32 v119, 0
	s_andn2_b32 s14, s14, exec_lo
	s_and_b32 s13, s13, exec_lo
	s_or_b32 s14, s14, s13
	s_or_b32 exec_lo, exec_lo, s29
	s_and_saveexec_b32 s29, s14
	s_cbranch_execnz .LBB4_1028
	s_branch .LBB4_1029
.LBB4_1247:                             ;   in Loop: Header=BB4_903 Depth=2
	s_or_saveexec_b32 s29, s29
	v_mov_b32_e32 v40, 0x7f800001
	s_xor_b32 exec_lo, exec_lo, s29
	s_cbranch_execz .LBB4_1033
.LBB4_1248:                             ;   in Loop: Header=BB4_903 Depth=2
	v_cmp_ne_u16_e64 s13, 0, v41
	v_mov_b32_e32 v40, 0
	s_andn2_b32 s14, s14, exec_lo
	s_and_b32 s13, s13, exec_lo
	s_or_b32 s14, s14, s13
	s_or_b32 exec_lo, exec_lo, s29
	s_and_saveexec_b32 s29, s14
	s_cbranch_execnz .LBB4_1034
	s_branch .LBB4_1035
.LBB4_1249:                             ;   in Loop: Header=BB4_903 Depth=2
	s_or_saveexec_b32 s14, s14
	v_mov_b32_e32 v40, 0x7f800001
	s_xor_b32 exec_lo, exec_lo, s14
	s_cbranch_execz .LBB4_1047
.LBB4_1250:                             ;   in Loop: Header=BB4_903 Depth=2
	v_cmp_ne_u16_sdwa s29, v15, v52 src0_sel:BYTE_3 src1_sel:DWORD
	v_mov_b32_e32 v40, 0
	s_andn2_b32 s13, s13, exec_lo
	s_and_b32 s29, s29, exec_lo
	s_or_b32 s13, s13, s29
	s_or_b32 exec_lo, exec_lo, s14
	s_and_saveexec_b32 s14, s13
	s_cbranch_execnz .LBB4_1048
	s_branch .LBB4_1049
.LBB4_1251:                             ;   in Loop: Header=BB4_903 Depth=2
	s_or_saveexec_b32 s14, s14
	v_mov_b32_e32 v15, 0x7f800001
	s_xor_b32 exec_lo, exec_lo, s14
	s_cbranch_execz .LBB4_1053
.LBB4_1252:                             ;   in Loop: Header=BB4_903 Depth=2
	v_cmp_ne_u16_sdwa s29, v11, v52 src0_sel:BYTE_3 src1_sel:DWORD
	v_mov_b32_e32 v15, 0
	s_andn2_b32 s13, s13, exec_lo
	s_and_b32 s29, s29, exec_lo
	s_or_b32 s13, s13, s29
	s_or_b32 exec_lo, exec_lo, s14
	s_and_saveexec_b32 s14, s13
	s_cbranch_execnz .LBB4_1054
	s_branch .LBB4_1055
.LBB4_1253:                             ;   in Loop: Header=BB4_903 Depth=2
	s_or_saveexec_b32 s14, s14
	v_mov_b32_e32 v15, 0x7f800001
	s_xor_b32 exec_lo, exec_lo, s14
	s_cbranch_execz .LBB4_1067
.LBB4_1254:                             ;   in Loop: Header=BB4_903 Depth=2
	v_cmp_ne_u16_sdwa s29, v16, v52 src0_sel:BYTE_0 src1_sel:DWORD
	v_mov_b32_e32 v15, 0
	s_andn2_b32 s13, s13, exec_lo
	s_and_b32 s29, s29, exec_lo
	s_or_b32 s13, s13, s29
	s_or_b32 exec_lo, exec_lo, s14
	s_and_saveexec_b32 s14, s13
	s_cbranch_execnz .LBB4_1068
	s_branch .LBB4_1069
.LBB4_1255:                             ;   in Loop: Header=BB4_903 Depth=2
	s_or_saveexec_b32 s14, s14
	v_mov_b32_e32 v40, 0x7f800001
	s_xor_b32 exec_lo, exec_lo, s14
	s_cbranch_execz .LBB4_1073
.LBB4_1256:                             ;   in Loop: Header=BB4_903 Depth=2
	v_cmp_ne_u16_sdwa s29, v12, v52 src0_sel:BYTE_0 src1_sel:DWORD
	v_mov_b32_e32 v40, 0
	s_andn2_b32 s13, s13, exec_lo
	s_and_b32 s29, s29, exec_lo
	s_or_b32 s13, s13, s29
	s_or_b32 exec_lo, exec_lo, s14
	s_and_saveexec_b32 s14, s13
	s_cbranch_execnz .LBB4_1074
	s_branch .LBB4_1075
.LBB4_1257:                             ;   in Loop: Header=BB4_903 Depth=2
	s_or_saveexec_b32 s14, s14
	v_mov_b32_e32 v40, 0x7f800001
	s_xor_b32 exec_lo, exec_lo, s14
	s_cbranch_execz .LBB4_1087
.LBB4_1258:                             ;   in Loop: Header=BB4_903 Depth=2
	v_cmp_ne_u16_sdwa s29, v16, v52 src0_sel:BYTE_1 src1_sel:DWORD
	v_mov_b32_e32 v40, 0
	s_andn2_b32 s13, s13, exec_lo
	s_and_b32 s29, s29, exec_lo
	s_or_b32 s13, s13, s29
	s_or_b32 exec_lo, exec_lo, s14
	s_and_saveexec_b32 s14, s13
	s_cbranch_execnz .LBB4_1088
	s_branch .LBB4_1089
.LBB4_1259:                             ;   in Loop: Header=BB4_903 Depth=2
	s_or_saveexec_b32 s14, s14
	v_mov_b32_e32 v41, 0x7f800001
	s_xor_b32 exec_lo, exec_lo, s14
	s_cbranch_execz .LBB4_1093
.LBB4_1260:                             ;   in Loop: Header=BB4_903 Depth=2
	v_cmp_ne_u16_sdwa s29, v12, v52 src0_sel:BYTE_1 src1_sel:DWORD
	v_mov_b32_e32 v41, 0
	s_andn2_b32 s13, s13, exec_lo
	s_and_b32 s29, s29, exec_lo
	s_or_b32 s13, s13, s29
	s_or_b32 exec_lo, exec_lo, s14
	s_and_saveexec_b32 s14, s13
	s_cbranch_execnz .LBB4_1094
	s_branch .LBB4_1095
.LBB4_1261:                             ;   in Loop: Header=BB4_903 Depth=2
	s_or_saveexec_b32 s29, s29
	v_mov_b32_e32 v41, 0x7f800001
	s_xor_b32 exec_lo, exec_lo, s29
	s_cbranch_execz .LBB4_1107
.LBB4_1262:                             ;   in Loop: Header=BB4_903 Depth=2
	v_cmp_ne_u16_e64 s13, 0, v42
	v_mov_b32_e32 v41, 0
	s_andn2_b32 s14, s14, exec_lo
	s_and_b32 s13, s13, exec_lo
	s_or_b32 s14, s14, s13
	s_or_b32 exec_lo, exec_lo, s29
	s_and_saveexec_b32 s29, s14
	s_cbranch_execnz .LBB4_1108
	s_branch .LBB4_1109
.LBB4_1263:                             ;   in Loop: Header=BB4_903 Depth=2
	s_or_saveexec_b32 s29, s29
	v_mov_b32_e32 v42, 0x7f800001
	s_xor_b32 exec_lo, exec_lo, s29
	s_cbranch_execz .LBB4_1113
.LBB4_1264:                             ;   in Loop: Header=BB4_903 Depth=2
	v_cmp_ne_u16_e64 s13, 0, v43
	v_mov_b32_e32 v42, 0
	s_andn2_b32 s14, s14, exec_lo
	s_and_b32 s13, s13, exec_lo
	s_or_b32 s14, s14, s13
	s_or_b32 exec_lo, exec_lo, s29
	s_and_saveexec_b32 s29, s14
	s_cbranch_execnz .LBB4_1114
	s_branch .LBB4_1115
.LBB4_1265:                             ;   in Loop: Header=BB4_903 Depth=2
	s_or_saveexec_b32 s14, s14
	v_mov_b32_e32 v42, 0x7f800001
	s_xor_b32 exec_lo, exec_lo, s14
	s_cbranch_execz .LBB4_1127
.LBB4_1266:                             ;   in Loop: Header=BB4_903 Depth=2
	v_cmp_ne_u16_sdwa s29, v16, v52 src0_sel:BYTE_3 src1_sel:DWORD
	v_mov_b32_e32 v42, 0
	s_andn2_b32 s13, s13, exec_lo
	s_and_b32 s29, s29, exec_lo
	s_or_b32 s13, s13, s29
	s_or_b32 exec_lo, exec_lo, s14
	s_and_saveexec_b32 s14, s13
	s_cbranch_execnz .LBB4_1128
	s_branch .LBB4_1129
.LBB4_1267:                             ;   in Loop: Header=BB4_903 Depth=2
	s_or_saveexec_b32 s14, s14
	v_mov_b32_e32 v16, 0x7f800001
	s_xor_b32 exec_lo, exec_lo, s14
	s_cbranch_execz .LBB4_1133
.LBB4_1268:                             ;   in Loop: Header=BB4_903 Depth=2
	v_cmp_ne_u16_sdwa s29, v12, v52 src0_sel:BYTE_3 src1_sel:DWORD
	v_mov_b32_e32 v16, 0
	s_andn2_b32 s13, s13, exec_lo
	s_and_b32 s29, s29, exec_lo
	s_or_b32 s13, s13, s29
	s_or_b32 exec_lo, exec_lo, s14
	s_and_saveexec_b32 s14, s13
	s_cbranch_execnz .LBB4_1134
	s_branch .LBB4_1135
.LBB4_1269:                             ;   in Loop: Header=BB4_903 Depth=2
	s_or_saveexec_b32 s14, s14
	v_mov_b32_e32 v16, 0x7f800001
	s_xor_b32 exec_lo, exec_lo, s14
	s_cbranch_execz .LBB4_1147
.LBB4_1270:                             ;   in Loop: Header=BB4_903 Depth=2
	v_cmp_ne_u16_sdwa s29, v17, v52 src0_sel:BYTE_0 src1_sel:DWORD
	v_mov_b32_e32 v16, 0
	s_andn2_b32 s13, s13, exec_lo
	s_and_b32 s29, s29, exec_lo
	s_or_b32 s13, s13, s29
	s_or_b32 exec_lo, exec_lo, s14
	s_and_saveexec_b32 s14, s13
	s_cbranch_execnz .LBB4_1148
	s_branch .LBB4_1149
.LBB4_1271:                             ;   in Loop: Header=BB4_903 Depth=2
	s_or_saveexec_b32 s14, s14
	v_mov_b32_e32 v42, 0x7f800001
	s_xor_b32 exec_lo, exec_lo, s14
	s_cbranch_execz .LBB4_1153
.LBB4_1272:                             ;   in Loop: Header=BB4_903 Depth=2
	v_cmp_ne_u16_sdwa s29, v13, v52 src0_sel:BYTE_0 src1_sel:DWORD
	v_mov_b32_e32 v42, 0
	s_andn2_b32 s13, s13, exec_lo
	s_and_b32 s29, s29, exec_lo
	s_or_b32 s13, s13, s29
	s_or_b32 exec_lo, exec_lo, s14
	s_and_saveexec_b32 s14, s13
	s_cbranch_execnz .LBB4_1154
	s_branch .LBB4_1155
.LBB4_1273:                             ;   in Loop: Header=BB4_903 Depth=2
	s_or_saveexec_b32 s14, s14
	v_mov_b32_e32 v42, 0x7f800001
	s_xor_b32 exec_lo, exec_lo, s14
	s_cbranch_execz .LBB4_1167
.LBB4_1274:                             ;   in Loop: Header=BB4_903 Depth=2
	v_cmp_ne_u16_sdwa s29, v17, v52 src0_sel:BYTE_1 src1_sel:DWORD
	v_mov_b32_e32 v42, 0
	s_andn2_b32 s13, s13, exec_lo
	s_and_b32 s29, s29, exec_lo
	s_or_b32 s13, s13, s29
	s_or_b32 exec_lo, exec_lo, s14
	s_and_saveexec_b32 s14, s13
	s_cbranch_execnz .LBB4_1168
	s_branch .LBB4_1169
.LBB4_1275:                             ;   in Loop: Header=BB4_903 Depth=2
	s_or_saveexec_b32 s14, s14
	v_mov_b32_e32 v43, 0x7f800001
	s_xor_b32 exec_lo, exec_lo, s14
	s_cbranch_execz .LBB4_1173
.LBB4_1276:                             ;   in Loop: Header=BB4_903 Depth=2
	v_cmp_ne_u16_sdwa s29, v13, v52 src0_sel:BYTE_1 src1_sel:DWORD
	v_mov_b32_e32 v43, 0
	s_andn2_b32 s13, s13, exec_lo
	s_and_b32 s29, s29, exec_lo
	s_or_b32 s13, s13, s29
	s_or_b32 exec_lo, exec_lo, s14
	s_and_saveexec_b32 s14, s13
	s_cbranch_execnz .LBB4_1174
	s_branch .LBB4_1175
.LBB4_1277:                             ;   in Loop: Header=BB4_903 Depth=2
	s_or_saveexec_b32 s29, s29
	v_mov_b32_e32 v43, 0x7f800001
	s_xor_b32 exec_lo, exec_lo, s29
	s_cbranch_execz .LBB4_1187
.LBB4_1278:                             ;   in Loop: Header=BB4_903 Depth=2
	v_cmp_ne_u16_e64 s13, 0, v44
	v_mov_b32_e32 v43, 0
	s_andn2_b32 s14, s14, exec_lo
	s_and_b32 s13, s13, exec_lo
	s_or_b32 s14, s14, s13
	s_or_b32 exec_lo, exec_lo, s29
	s_and_saveexec_b32 s29, s14
	s_cbranch_execnz .LBB4_1188
	s_branch .LBB4_1189
.LBB4_1279:                             ;   in Loop: Header=BB4_903 Depth=2
	s_or_saveexec_b32 s29, s29
	v_mov_b32_e32 v44, 0x7f800001
	s_xor_b32 exec_lo, exec_lo, s29
	s_cbranch_execz .LBB4_1193
.LBB4_1280:                             ;   in Loop: Header=BB4_903 Depth=2
	v_cmp_ne_u16_e64 s13, 0, v45
	v_mov_b32_e32 v44, 0
	s_andn2_b32 s14, s14, exec_lo
	s_and_b32 s13, s13, exec_lo
	s_or_b32 s14, s14, s13
	s_or_b32 exec_lo, exec_lo, s29
	s_and_saveexec_b32 s29, s14
	s_cbranch_execnz .LBB4_1194
	s_branch .LBB4_1195
.LBB4_1281:                             ;   in Loop: Header=BB4_903 Depth=2
	s_or_saveexec_b32 s14, s14
	v_mov_b32_e32 v44, 0x7f800001
	s_xor_b32 exec_lo, exec_lo, s14
	s_cbranch_execz .LBB4_1207
.LBB4_1282:                             ;   in Loop: Header=BB4_903 Depth=2
	v_cmp_ne_u16_sdwa s29, v17, v52 src0_sel:BYTE_3 src1_sel:DWORD
	v_mov_b32_e32 v44, 0
	s_andn2_b32 s13, s13, exec_lo
	s_and_b32 s29, s29, exec_lo
	s_or_b32 s13, s13, s29
	s_or_b32 exec_lo, exec_lo, s14
	s_and_saveexec_b32 s14, s13
	s_cbranch_execnz .LBB4_1208
	s_branch .LBB4_1209
.LBB4_1283:                             ;   in Loop: Header=BB4_903 Depth=2
	s_or_saveexec_b32 s14, s14
	v_mov_b32_e32 v17, 0x7f800001
	s_xor_b32 exec_lo, exec_lo, s14
	s_cbranch_execz .LBB4_1213
.LBB4_1284:                             ;   in Loop: Header=BB4_903 Depth=2
	v_cmp_ne_u16_sdwa s29, v13, v52 src0_sel:BYTE_3 src1_sel:DWORD
	v_mov_b32_e32 v17, 0
	s_andn2_b32 s13, s13, exec_lo
	s_and_b32 s29, s29, exec_lo
	s_or_b32 s13, s13, s29
	s_or_b32 exec_lo, exec_lo, s14
	s_and_saveexec_b32 s14, s13
	s_cbranch_execnz .LBB4_1214
	s_branch .LBB4_1215
.LBB4_1285:                             ;   in Loop: Header=BB4_49 Depth=1
	s_or_b32 exec_lo, exec_lo, s28
.LBB4_1286:                             ;   in Loop: Header=BB4_49 Depth=1
	s_or_b32 exec_lo, exec_lo, s27
	v_and_b32_e32 v10, 15, v53
	v_mov_b32_e32 v16, 0
	s_mov_b32 s14, 0
	s_mov_b32 s27, exec_lo
                                        ; implicit-def: $vgpr18
	v_cndmask_b32_e32 v17, v70, v10, vcc_lo
                                        ; implicit-def: $vgpr10
	v_cmpx_ne_u32_e32 0, v17
	s_cbranch_execz .LBB4_1288
; %bb.1287:                             ;   in Loop: Header=BB4_49 Depth=1
	v_cmp_lt_i32_e64 s13, 0, v25
	v_and_b32_e32 v11, 0x1f0, v53
	s_mov_b32 s14, exec_lo
	v_cndmask_b32_e64 v10, 0, v87, s13
	v_cndmask_b32_e32 v11, 0, v11, vcc_lo
	v_sub_nc_u32_e32 v10, v10, v25
	v_and_or_b32 v16, 0x3ffffe00, v53, v11
	v_lshl_add_u32 v18, v10, 5, v24
	v_ashrrev_i32_e32 v10, 31, v18
	v_lshrrev_b32_e32 v10, 27, v10
	v_add_nc_u32_e32 v10, v18, v10
	v_ashrrev_i32_e32 v10, 5, v10
.LBB4_1288:                             ;   in Loop: Header=BB4_49 Depth=1
	s_or_b32 exec_lo, exec_lo, s27
	s_and_b32 s13, s14, exec_lo
.LBB4_1289:                             ;   in Loop: Header=BB4_49 Depth=1
	s_or_b32 exec_lo, exec_lo, s26
	s_and_saveexec_b32 s14, s13
	s_cbranch_execz .LBB4_1706
.LBB4_1290:                             ;   in Loop: Header=BB4_49 Depth=1
	v_lshrrev_b32_e32 v11, 9, v17
	s_mov_b32 s26, exec_lo
	v_sub_nc_u32_e32 v19, v11, v10
	v_ashrrev_i32_e32 v11, 31, v18
	v_lshrrev_b32_e32 v20, 27, v11
	v_cmpx_lt_i32_e32 0, v19
	s_cbranch_execz .LBB4_1678
; %bb.1291:                             ;   in Loop: Header=BB4_49 Depth=1
	v_add_nc_u32_e32 v11, v18, v20
	s_trap 2
	ds_read_b64 v[12:13], v0
	v_lshlrev_b32_e32 v10, 9, v10
	v_add_co_u32 v21, vcc_lo, 0x1e0, v68
	v_and_b32_e32 v11, 0xffffffe0, v11
	v_add_co_ci_u32_e64 v22, null, 0, v69, vcc_lo
	s_mov_b32 s27, 0
	v_sub_nc_u32_e32 v11, v18, v11
	v_add3_u32 v14, v16, v11, v10
	v_ashrrev_i32_e32 v15, 31, v14
	v_add_co_u32 v10, vcc_lo, v14, v66
	v_add_co_ci_u32_e64 v11, null, v15, v67, vcc_lo
	s_waitcnt lgkmcnt(0)
	v_add_co_u32 v12, vcc_lo, v12, v14
	v_add_co_ci_u32_e64 v13, null, v13, v15, vcc_lo
	v_add_co_u32 v14, vcc_lo, v21, v14
	v_add_co_ci_u32_e64 v15, null, v22, v15, vcc_lo
	s_branch .LBB4_1295
.LBB4_1292:                             ;   in Loop: Header=BB4_1295 Depth=2
	s_or_b32 exec_lo, exec_lo, s13
	v_lshrrev_b32_e32 v25, 20, v25
	v_cmp_gt_i32_e32 vcc_lo, 16, v21
	v_min_i32_e32 v68, 15, v21
	v_and_b32_sdwa v22, v22, v114 dst_sel:DWORD dst_unused:UNUSED_PAD src0_sel:BYTE_3 src1_sel:DWORD
	v_cndmask_b32_e32 v25, 7, v25, vcc_lo
	v_lshlrev_b32_e32 v68, 3, v68
	v_and_b32_e32 v71, 7, v25
	v_or_b32_e32 v21, v21, v25
	v_or3_b32 v22, v68, v22, v71
	v_cmp_ne_u32_e32 vcc_lo, 0, v21
	v_cndmask_b32_e32 v21, 0, v22, vcc_lo
.LBB4_1293:                             ;   in Loop: Header=BB4_1295 Depth=2
	s_or_b32 exec_lo, exec_lo, s29
.LBB4_1294:                             ;   in Loop: Header=BB4_1295 Depth=2
	s_or_b32 exec_lo, exec_lo, s28
	v_add_co_u32 v56, vcc_lo, 0xfffffe20, v14
	v_add_co_ci_u32_e64 v57, null, -1, v15, vcc_lo
	v_add_co_u32 v58, vcc_lo, 0xfffffe40, v14
	v_add_co_ci_u32_e64 v59, null, -1, v15, vcc_lo
	;; [unrolled: 2-line block ×5, first 2 shown]
	v_add_co_u32 v22, vcc_lo, 0xfffffec0, v14
	flat_store_byte v[56:57], v23 glc slc
	flat_store_byte v[58:59], v66 glc slc
	;; [unrolled: 1-line block ×5, first 2 shown]
	v_add_co_ci_u32_e64 v23, null, -1, v15, vcc_lo
	v_add_co_u32 v68, vcc_lo, 0xfffffee0, v14
	v_add_co_ci_u32_e64 v69, null, -1, v15, vcc_lo
	v_add_co_u32 v82, vcc_lo, 0xffffff00, v14
	;; [unrolled: 2-line block ×4, first 2 shown]
	v_add_co_ci_u32_e64 v59, null, -1, v15, vcc_lo
	flat_store_byte v[22:23], v41 glc slc
	flat_store_byte v[68:69], v44 glc slc
	;; [unrolled: 1-line block ×5, first 2 shown]
	v_add_co_u32 v22, vcc_lo, 0xffffff60, v14
	v_add_co_ci_u32_e64 v23, null, -1, v15, vcc_lo
	v_add_co_u32 v68, vcc_lo, 0xffffff80, v14
	v_add_co_ci_u32_e64 v69, null, -1, v15, vcc_lo
	;; [unrolled: 2-line block ×4, first 2 shown]
	v_add_co_u32 v42, vcc_lo, 0xffffffe0, v14
	v_sub_nc_u32_e32 v19, v19, v87
	v_add_co_ci_u32_e64 v43, null, -1, v15, vcc_lo
	v_add_co_u32 v10, vcc_lo, v10, v112
	v_add_co_ci_u32_e64 v11, null, 0, v11, vcc_lo
	v_add_co_u32 v12, vcc_lo, v12, v112
	flat_store_byte v[22:23], v119 glc slc
	flat_store_byte v[68:69], v81 glc slc
	;; [unrolled: 1-line block ×6, first 2 shown]
	v_add_co_ci_u32_e64 v13, null, 0, v13, vcc_lo
	v_cmp_gt_i32_e32 vcc_lo, 1, v19
	v_add_co_u32 v14, s13, v14, v112
	v_add_co_ci_u32_e64 v15, null, 0, v15, s13
	s_or_b32 s27, vcc_lo, s27
	s_andn2_b32 exec_lo, exec_lo, s27
	s_cbranch_execz .LBB4_1677
.LBB4_1295:                             ;   Parent Loop BB4_49 Depth=1
                                        ; =>  This Inner Loop Header: Depth=2
	s_clause 0xf
	flat_load_ubyte v72, v[10:11] slc
	flat_load_ubyte v62, v[10:11] offset:32 slc
	flat_load_ubyte v61, v[10:11] offset:64 slc
	;; [unrolled: 1-line block ×15, first 2 shown]
	s_clause 0xf
	flat_load_ubyte v23, v[12:13] slc
	flat_load_ubyte v66, v[12:13] offset:32 slc
	flat_load_ubyte v69, v[12:13] offset:64 slc
	flat_load_ubyte v80, v[12:13] offset:96 slc
	flat_load_ubyte v83, v[12:13] offset:128 slc
	flat_load_ubyte v41, v[12:13] offset:160 slc
	flat_load_ubyte v44, v[12:13] offset:192 slc
	flat_load_ubyte v47, v[12:13] offset:224 slc
	flat_load_ubyte v45, v[12:13] offset:256 slc
	flat_load_ubyte v42, v[12:13] offset:288 slc
	flat_load_ubyte v119, v[12:13] offset:320 slc
	flat_load_ubyte v81, v[12:13] offset:352 slc
	flat_load_ubyte v70, v[12:13] offset:384 slc
	flat_load_ubyte v67, v[12:13] offset:416 slc
	flat_load_ubyte v24, v[12:13] offset:448 slc
	flat_load_ubyte v21, v[12:13] offset:480 slc
	s_mov_b32 s13, 0
	s_mov_b32 s28, exec_lo
	s_waitcnt vmcnt(31) lgkmcnt(31)
	v_cmpx_lt_i16_e32 0x7f, v72
	s_xor_b32 s28, exec_lo, s28
	s_cbranch_execz .LBB4_1613
; %bb.1296:                             ;   in Loop: Header=BB4_1295 Depth=2
	s_mov_b32 s13, -1
	s_mov_b32 s29, exec_lo
	v_cmpx_eq_u16_e32 0x80, v72
; %bb.1297:                             ;   in Loop: Header=BB4_1295 Depth=2
	s_xor_b32 s13, exec_lo, -1
; %bb.1298:                             ;   in Loop: Header=BB4_1295 Depth=2
	s_or_b32 exec_lo, exec_lo, s29
	s_and_b32 s13, s13, exec_lo
	s_or_saveexec_b32 s28, s28
	v_mov_b32_e32 v63, 0x7f800001
	s_xor_b32 exec_lo, exec_lo, s28
	s_cbranch_execnz .LBB4_1614
.LBB4_1299:                             ;   in Loop: Header=BB4_1295 Depth=2
	s_or_b32 exec_lo, exec_lo, s28
	s_and_saveexec_b32 s28, s13
	s_cbranch_execz .LBB4_1301
.LBB4_1300:                             ;   in Loop: Header=BB4_1295 Depth=2
	v_and_b32_e32 v63, 0xffff, v72
	v_lshlrev_b32_e32 v72, 24, v72
	v_and_b32_e32 v73, 7, v63
	v_bfe_u32 v76, v63, 3, 4
	v_and_b32_e32 v72, 0x80000000, v72
	v_ffbh_u32_e32 v74, v73
	v_cmp_eq_u32_e32 vcc_lo, 0, v76
	v_min_u32_e32 v74, 32, v74
	v_subrev_nc_u32_e32 v75, 28, v74
	v_sub_nc_u32_e32 v74, 29, v74
	v_lshlrev_b32_e32 v63, v75, v63
	v_cndmask_b32_e32 v74, v76, v74, vcc_lo
	v_and_b32_e32 v63, 7, v63
	v_cndmask_b32_e32 v63, v73, v63, vcc_lo
	v_lshl_add_u32 v73, v74, 23, 0x3b800000
	v_lshlrev_b32_e32 v63, 20, v63
	v_or3_b32 v63, v72, v73, v63
.LBB4_1301:                             ;   in Loop: Header=BB4_1295 Depth=2
	s_or_b32 exec_lo, exec_lo, s28
	s_waitcnt vmcnt(15) lgkmcnt(15)
	v_cmp_gt_i16_sdwa s28, v23, v101 src0_sel:BYTE_0 src1_sel:DWORD
	s_mov_b32 s13, 0
	s_and_saveexec_b32 s29, s28
	s_xor_b32 s28, exec_lo, s29
	s_cbranch_execz .LBB4_1615
; %bb.1302:                             ;   in Loop: Header=BB4_1295 Depth=2
	v_cmp_eq_u16_sdwa s40, v23, v114 src0_sel:BYTE_0 src1_sel:DWORD
	s_mov_b32 s13, -1
	s_and_saveexec_b32 s29, s40
; %bb.1303:                             ;   in Loop: Header=BB4_1295 Depth=2
	s_xor_b32 s13, exec_lo, -1
; %bb.1304:                             ;   in Loop: Header=BB4_1295 Depth=2
	s_or_b32 exec_lo, exec_lo, s29
	s_and_b32 s13, s13, exec_lo
	s_or_saveexec_b32 s28, s28
	v_mov_b32_e32 v72, 0x7f800001
	s_xor_b32 exec_lo, exec_lo, s28
	s_cbranch_execnz .LBB4_1616
.LBB4_1305:                             ;   in Loop: Header=BB4_1295 Depth=2
	s_or_b32 exec_lo, exec_lo, s28
	s_and_saveexec_b32 s28, s13
	s_cbranch_execz .LBB4_1307
.LBB4_1306:                             ;   in Loop: Header=BB4_1295 Depth=2
	v_and_b32_e32 v72, 7, v23
	v_lshrrev_b16 v74, 3, v23
	v_ffbh_u32_e32 v73, v72
	v_and_b32_e32 v74, 15, v74
	v_min_u32_e32 v73, 32, v73
	v_cmp_eq_u32_e32 vcc_lo, 0, v74
	v_subrev_nc_u32_e32 v75, 28, v73
	v_sub_nc_u32_e32 v73, 29, v73
	v_lshlrev_b32_e32 v75, v75, v23
	v_lshlrev_b32_e32 v23, 24, v23
	v_cndmask_b32_e32 v73, v74, v73, vcc_lo
	v_and_b32_e32 v75, 7, v75
	v_and_b32_e32 v23, 0x80000000, v23
	v_lshl_add_u32 v73, v73, 23, 0x3b800000
	v_cndmask_b32_e32 v72, v72, v75, vcc_lo
	v_lshlrev_b32_e32 v72, 20, v72
	v_or3_b32 v72, v23, v73, v72
.LBB4_1307:                             ;   in Loop: Header=BB4_1295 Depth=2
	s_or_b32 exec_lo, exec_lo, s28
	v_add_f32_e32 v63, v63, v72
	v_and_b32_e32 v23, 0x7f800000, v63
	v_cmp_ne_u32_e32 vcc_lo, 0x7f800000, v23
	v_mov_b32_e32 v23, 0x80
	s_and_saveexec_b32 s28, vcc_lo
	s_cbranch_execz .LBB4_1315
; %bb.1308:                             ;   in Loop: Header=BB4_1295 Depth=2
	v_mov_b32_e32 v23, 0
	s_mov_b32 s29, exec_lo
	v_cmpx_ne_u32_e32 0, v63
	s_cbranch_execz .LBB4_1314
; %bb.1309:                             ;   in Loop: Header=BB4_1295 Depth=2
	v_bfe_u32 v23, v63, 23, 8
	v_and_b32_e32 v72, 0x7fffff, v63
	v_sub_nc_u32_e32 v73, 0x78, v23
	v_cmp_gt_u32_e32 vcc_lo, 0x79, v23
	v_or_b32_e32 v74, 0x800000, v72
	v_cndmask_b32_e32 v73, 0, v73, vcc_lo
	v_cmp_eq_u32_e32 vcc_lo, 0, v23
	v_add_nc_u32_e32 v23, 0xffffff89, v23
	v_cndmask_b32_e64 v73, v73, 0x77, vcc_lo
	v_cndmask_b32_e32 v72, v74, v72, vcc_lo
	v_cndmask_b32_e64 v23, v23, 0xffffff8a, vcc_lo
	v_lshl_add_u32 v74, 0x100000, v73, -1
	v_lshrrev_b32_e32 v75, v73, v72
	v_lshlrev_b32_e64 v77, v73, 0x80000
	v_add_nc_u32_e32 v73, v73, v23
	v_and_b32_e32 v72, v74, v72
	v_bfe_u32 v76, v75, 20, 1
	v_cmp_eq_u32_e64 s13, v72, v77
	v_add_nc_u32_e32 v74, -1, v76
	v_cndmask_b32_e64 v72, 0, v74, s13
	v_lshrrev_b32_e32 v74, 23, v75
	s_mov_b32 s13, exec_lo
	v_add_nc_u32_e32 v72, v72, v75
	v_xor_b32_e32 v74, 1, v74
	v_and_b32_e32 v23, 0xfffff, v72
	v_add_nc_u32_e32 v72, v23, v75
                                        ; implicit-def: $vgpr23
	v_cmpx_ne_u32_e64 v73, v74
	s_xor_b32 s13, exec_lo, s13
; %bb.1310:                             ;   in Loop: Header=BB4_1295 Depth=2
	v_cmp_lt_u32_e32 vcc_lo, 0xffffff, v72
	v_sub_nc_u32_e32 v23, v73, v74
	v_cndmask_b32_e64 v73, 0, 1, vcc_lo
	v_add_co_ci_u32_e64 v23, null, 0, v23, vcc_lo
	v_lshrrev_b32_e32 v72, v73, v72
; %bb.1311:                             ;   in Loop: Header=BB4_1295 Depth=2
	s_andn2_saveexec_b32 s13, s13
; %bb.1312:                             ;   in Loop: Header=BB4_1295 Depth=2
	v_bfe_u32 v23, v72, 23, 1
; %bb.1313:                             ;   in Loop: Header=BB4_1295 Depth=2
	s_or_b32 exec_lo, exec_lo, s13
	v_lshrrev_b32_e32 v72, 20, v72
	v_cmp_gt_i32_e32 vcc_lo, 16, v23
	v_min_i32_e32 v73, 15, v23
	v_and_b32_sdwa v63, v63, v114 dst_sel:DWORD dst_unused:UNUSED_PAD src0_sel:BYTE_3 src1_sel:DWORD
	v_cndmask_b32_e32 v72, 7, v72, vcc_lo
	v_lshlrev_b32_e32 v73, 3, v73
	v_and_b32_e32 v74, 7, v72
	v_or_b32_e32 v23, v23, v72
	v_or3_b32 v63, v73, v63, v74
	v_cmp_ne_u32_e32 vcc_lo, 0, v23
	v_cndmask_b32_e32 v23, 0, v63, vcc_lo
.LBB4_1314:                             ;   in Loop: Header=BB4_1295 Depth=2
	s_or_b32 exec_lo, exec_lo, s29
.LBB4_1315:                             ;   in Loop: Header=BB4_1295 Depth=2
	s_or_b32 exec_lo, exec_lo, s28
	v_cmp_gt_i16_sdwa s28, v62, v101 src0_sel:BYTE_0 src1_sel:DWORD
	s_mov_b32 s13, 0
	s_and_saveexec_b32 s29, s28
	s_xor_b32 s28, exec_lo, s29
	s_cbranch_execz .LBB4_1617
; %bb.1316:                             ;   in Loop: Header=BB4_1295 Depth=2
	v_cmp_eq_u16_sdwa s40, v62, v114 src0_sel:BYTE_0 src1_sel:DWORD
	s_mov_b32 s13, -1
	s_and_saveexec_b32 s29, s40
; %bb.1317:                             ;   in Loop: Header=BB4_1295 Depth=2
	s_xor_b32 s13, exec_lo, -1
; %bb.1318:                             ;   in Loop: Header=BB4_1295 Depth=2
	s_or_b32 exec_lo, exec_lo, s29
	s_and_b32 s13, s13, exec_lo
	s_or_saveexec_b32 s28, s28
	v_mov_b32_e32 v63, 0x7f800001
	s_xor_b32 exec_lo, exec_lo, s28
	s_cbranch_execnz .LBB4_1618
.LBB4_1319:                             ;   in Loop: Header=BB4_1295 Depth=2
	s_or_b32 exec_lo, exec_lo, s28
	s_and_saveexec_b32 s28, s13
	s_cbranch_execz .LBB4_1321
.LBB4_1320:                             ;   in Loop: Header=BB4_1295 Depth=2
	v_and_b32_e32 v63, 7, v62
	v_lshrrev_b16 v73, 3, v62
	v_ffbh_u32_e32 v72, v63
	v_and_b32_e32 v73, 15, v73
	v_min_u32_e32 v72, 32, v72
	v_cmp_eq_u32_e32 vcc_lo, 0, v73
	v_subrev_nc_u32_e32 v74, 28, v72
	v_sub_nc_u32_e32 v72, 29, v72
	v_lshlrev_b32_e32 v74, v74, v62
	v_lshlrev_b32_e32 v62, 24, v62
	v_cndmask_b32_e32 v72, v73, v72, vcc_lo
	v_and_b32_e32 v74, 7, v74
	v_and_b32_e32 v62, 0x80000000, v62
	v_lshl_add_u32 v72, v72, 23, 0x3b800000
	v_cndmask_b32_e32 v63, v63, v74, vcc_lo
	v_lshlrev_b32_e32 v63, 20, v63
	v_or3_b32 v63, v62, v72, v63
.LBB4_1321:                             ;   in Loop: Header=BB4_1295 Depth=2
	s_or_b32 exec_lo, exec_lo, s28
	s_waitcnt vmcnt(14) lgkmcnt(14)
	v_cmp_gt_i16_sdwa s28, v66, v101 src0_sel:BYTE_0 src1_sel:DWORD
	s_mov_b32 s13, 0
	s_and_saveexec_b32 s29, s28
	s_xor_b32 s28, exec_lo, s29
	s_cbranch_execz .LBB4_1619
; %bb.1322:                             ;   in Loop: Header=BB4_1295 Depth=2
	v_cmp_eq_u16_sdwa s40, v66, v114 src0_sel:BYTE_0 src1_sel:DWORD
	s_mov_b32 s13, -1
	s_and_saveexec_b32 s29, s40
; %bb.1323:                             ;   in Loop: Header=BB4_1295 Depth=2
	s_xor_b32 s13, exec_lo, -1
; %bb.1324:                             ;   in Loop: Header=BB4_1295 Depth=2
	s_or_b32 exec_lo, exec_lo, s29
	s_and_b32 s13, s13, exec_lo
	s_or_saveexec_b32 s28, s28
	v_mov_b32_e32 v62, 0x7f800001
	s_xor_b32 exec_lo, exec_lo, s28
	s_cbranch_execnz .LBB4_1620
.LBB4_1325:                             ;   in Loop: Header=BB4_1295 Depth=2
	s_or_b32 exec_lo, exec_lo, s28
	s_and_saveexec_b32 s28, s13
	s_cbranch_execz .LBB4_1327
.LBB4_1326:                             ;   in Loop: Header=BB4_1295 Depth=2
	v_and_b32_e32 v62, 7, v66
	v_lshrrev_b16 v73, 3, v66
	v_ffbh_u32_e32 v72, v62
	v_and_b32_e32 v73, 15, v73
	v_min_u32_e32 v72, 32, v72
	v_cmp_eq_u32_e32 vcc_lo, 0, v73
	v_subrev_nc_u32_e32 v74, 28, v72
	v_sub_nc_u32_e32 v72, 29, v72
	v_lshlrev_b32_e32 v74, v74, v66
	v_lshlrev_b32_e32 v66, 24, v66
	v_cndmask_b32_e32 v72, v73, v72, vcc_lo
	v_and_b32_e32 v74, 7, v74
	v_and_b32_e32 v66, 0x80000000, v66
	v_lshl_add_u32 v72, v72, 23, 0x3b800000
	v_cndmask_b32_e32 v62, v62, v74, vcc_lo
	v_lshlrev_b32_e32 v62, 20, v62
	v_or3_b32 v62, v66, v72, v62
.LBB4_1327:                             ;   in Loop: Header=BB4_1295 Depth=2
	s_or_b32 exec_lo, exec_lo, s28
	v_add_f32_e32 v62, v63, v62
	v_and_b32_e32 v66, 0x7f800000, v62
	v_cmp_ne_u32_e32 vcc_lo, 0x7f800000, v66
	v_mov_b32_e32 v66, 0x80
	s_and_saveexec_b32 s28, vcc_lo
	s_cbranch_execz .LBB4_1335
; %bb.1328:                             ;   in Loop: Header=BB4_1295 Depth=2
	v_mov_b32_e32 v66, 0
	s_mov_b32 s29, exec_lo
	v_cmpx_ne_u32_e32 0, v62
	s_cbranch_execz .LBB4_1334
; %bb.1329:                             ;   in Loop: Header=BB4_1295 Depth=2
	v_bfe_u32 v66, v62, 23, 8
	v_and_b32_e32 v63, 0x7fffff, v62
	v_sub_nc_u32_e32 v72, 0x78, v66
	v_cmp_gt_u32_e32 vcc_lo, 0x79, v66
	v_or_b32_e32 v73, 0x800000, v63
	v_cndmask_b32_e32 v72, 0, v72, vcc_lo
	v_cmp_eq_u32_e32 vcc_lo, 0, v66
	v_add_nc_u32_e32 v66, 0xffffff89, v66
	v_cndmask_b32_e64 v72, v72, 0x77, vcc_lo
	v_cndmask_b32_e32 v63, v73, v63, vcc_lo
	v_cndmask_b32_e64 v66, v66, 0xffffff8a, vcc_lo
	v_lshl_add_u32 v73, 0x100000, v72, -1
	v_lshrrev_b32_e32 v74, v72, v63
	v_lshlrev_b32_e64 v76, v72, 0x80000
	v_add_nc_u32_e32 v72, v72, v66
	v_and_b32_e32 v63, v73, v63
	v_bfe_u32 v75, v74, 20, 1
	v_cmp_eq_u32_e64 s13, v63, v76
	v_add_nc_u32_e32 v73, -1, v75
	v_cndmask_b32_e64 v63, 0, v73, s13
	v_lshrrev_b32_e32 v73, 23, v74
	s_mov_b32 s13, exec_lo
	v_add_nc_u32_e32 v63, v63, v74
	v_xor_b32_e32 v73, 1, v73
	v_and_b32_e32 v66, 0xfffff, v63
	v_add_nc_u32_e32 v63, v66, v74
                                        ; implicit-def: $vgpr66
	v_cmpx_ne_u32_e64 v72, v73
	s_xor_b32 s13, exec_lo, s13
; %bb.1330:                             ;   in Loop: Header=BB4_1295 Depth=2
	v_cmp_lt_u32_e32 vcc_lo, 0xffffff, v63
	v_sub_nc_u32_e32 v66, v72, v73
	v_cndmask_b32_e64 v72, 0, 1, vcc_lo
	v_add_co_ci_u32_e64 v66, null, 0, v66, vcc_lo
	v_lshrrev_b32_e32 v63, v72, v63
; %bb.1331:                             ;   in Loop: Header=BB4_1295 Depth=2
	s_andn2_saveexec_b32 s13, s13
; %bb.1332:                             ;   in Loop: Header=BB4_1295 Depth=2
	v_bfe_u32 v66, v63, 23, 1
; %bb.1333:                             ;   in Loop: Header=BB4_1295 Depth=2
	s_or_b32 exec_lo, exec_lo, s13
	v_lshrrev_b32_e32 v63, 20, v63
	v_cmp_gt_i32_e32 vcc_lo, 16, v66
	v_min_i32_e32 v72, 15, v66
	v_and_b32_sdwa v62, v62, v114 dst_sel:DWORD dst_unused:UNUSED_PAD src0_sel:BYTE_3 src1_sel:DWORD
	v_cndmask_b32_e32 v63, 7, v63, vcc_lo
	v_lshlrev_b32_e32 v72, 3, v72
	v_and_b32_e32 v73, 7, v63
	v_or_b32_e32 v66, v66, v63
	v_or3_b32 v62, v72, v62, v73
	v_cmp_ne_u32_e32 vcc_lo, 0, v66
	v_cndmask_b32_e32 v66, 0, v62, vcc_lo
.LBB4_1334:                             ;   in Loop: Header=BB4_1295 Depth=2
	s_or_b32 exec_lo, exec_lo, s29
.LBB4_1335:                             ;   in Loop: Header=BB4_1295 Depth=2
	s_or_b32 exec_lo, exec_lo, s28
	v_cmp_gt_i16_sdwa s28, v61, v101 src0_sel:BYTE_0 src1_sel:DWORD
	s_mov_b32 s13, 0
	s_and_saveexec_b32 s29, s28
	s_xor_b32 s28, exec_lo, s29
	s_cbranch_execz .LBB4_1621
; %bb.1336:                             ;   in Loop: Header=BB4_1295 Depth=2
	v_cmp_eq_u16_sdwa s40, v61, v114 src0_sel:BYTE_0 src1_sel:DWORD
	s_mov_b32 s13, -1
	s_and_saveexec_b32 s29, s40
; %bb.1337:                             ;   in Loop: Header=BB4_1295 Depth=2
	s_xor_b32 s13, exec_lo, -1
; %bb.1338:                             ;   in Loop: Header=BB4_1295 Depth=2
	s_or_b32 exec_lo, exec_lo, s29
	s_and_b32 s13, s13, exec_lo
	s_or_saveexec_b32 s28, s28
	v_mov_b32_e32 v62, 0x7f800001
	s_xor_b32 exec_lo, exec_lo, s28
	s_cbranch_execnz .LBB4_1622
.LBB4_1339:                             ;   in Loop: Header=BB4_1295 Depth=2
	s_or_b32 exec_lo, exec_lo, s28
	s_and_saveexec_b32 s28, s13
	s_cbranch_execz .LBB4_1341
.LBB4_1340:                             ;   in Loop: Header=BB4_1295 Depth=2
	v_and_b32_e32 v62, 7, v61
	v_lshrrev_b16 v72, 3, v61
	v_ffbh_u32_e32 v63, v62
	v_and_b32_e32 v72, 15, v72
	v_min_u32_e32 v63, 32, v63
	v_cmp_eq_u32_e32 vcc_lo, 0, v72
	v_subrev_nc_u32_e32 v73, 28, v63
	v_sub_nc_u32_e32 v63, 29, v63
	v_lshlrev_b32_e32 v73, v73, v61
	v_lshlrev_b32_e32 v61, 24, v61
	v_cndmask_b32_e32 v63, v72, v63, vcc_lo
	v_and_b32_e32 v73, 7, v73
	v_and_b32_e32 v61, 0x80000000, v61
	v_lshl_add_u32 v63, v63, 23, 0x3b800000
	v_cndmask_b32_e32 v62, v62, v73, vcc_lo
	v_lshlrev_b32_e32 v62, 20, v62
	v_or3_b32 v62, v61, v63, v62
.LBB4_1341:                             ;   in Loop: Header=BB4_1295 Depth=2
	s_or_b32 exec_lo, exec_lo, s28
	s_waitcnt vmcnt(13) lgkmcnt(13)
	v_cmp_gt_i16_sdwa s28, v69, v101 src0_sel:BYTE_0 src1_sel:DWORD
	s_mov_b32 s13, 0
	s_and_saveexec_b32 s29, s28
	s_xor_b32 s28, exec_lo, s29
	s_cbranch_execz .LBB4_1623
; %bb.1342:                             ;   in Loop: Header=BB4_1295 Depth=2
	v_cmp_eq_u16_sdwa s40, v69, v114 src0_sel:BYTE_0 src1_sel:DWORD
	s_mov_b32 s13, -1
	s_and_saveexec_b32 s29, s40
; %bb.1343:                             ;   in Loop: Header=BB4_1295 Depth=2
	s_xor_b32 s13, exec_lo, -1
; %bb.1344:                             ;   in Loop: Header=BB4_1295 Depth=2
	s_or_b32 exec_lo, exec_lo, s29
	s_and_b32 s13, s13, exec_lo
	s_or_saveexec_b32 s28, s28
	v_mov_b32_e32 v61, 0x7f800001
	s_xor_b32 exec_lo, exec_lo, s28
	s_cbranch_execnz .LBB4_1624
.LBB4_1345:                             ;   in Loop: Header=BB4_1295 Depth=2
	s_or_b32 exec_lo, exec_lo, s28
	s_and_saveexec_b32 s28, s13
	s_cbranch_execz .LBB4_1347
.LBB4_1346:                             ;   in Loop: Header=BB4_1295 Depth=2
	v_and_b32_e32 v61, 7, v69
	v_lshrrev_b16 v72, 3, v69
	v_ffbh_u32_e32 v63, v61
	v_and_b32_e32 v72, 15, v72
	v_min_u32_e32 v63, 32, v63
	v_cmp_eq_u32_e32 vcc_lo, 0, v72
	v_subrev_nc_u32_e32 v73, 28, v63
	v_sub_nc_u32_e32 v63, 29, v63
	v_lshlrev_b32_e32 v73, v73, v69
	v_lshlrev_b32_e32 v69, 24, v69
	v_cndmask_b32_e32 v63, v72, v63, vcc_lo
	v_and_b32_e32 v73, 7, v73
	v_and_b32_e32 v69, 0x80000000, v69
	v_lshl_add_u32 v63, v63, 23, 0x3b800000
	v_cndmask_b32_e32 v61, v61, v73, vcc_lo
	v_lshlrev_b32_e32 v61, 20, v61
	v_or3_b32 v61, v69, v63, v61
.LBB4_1347:                             ;   in Loop: Header=BB4_1295 Depth=2
	s_or_b32 exec_lo, exec_lo, s28
	v_add_f32_e32 v61, v62, v61
	v_and_b32_e32 v69, 0x7f800000, v61
	v_cmp_ne_u32_e32 vcc_lo, 0x7f800000, v69
	v_mov_b32_e32 v69, 0x80
	s_and_saveexec_b32 s28, vcc_lo
	s_cbranch_execz .LBB4_1355
; %bb.1348:                             ;   in Loop: Header=BB4_1295 Depth=2
	v_mov_b32_e32 v69, 0
	s_mov_b32 s29, exec_lo
	v_cmpx_ne_u32_e32 0, v61
	s_cbranch_execz .LBB4_1354
; %bb.1349:                             ;   in Loop: Header=BB4_1295 Depth=2
	v_bfe_u32 v69, v61, 23, 8
	v_and_b32_e32 v62, 0x7fffff, v61
	v_sub_nc_u32_e32 v63, 0x78, v69
	v_cmp_gt_u32_e32 vcc_lo, 0x79, v69
	v_or_b32_e32 v72, 0x800000, v62
	v_cndmask_b32_e32 v63, 0, v63, vcc_lo
	v_cmp_eq_u32_e32 vcc_lo, 0, v69
	v_add_nc_u32_e32 v69, 0xffffff89, v69
	v_cndmask_b32_e64 v63, v63, 0x77, vcc_lo
	v_cndmask_b32_e32 v62, v72, v62, vcc_lo
	v_cndmask_b32_e64 v69, v69, 0xffffff8a, vcc_lo
	v_lshl_add_u32 v72, 0x100000, v63, -1
	v_lshrrev_b32_e32 v73, v63, v62
	v_lshlrev_b32_e64 v75, v63, 0x80000
	v_add_nc_u32_e32 v63, v63, v69
	v_and_b32_e32 v62, v72, v62
	v_bfe_u32 v74, v73, 20, 1
	v_cmp_eq_u32_e64 s13, v62, v75
	v_add_nc_u32_e32 v72, -1, v74
	v_cndmask_b32_e64 v62, 0, v72, s13
	v_lshrrev_b32_e32 v72, 23, v73
	s_mov_b32 s13, exec_lo
	v_add_nc_u32_e32 v62, v62, v73
	v_xor_b32_e32 v72, 1, v72
	v_and_b32_e32 v69, 0xfffff, v62
	v_add_nc_u32_e32 v62, v69, v73
                                        ; implicit-def: $vgpr69
	v_cmpx_ne_u32_e64 v63, v72
	s_xor_b32 s13, exec_lo, s13
; %bb.1350:                             ;   in Loop: Header=BB4_1295 Depth=2
	v_cmp_lt_u32_e32 vcc_lo, 0xffffff, v62
	v_sub_nc_u32_e32 v69, v63, v72
	v_cndmask_b32_e64 v63, 0, 1, vcc_lo
	v_add_co_ci_u32_e64 v69, null, 0, v69, vcc_lo
	v_lshrrev_b32_e32 v62, v63, v62
; %bb.1351:                             ;   in Loop: Header=BB4_1295 Depth=2
	s_andn2_saveexec_b32 s13, s13
; %bb.1352:                             ;   in Loop: Header=BB4_1295 Depth=2
	v_bfe_u32 v69, v62, 23, 1
; %bb.1353:                             ;   in Loop: Header=BB4_1295 Depth=2
	s_or_b32 exec_lo, exec_lo, s13
	v_lshrrev_b32_e32 v62, 20, v62
	v_cmp_gt_i32_e32 vcc_lo, 16, v69
	v_min_i32_e32 v63, 15, v69
	v_and_b32_sdwa v61, v61, v114 dst_sel:DWORD dst_unused:UNUSED_PAD src0_sel:BYTE_3 src1_sel:DWORD
	v_cndmask_b32_e32 v62, 7, v62, vcc_lo
	v_lshlrev_b32_e32 v63, 3, v63
	v_and_b32_e32 v72, 7, v62
	v_or_b32_e32 v69, v69, v62
	v_or3_b32 v61, v63, v61, v72
	v_cmp_ne_u32_e32 vcc_lo, 0, v69
	v_cndmask_b32_e32 v69, 0, v61, vcc_lo
.LBB4_1354:                             ;   in Loop: Header=BB4_1295 Depth=2
	s_or_b32 exec_lo, exec_lo, s29
.LBB4_1355:                             ;   in Loop: Header=BB4_1295 Depth=2
	s_or_b32 exec_lo, exec_lo, s28
	v_cmp_gt_i16_sdwa s28, v60, v101 src0_sel:BYTE_0 src1_sel:DWORD
	s_mov_b32 s13, 0
	s_and_saveexec_b32 s29, s28
	s_xor_b32 s28, exec_lo, s29
	s_cbranch_execz .LBB4_1625
; %bb.1356:                             ;   in Loop: Header=BB4_1295 Depth=2
	v_cmp_eq_u16_sdwa s40, v60, v114 src0_sel:BYTE_0 src1_sel:DWORD
	s_mov_b32 s13, -1
	s_and_saveexec_b32 s29, s40
; %bb.1357:                             ;   in Loop: Header=BB4_1295 Depth=2
	s_xor_b32 s13, exec_lo, -1
; %bb.1358:                             ;   in Loop: Header=BB4_1295 Depth=2
	s_or_b32 exec_lo, exec_lo, s29
	s_and_b32 s13, s13, exec_lo
	s_or_saveexec_b32 s28, s28
	v_mov_b32_e32 v61, 0x7f800001
	s_xor_b32 exec_lo, exec_lo, s28
	s_cbranch_execnz .LBB4_1626
.LBB4_1359:                             ;   in Loop: Header=BB4_1295 Depth=2
	s_or_b32 exec_lo, exec_lo, s28
	s_and_saveexec_b32 s28, s13
	s_cbranch_execz .LBB4_1361
.LBB4_1360:                             ;   in Loop: Header=BB4_1295 Depth=2
	v_and_b32_e32 v61, 7, v60
	v_lshrrev_b16 v63, 3, v60
	v_ffbh_u32_e32 v62, v61
	v_and_b32_e32 v63, 15, v63
	v_min_u32_e32 v62, 32, v62
	v_cmp_eq_u32_e32 vcc_lo, 0, v63
	v_subrev_nc_u32_e32 v72, 28, v62
	v_sub_nc_u32_e32 v62, 29, v62
	v_lshlrev_b32_e32 v72, v72, v60
	v_lshlrev_b32_e32 v60, 24, v60
	v_cndmask_b32_e32 v62, v63, v62, vcc_lo
	v_and_b32_e32 v72, 7, v72
	v_and_b32_e32 v60, 0x80000000, v60
	v_lshl_add_u32 v62, v62, 23, 0x3b800000
	v_cndmask_b32_e32 v61, v61, v72, vcc_lo
	v_lshlrev_b32_e32 v61, 20, v61
	v_or3_b32 v61, v60, v62, v61
.LBB4_1361:                             ;   in Loop: Header=BB4_1295 Depth=2
	s_or_b32 exec_lo, exec_lo, s28
	s_waitcnt vmcnt(12) lgkmcnt(12)
	v_cmp_gt_i16_sdwa s28, v80, v101 src0_sel:BYTE_0 src1_sel:DWORD
	s_mov_b32 s13, 0
	s_and_saveexec_b32 s29, s28
	s_xor_b32 s28, exec_lo, s29
	s_cbranch_execz .LBB4_1627
; %bb.1362:                             ;   in Loop: Header=BB4_1295 Depth=2
	v_cmp_eq_u16_sdwa s40, v80, v114 src0_sel:BYTE_0 src1_sel:DWORD
	s_mov_b32 s13, -1
	s_and_saveexec_b32 s29, s40
; %bb.1363:                             ;   in Loop: Header=BB4_1295 Depth=2
	s_xor_b32 s13, exec_lo, -1
; %bb.1364:                             ;   in Loop: Header=BB4_1295 Depth=2
	s_or_b32 exec_lo, exec_lo, s29
	s_and_b32 s13, s13, exec_lo
	s_or_saveexec_b32 s28, s28
	v_mov_b32_e32 v60, 0x7f800001
	s_xor_b32 exec_lo, exec_lo, s28
	s_cbranch_execnz .LBB4_1628
.LBB4_1365:                             ;   in Loop: Header=BB4_1295 Depth=2
	s_or_b32 exec_lo, exec_lo, s28
	s_and_saveexec_b32 s28, s13
	s_cbranch_execz .LBB4_1367
.LBB4_1366:                             ;   in Loop: Header=BB4_1295 Depth=2
	v_and_b32_e32 v60, 7, v80
	v_lshrrev_b16 v63, 3, v80
	v_ffbh_u32_e32 v62, v60
	v_and_b32_e32 v63, 15, v63
	v_min_u32_e32 v62, 32, v62
	v_cmp_eq_u32_e32 vcc_lo, 0, v63
	v_subrev_nc_u32_e32 v72, 28, v62
	v_sub_nc_u32_e32 v62, 29, v62
	v_lshlrev_b32_e32 v72, v72, v80
	v_lshlrev_b32_e32 v80, 24, v80
	v_cndmask_b32_e32 v62, v63, v62, vcc_lo
	v_and_b32_e32 v72, 7, v72
	v_and_b32_e32 v80, 0x80000000, v80
	v_lshl_add_u32 v62, v62, 23, 0x3b800000
	v_cndmask_b32_e32 v60, v60, v72, vcc_lo
	v_lshlrev_b32_e32 v60, 20, v60
	v_or3_b32 v60, v80, v62, v60
.LBB4_1367:                             ;   in Loop: Header=BB4_1295 Depth=2
	s_or_b32 exec_lo, exec_lo, s28
	v_add_f32_e32 v60, v61, v60
	v_and_b32_e32 v80, 0x7f800000, v60
	v_cmp_ne_u32_e32 vcc_lo, 0x7f800000, v80
	v_mov_b32_e32 v80, 0x80
	s_and_saveexec_b32 s28, vcc_lo
	s_cbranch_execz .LBB4_1375
; %bb.1368:                             ;   in Loop: Header=BB4_1295 Depth=2
	v_mov_b32_e32 v80, 0
	s_mov_b32 s29, exec_lo
	v_cmpx_ne_u32_e32 0, v60
	s_cbranch_execz .LBB4_1374
; %bb.1369:                             ;   in Loop: Header=BB4_1295 Depth=2
	v_bfe_u32 v80, v60, 23, 8
	v_and_b32_e32 v61, 0x7fffff, v60
	v_sub_nc_u32_e32 v62, 0x78, v80
	v_cmp_gt_u32_e32 vcc_lo, 0x79, v80
	v_or_b32_e32 v63, 0x800000, v61
	v_cndmask_b32_e32 v62, 0, v62, vcc_lo
	v_cmp_eq_u32_e32 vcc_lo, 0, v80
	v_add_nc_u32_e32 v80, 0xffffff89, v80
	v_cndmask_b32_e64 v62, v62, 0x77, vcc_lo
	v_cndmask_b32_e32 v61, v63, v61, vcc_lo
	v_cndmask_b32_e64 v80, v80, 0xffffff8a, vcc_lo
	v_lshl_add_u32 v63, 0x100000, v62, -1
	v_lshrrev_b32_e32 v72, v62, v61
	v_lshlrev_b32_e64 v74, v62, 0x80000
	v_add_nc_u32_e32 v62, v62, v80
	v_and_b32_e32 v61, v63, v61
	v_bfe_u32 v73, v72, 20, 1
	v_cmp_eq_u32_e64 s13, v61, v74
	v_add_nc_u32_e32 v63, -1, v73
	v_cndmask_b32_e64 v61, 0, v63, s13
	v_lshrrev_b32_e32 v63, 23, v72
	s_mov_b32 s13, exec_lo
	v_add_nc_u32_e32 v61, v61, v72
	v_xor_b32_e32 v63, 1, v63
	v_and_b32_e32 v80, 0xfffff, v61
	v_add_nc_u32_e32 v61, v80, v72
                                        ; implicit-def: $vgpr80
	v_cmpx_ne_u32_e64 v62, v63
	s_xor_b32 s13, exec_lo, s13
; %bb.1370:                             ;   in Loop: Header=BB4_1295 Depth=2
	v_cmp_lt_u32_e32 vcc_lo, 0xffffff, v61
	v_sub_nc_u32_e32 v80, v62, v63
	v_cndmask_b32_e64 v62, 0, 1, vcc_lo
	v_add_co_ci_u32_e64 v80, null, 0, v80, vcc_lo
	v_lshrrev_b32_e32 v61, v62, v61
; %bb.1371:                             ;   in Loop: Header=BB4_1295 Depth=2
	s_andn2_saveexec_b32 s13, s13
; %bb.1372:                             ;   in Loop: Header=BB4_1295 Depth=2
	v_bfe_u32 v80, v61, 23, 1
; %bb.1373:                             ;   in Loop: Header=BB4_1295 Depth=2
	s_or_b32 exec_lo, exec_lo, s13
	v_lshrrev_b32_e32 v61, 20, v61
	v_cmp_gt_i32_e32 vcc_lo, 16, v80
	v_min_i32_e32 v62, 15, v80
	v_and_b32_sdwa v60, v60, v114 dst_sel:DWORD dst_unused:UNUSED_PAD src0_sel:BYTE_3 src1_sel:DWORD
	v_cndmask_b32_e32 v61, 7, v61, vcc_lo
	v_lshlrev_b32_e32 v62, 3, v62
	v_and_b32_e32 v63, 7, v61
	v_or_b32_e32 v80, v80, v61
	v_or3_b32 v60, v62, v60, v63
	v_cmp_ne_u32_e32 vcc_lo, 0, v80
	v_cndmask_b32_e32 v80, 0, v60, vcc_lo
.LBB4_1374:                             ;   in Loop: Header=BB4_1295 Depth=2
	s_or_b32 exec_lo, exec_lo, s29
.LBB4_1375:                             ;   in Loop: Header=BB4_1295 Depth=2
	s_or_b32 exec_lo, exec_lo, s28
	v_cmp_gt_i16_sdwa s28, v59, v101 src0_sel:BYTE_0 src1_sel:DWORD
	s_mov_b32 s13, 0
	s_and_saveexec_b32 s29, s28
	s_xor_b32 s28, exec_lo, s29
	s_cbranch_execz .LBB4_1629
; %bb.1376:                             ;   in Loop: Header=BB4_1295 Depth=2
	v_cmp_eq_u16_sdwa s40, v59, v114 src0_sel:BYTE_0 src1_sel:DWORD
	s_mov_b32 s13, -1
	s_and_saveexec_b32 s29, s40
; %bb.1377:                             ;   in Loop: Header=BB4_1295 Depth=2
	s_xor_b32 s13, exec_lo, -1
; %bb.1378:                             ;   in Loop: Header=BB4_1295 Depth=2
	s_or_b32 exec_lo, exec_lo, s29
	s_and_b32 s13, s13, exec_lo
	s_or_saveexec_b32 s28, s28
	v_mov_b32_e32 v60, 0x7f800001
	s_xor_b32 exec_lo, exec_lo, s28
	s_cbranch_execnz .LBB4_1630
.LBB4_1379:                             ;   in Loop: Header=BB4_1295 Depth=2
	s_or_b32 exec_lo, exec_lo, s28
	s_and_saveexec_b32 s28, s13
	s_cbranch_execz .LBB4_1381
.LBB4_1380:                             ;   in Loop: Header=BB4_1295 Depth=2
	v_and_b32_e32 v60, 7, v59
	v_lshrrev_b16 v62, 3, v59
	v_ffbh_u32_e32 v61, v60
	v_and_b32_e32 v62, 15, v62
	v_min_u32_e32 v61, 32, v61
	v_cmp_eq_u32_e32 vcc_lo, 0, v62
	v_subrev_nc_u32_e32 v63, 28, v61
	v_sub_nc_u32_e32 v61, 29, v61
	v_lshlrev_b32_e32 v63, v63, v59
	v_lshlrev_b32_e32 v59, 24, v59
	v_cndmask_b32_e32 v61, v62, v61, vcc_lo
	v_and_b32_e32 v63, 7, v63
	v_and_b32_e32 v59, 0x80000000, v59
	v_lshl_add_u32 v61, v61, 23, 0x3b800000
	v_cndmask_b32_e32 v60, v60, v63, vcc_lo
	v_lshlrev_b32_e32 v60, 20, v60
	v_or3_b32 v60, v59, v61, v60
.LBB4_1381:                             ;   in Loop: Header=BB4_1295 Depth=2
	s_or_b32 exec_lo, exec_lo, s28
	s_waitcnt vmcnt(11) lgkmcnt(11)
	v_cmp_gt_i16_sdwa s28, v83, v101 src0_sel:BYTE_0 src1_sel:DWORD
	s_mov_b32 s13, 0
	s_and_saveexec_b32 s29, s28
	s_xor_b32 s28, exec_lo, s29
	s_cbranch_execz .LBB4_1631
; %bb.1382:                             ;   in Loop: Header=BB4_1295 Depth=2
	v_cmp_eq_u16_sdwa s40, v83, v114 src0_sel:BYTE_0 src1_sel:DWORD
	s_mov_b32 s13, -1
	s_and_saveexec_b32 s29, s40
; %bb.1383:                             ;   in Loop: Header=BB4_1295 Depth=2
	s_xor_b32 s13, exec_lo, -1
; %bb.1384:                             ;   in Loop: Header=BB4_1295 Depth=2
	s_or_b32 exec_lo, exec_lo, s29
	s_and_b32 s13, s13, exec_lo
	s_or_saveexec_b32 s28, s28
	v_mov_b32_e32 v59, 0x7f800001
	s_xor_b32 exec_lo, exec_lo, s28
	s_cbranch_execnz .LBB4_1632
.LBB4_1385:                             ;   in Loop: Header=BB4_1295 Depth=2
	s_or_b32 exec_lo, exec_lo, s28
	s_and_saveexec_b32 s28, s13
	s_cbranch_execz .LBB4_1387
.LBB4_1386:                             ;   in Loop: Header=BB4_1295 Depth=2
	v_and_b32_e32 v59, 7, v83
	v_lshrrev_b16 v62, 3, v83
	v_ffbh_u32_e32 v61, v59
	v_and_b32_e32 v62, 15, v62
	v_min_u32_e32 v61, 32, v61
	v_cmp_eq_u32_e32 vcc_lo, 0, v62
	v_subrev_nc_u32_e32 v63, 28, v61
	v_sub_nc_u32_e32 v61, 29, v61
	v_lshlrev_b32_e32 v63, v63, v83
	v_lshlrev_b32_e32 v83, 24, v83
	v_cndmask_b32_e32 v61, v62, v61, vcc_lo
	v_and_b32_e32 v63, 7, v63
	v_and_b32_e32 v83, 0x80000000, v83
	v_lshl_add_u32 v61, v61, 23, 0x3b800000
	v_cndmask_b32_e32 v59, v59, v63, vcc_lo
	v_lshlrev_b32_e32 v59, 20, v59
	v_or3_b32 v59, v83, v61, v59
.LBB4_1387:                             ;   in Loop: Header=BB4_1295 Depth=2
	s_or_b32 exec_lo, exec_lo, s28
	v_add_f32_e32 v59, v60, v59
	v_and_b32_e32 v83, 0x7f800000, v59
	v_cmp_ne_u32_e32 vcc_lo, 0x7f800000, v83
	v_mov_b32_e32 v83, 0x80
	s_and_saveexec_b32 s28, vcc_lo
	s_cbranch_execz .LBB4_1395
; %bb.1388:                             ;   in Loop: Header=BB4_1295 Depth=2
	v_mov_b32_e32 v83, 0
	s_mov_b32 s29, exec_lo
	v_cmpx_ne_u32_e32 0, v59
	s_cbranch_execz .LBB4_1394
; %bb.1389:                             ;   in Loop: Header=BB4_1295 Depth=2
	v_bfe_u32 v83, v59, 23, 8
	v_and_b32_e32 v60, 0x7fffff, v59
	v_sub_nc_u32_e32 v61, 0x78, v83
	v_cmp_gt_u32_e32 vcc_lo, 0x79, v83
	v_or_b32_e32 v62, 0x800000, v60
	v_cndmask_b32_e32 v61, 0, v61, vcc_lo
	v_cmp_eq_u32_e32 vcc_lo, 0, v83
	v_add_nc_u32_e32 v83, 0xffffff89, v83
	v_cndmask_b32_e64 v61, v61, 0x77, vcc_lo
	v_cndmask_b32_e32 v60, v62, v60, vcc_lo
	v_cndmask_b32_e64 v83, v83, 0xffffff8a, vcc_lo
	v_lshl_add_u32 v62, 0x100000, v61, -1
	v_lshrrev_b32_e32 v63, v61, v60
	v_lshlrev_b32_e64 v73, v61, 0x80000
	v_add_nc_u32_e32 v61, v61, v83
	v_and_b32_e32 v60, v62, v60
	v_bfe_u32 v72, v63, 20, 1
	v_cmp_eq_u32_e64 s13, v60, v73
	v_add_nc_u32_e32 v62, -1, v72
	v_cndmask_b32_e64 v60, 0, v62, s13
	v_lshrrev_b32_e32 v62, 23, v63
	s_mov_b32 s13, exec_lo
	v_add_nc_u32_e32 v60, v60, v63
	v_xor_b32_e32 v62, 1, v62
	v_and_b32_e32 v83, 0xfffff, v60
	v_add_nc_u32_e32 v60, v83, v63
                                        ; implicit-def: $vgpr83
	v_cmpx_ne_u32_e64 v61, v62
	s_xor_b32 s13, exec_lo, s13
; %bb.1390:                             ;   in Loop: Header=BB4_1295 Depth=2
	v_cmp_lt_u32_e32 vcc_lo, 0xffffff, v60
	v_sub_nc_u32_e32 v83, v61, v62
	v_cndmask_b32_e64 v61, 0, 1, vcc_lo
	v_add_co_ci_u32_e64 v83, null, 0, v83, vcc_lo
	v_lshrrev_b32_e32 v60, v61, v60
; %bb.1391:                             ;   in Loop: Header=BB4_1295 Depth=2
	s_andn2_saveexec_b32 s13, s13
; %bb.1392:                             ;   in Loop: Header=BB4_1295 Depth=2
	v_bfe_u32 v83, v60, 23, 1
; %bb.1393:                             ;   in Loop: Header=BB4_1295 Depth=2
	s_or_b32 exec_lo, exec_lo, s13
	v_lshrrev_b32_e32 v60, 20, v60
	v_cmp_gt_i32_e32 vcc_lo, 16, v83
	v_min_i32_e32 v61, 15, v83
	v_and_b32_sdwa v59, v59, v114 dst_sel:DWORD dst_unused:UNUSED_PAD src0_sel:BYTE_3 src1_sel:DWORD
	v_cndmask_b32_e32 v60, 7, v60, vcc_lo
	v_lshlrev_b32_e32 v61, 3, v61
	v_and_b32_e32 v62, 7, v60
	v_or_b32_e32 v83, v83, v60
	v_or3_b32 v59, v61, v59, v62
	v_cmp_ne_u32_e32 vcc_lo, 0, v83
	v_cndmask_b32_e32 v83, 0, v59, vcc_lo
.LBB4_1394:                             ;   in Loop: Header=BB4_1295 Depth=2
	s_or_b32 exec_lo, exec_lo, s29
.LBB4_1395:                             ;   in Loop: Header=BB4_1295 Depth=2
	s_or_b32 exec_lo, exec_lo, s28
	v_cmp_gt_i16_sdwa s28, v58, v101 src0_sel:BYTE_0 src1_sel:DWORD
	s_mov_b32 s13, 0
	s_and_saveexec_b32 s29, s28
	s_xor_b32 s28, exec_lo, s29
	s_cbranch_execz .LBB4_1633
; %bb.1396:                             ;   in Loop: Header=BB4_1295 Depth=2
	v_cmp_eq_u16_sdwa s40, v58, v114 src0_sel:BYTE_0 src1_sel:DWORD
	s_mov_b32 s13, -1
	s_and_saveexec_b32 s29, s40
; %bb.1397:                             ;   in Loop: Header=BB4_1295 Depth=2
	s_xor_b32 s13, exec_lo, -1
; %bb.1398:                             ;   in Loop: Header=BB4_1295 Depth=2
	s_or_b32 exec_lo, exec_lo, s29
	s_and_b32 s13, s13, exec_lo
	s_or_saveexec_b32 s28, s28
	v_mov_b32_e32 v59, 0x7f800001
	s_xor_b32 exec_lo, exec_lo, s28
	s_cbranch_execnz .LBB4_1634
.LBB4_1399:                             ;   in Loop: Header=BB4_1295 Depth=2
	s_or_b32 exec_lo, exec_lo, s28
	s_and_saveexec_b32 s28, s13
	s_cbranch_execz .LBB4_1401
.LBB4_1400:                             ;   in Loop: Header=BB4_1295 Depth=2
	v_and_b32_e32 v59, 7, v58
	v_lshrrev_b16 v61, 3, v58
	v_ffbh_u32_e32 v60, v59
	v_and_b32_e32 v61, 15, v61
	v_min_u32_e32 v60, 32, v60
	v_cmp_eq_u32_e32 vcc_lo, 0, v61
	v_subrev_nc_u32_e32 v62, 28, v60
	v_sub_nc_u32_e32 v60, 29, v60
	v_lshlrev_b32_e32 v62, v62, v58
	v_lshlrev_b32_e32 v58, 24, v58
	v_cndmask_b32_e32 v60, v61, v60, vcc_lo
	v_and_b32_e32 v62, 7, v62
	v_and_b32_e32 v58, 0x80000000, v58
	v_lshl_add_u32 v60, v60, 23, 0x3b800000
	v_cndmask_b32_e32 v59, v59, v62, vcc_lo
	v_lshlrev_b32_e32 v59, 20, v59
	v_or3_b32 v59, v58, v60, v59
.LBB4_1401:                             ;   in Loop: Header=BB4_1295 Depth=2
	s_or_b32 exec_lo, exec_lo, s28
	s_waitcnt vmcnt(10) lgkmcnt(10)
	v_cmp_gt_i16_sdwa s28, v41, v101 src0_sel:BYTE_0 src1_sel:DWORD
	s_mov_b32 s13, 0
	s_and_saveexec_b32 s29, s28
	s_xor_b32 s28, exec_lo, s29
	s_cbranch_execz .LBB4_1635
; %bb.1402:                             ;   in Loop: Header=BB4_1295 Depth=2
	v_cmp_eq_u16_sdwa s40, v41, v114 src0_sel:BYTE_0 src1_sel:DWORD
	s_mov_b32 s13, -1
	s_and_saveexec_b32 s29, s40
; %bb.1403:                             ;   in Loop: Header=BB4_1295 Depth=2
	s_xor_b32 s13, exec_lo, -1
; %bb.1404:                             ;   in Loop: Header=BB4_1295 Depth=2
	s_or_b32 exec_lo, exec_lo, s29
	s_and_b32 s13, s13, exec_lo
	s_or_saveexec_b32 s28, s28
	v_mov_b32_e32 v58, 0x7f800001
	s_xor_b32 exec_lo, exec_lo, s28
	s_cbranch_execnz .LBB4_1636
.LBB4_1405:                             ;   in Loop: Header=BB4_1295 Depth=2
	s_or_b32 exec_lo, exec_lo, s28
	s_and_saveexec_b32 s28, s13
	s_cbranch_execz .LBB4_1407
.LBB4_1406:                             ;   in Loop: Header=BB4_1295 Depth=2
	v_and_b32_e32 v58, 7, v41
	v_lshrrev_b16 v61, 3, v41
	v_ffbh_u32_e32 v60, v58
	v_and_b32_e32 v61, 15, v61
	v_min_u32_e32 v60, 32, v60
	v_cmp_eq_u32_e32 vcc_lo, 0, v61
	v_subrev_nc_u32_e32 v62, 28, v60
	v_sub_nc_u32_e32 v60, 29, v60
	v_lshlrev_b32_e32 v62, v62, v41
	v_lshlrev_b32_e32 v41, 24, v41
	v_cndmask_b32_e32 v60, v61, v60, vcc_lo
	v_and_b32_e32 v62, 7, v62
	v_and_b32_e32 v41, 0x80000000, v41
	v_lshl_add_u32 v60, v60, 23, 0x3b800000
	v_cndmask_b32_e32 v58, v58, v62, vcc_lo
	v_lshlrev_b32_e32 v58, 20, v58
	v_or3_b32 v58, v41, v60, v58
.LBB4_1407:                             ;   in Loop: Header=BB4_1295 Depth=2
	s_or_b32 exec_lo, exec_lo, s28
	v_add_f32_e32 v58, v59, v58
	v_and_b32_e32 v41, 0x7f800000, v58
	v_cmp_ne_u32_e32 vcc_lo, 0x7f800000, v41
	v_mov_b32_e32 v41, 0x80
	s_and_saveexec_b32 s28, vcc_lo
	s_cbranch_execz .LBB4_1415
; %bb.1408:                             ;   in Loop: Header=BB4_1295 Depth=2
	v_mov_b32_e32 v41, 0
	s_mov_b32 s29, exec_lo
	v_cmpx_ne_u32_e32 0, v58
	s_cbranch_execz .LBB4_1414
; %bb.1409:                             ;   in Loop: Header=BB4_1295 Depth=2
	v_bfe_u32 v41, v58, 23, 8
	v_and_b32_e32 v59, 0x7fffff, v58
	v_sub_nc_u32_e32 v60, 0x78, v41
	v_cmp_gt_u32_e32 vcc_lo, 0x79, v41
	v_or_b32_e32 v61, 0x800000, v59
	v_cndmask_b32_e32 v60, 0, v60, vcc_lo
	v_cmp_eq_u32_e32 vcc_lo, 0, v41
	v_add_nc_u32_e32 v41, 0xffffff89, v41
	v_cndmask_b32_e64 v60, v60, 0x77, vcc_lo
	v_cndmask_b32_e32 v59, v61, v59, vcc_lo
	v_cndmask_b32_e64 v41, v41, 0xffffff8a, vcc_lo
	v_lshl_add_u32 v61, 0x100000, v60, -1
	v_lshrrev_b32_e32 v62, v60, v59
	v_lshlrev_b32_e64 v72, v60, 0x80000
	v_add_nc_u32_e32 v60, v60, v41
	v_and_b32_e32 v59, v61, v59
	v_bfe_u32 v63, v62, 20, 1
	v_cmp_eq_u32_e64 s13, v59, v72
	v_add_nc_u32_e32 v61, -1, v63
	v_cndmask_b32_e64 v59, 0, v61, s13
	v_lshrrev_b32_e32 v61, 23, v62
	s_mov_b32 s13, exec_lo
	v_add_nc_u32_e32 v59, v59, v62
	v_xor_b32_e32 v61, 1, v61
	v_and_b32_e32 v41, 0xfffff, v59
	v_add_nc_u32_e32 v59, v41, v62
                                        ; implicit-def: $vgpr41
	v_cmpx_ne_u32_e64 v60, v61
	s_xor_b32 s13, exec_lo, s13
; %bb.1410:                             ;   in Loop: Header=BB4_1295 Depth=2
	v_cmp_lt_u32_e32 vcc_lo, 0xffffff, v59
	v_sub_nc_u32_e32 v41, v60, v61
	v_cndmask_b32_e64 v60, 0, 1, vcc_lo
	v_add_co_ci_u32_e64 v41, null, 0, v41, vcc_lo
	v_lshrrev_b32_e32 v59, v60, v59
; %bb.1411:                             ;   in Loop: Header=BB4_1295 Depth=2
	s_andn2_saveexec_b32 s13, s13
; %bb.1412:                             ;   in Loop: Header=BB4_1295 Depth=2
	v_bfe_u32 v41, v59, 23, 1
; %bb.1413:                             ;   in Loop: Header=BB4_1295 Depth=2
	s_or_b32 exec_lo, exec_lo, s13
	v_lshrrev_b32_e32 v59, 20, v59
	v_cmp_gt_i32_e32 vcc_lo, 16, v41
	v_min_i32_e32 v60, 15, v41
	v_and_b32_sdwa v58, v58, v114 dst_sel:DWORD dst_unused:UNUSED_PAD src0_sel:BYTE_3 src1_sel:DWORD
	v_cndmask_b32_e32 v59, 7, v59, vcc_lo
	v_lshlrev_b32_e32 v60, 3, v60
	v_and_b32_e32 v61, 7, v59
	v_or_b32_e32 v41, v41, v59
	v_or3_b32 v58, v60, v58, v61
	v_cmp_ne_u32_e32 vcc_lo, 0, v41
	v_cndmask_b32_e32 v41, 0, v58, vcc_lo
.LBB4_1414:                             ;   in Loop: Header=BB4_1295 Depth=2
	s_or_b32 exec_lo, exec_lo, s29
.LBB4_1415:                             ;   in Loop: Header=BB4_1295 Depth=2
	s_or_b32 exec_lo, exec_lo, s28
	v_cmp_gt_i16_sdwa s28, v57, v101 src0_sel:BYTE_0 src1_sel:DWORD
	s_mov_b32 s13, 0
	s_and_saveexec_b32 s29, s28
	s_xor_b32 s28, exec_lo, s29
	s_cbranch_execz .LBB4_1637
; %bb.1416:                             ;   in Loop: Header=BB4_1295 Depth=2
	v_cmp_eq_u16_sdwa s40, v57, v114 src0_sel:BYTE_0 src1_sel:DWORD
	s_mov_b32 s13, -1
	s_and_saveexec_b32 s29, s40
; %bb.1417:                             ;   in Loop: Header=BB4_1295 Depth=2
	s_xor_b32 s13, exec_lo, -1
; %bb.1418:                             ;   in Loop: Header=BB4_1295 Depth=2
	s_or_b32 exec_lo, exec_lo, s29
	s_and_b32 s13, s13, exec_lo
	s_or_saveexec_b32 s28, s28
	v_mov_b32_e32 v58, 0x7f800001
	s_xor_b32 exec_lo, exec_lo, s28
	s_cbranch_execnz .LBB4_1638
.LBB4_1419:                             ;   in Loop: Header=BB4_1295 Depth=2
	s_or_b32 exec_lo, exec_lo, s28
	s_and_saveexec_b32 s28, s13
	s_cbranch_execz .LBB4_1421
.LBB4_1420:                             ;   in Loop: Header=BB4_1295 Depth=2
	v_and_b32_e32 v58, 7, v57
	v_lshrrev_b16 v60, 3, v57
	v_ffbh_u32_e32 v59, v58
	v_and_b32_e32 v60, 15, v60
	v_min_u32_e32 v59, 32, v59
	v_cmp_eq_u32_e32 vcc_lo, 0, v60
	v_subrev_nc_u32_e32 v61, 28, v59
	v_sub_nc_u32_e32 v59, 29, v59
	v_lshlrev_b32_e32 v61, v61, v57
	v_lshlrev_b32_e32 v57, 24, v57
	v_cndmask_b32_e32 v59, v60, v59, vcc_lo
	v_and_b32_e32 v61, 7, v61
	v_and_b32_e32 v57, 0x80000000, v57
	v_lshl_add_u32 v59, v59, 23, 0x3b800000
	v_cndmask_b32_e32 v58, v58, v61, vcc_lo
	v_lshlrev_b32_e32 v58, 20, v58
	v_or3_b32 v58, v57, v59, v58
.LBB4_1421:                             ;   in Loop: Header=BB4_1295 Depth=2
	s_or_b32 exec_lo, exec_lo, s28
	s_waitcnt vmcnt(9) lgkmcnt(9)
	v_cmp_gt_i16_sdwa s28, v44, v101 src0_sel:BYTE_0 src1_sel:DWORD
	s_mov_b32 s13, 0
	s_and_saveexec_b32 s29, s28
	s_xor_b32 s28, exec_lo, s29
	s_cbranch_execz .LBB4_1639
; %bb.1422:                             ;   in Loop: Header=BB4_1295 Depth=2
	v_cmp_eq_u16_sdwa s40, v44, v114 src0_sel:BYTE_0 src1_sel:DWORD
	s_mov_b32 s13, -1
	s_and_saveexec_b32 s29, s40
; %bb.1423:                             ;   in Loop: Header=BB4_1295 Depth=2
	s_xor_b32 s13, exec_lo, -1
; %bb.1424:                             ;   in Loop: Header=BB4_1295 Depth=2
	s_or_b32 exec_lo, exec_lo, s29
	s_and_b32 s13, s13, exec_lo
	s_or_saveexec_b32 s28, s28
	v_mov_b32_e32 v57, 0x7f800001
	s_xor_b32 exec_lo, exec_lo, s28
	s_cbranch_execnz .LBB4_1640
.LBB4_1425:                             ;   in Loop: Header=BB4_1295 Depth=2
	s_or_b32 exec_lo, exec_lo, s28
	s_and_saveexec_b32 s28, s13
	s_cbranch_execz .LBB4_1427
.LBB4_1426:                             ;   in Loop: Header=BB4_1295 Depth=2
	v_and_b32_e32 v57, 7, v44
	v_lshrrev_b16 v60, 3, v44
	v_ffbh_u32_e32 v59, v57
	v_and_b32_e32 v60, 15, v60
	v_min_u32_e32 v59, 32, v59
	v_cmp_eq_u32_e32 vcc_lo, 0, v60
	v_subrev_nc_u32_e32 v61, 28, v59
	v_sub_nc_u32_e32 v59, 29, v59
	v_lshlrev_b32_e32 v61, v61, v44
	v_lshlrev_b32_e32 v44, 24, v44
	v_cndmask_b32_e32 v59, v60, v59, vcc_lo
	v_and_b32_e32 v61, 7, v61
	v_and_b32_e32 v44, 0x80000000, v44
	v_lshl_add_u32 v59, v59, 23, 0x3b800000
	v_cndmask_b32_e32 v57, v57, v61, vcc_lo
	v_lshlrev_b32_e32 v57, 20, v57
	v_or3_b32 v57, v44, v59, v57
.LBB4_1427:                             ;   in Loop: Header=BB4_1295 Depth=2
	s_or_b32 exec_lo, exec_lo, s28
	v_add_f32_e32 v57, v58, v57
	v_and_b32_e32 v44, 0x7f800000, v57
	v_cmp_ne_u32_e32 vcc_lo, 0x7f800000, v44
	v_mov_b32_e32 v44, 0x80
	s_and_saveexec_b32 s28, vcc_lo
	s_cbranch_execz .LBB4_1435
; %bb.1428:                             ;   in Loop: Header=BB4_1295 Depth=2
	v_mov_b32_e32 v44, 0
	s_mov_b32 s29, exec_lo
	v_cmpx_ne_u32_e32 0, v57
	s_cbranch_execz .LBB4_1434
; %bb.1429:                             ;   in Loop: Header=BB4_1295 Depth=2
	v_bfe_u32 v44, v57, 23, 8
	v_and_b32_e32 v58, 0x7fffff, v57
	v_sub_nc_u32_e32 v59, 0x78, v44
	v_cmp_gt_u32_e32 vcc_lo, 0x79, v44
	v_or_b32_e32 v60, 0x800000, v58
	v_cndmask_b32_e32 v59, 0, v59, vcc_lo
	v_cmp_eq_u32_e32 vcc_lo, 0, v44
	v_add_nc_u32_e32 v44, 0xffffff89, v44
	v_cndmask_b32_e64 v59, v59, 0x77, vcc_lo
	v_cndmask_b32_e32 v58, v60, v58, vcc_lo
	v_cndmask_b32_e64 v44, v44, 0xffffff8a, vcc_lo
	v_lshl_add_u32 v60, 0x100000, v59, -1
	v_lshrrev_b32_e32 v61, v59, v58
	v_lshlrev_b32_e64 v63, v59, 0x80000
	v_add_nc_u32_e32 v59, v59, v44
	v_and_b32_e32 v58, v60, v58
	v_bfe_u32 v62, v61, 20, 1
	v_cmp_eq_u32_e64 s13, v58, v63
	v_add_nc_u32_e32 v60, -1, v62
	v_cndmask_b32_e64 v58, 0, v60, s13
	v_lshrrev_b32_e32 v60, 23, v61
	s_mov_b32 s13, exec_lo
	v_add_nc_u32_e32 v58, v58, v61
	v_xor_b32_e32 v60, 1, v60
	v_and_b32_e32 v44, 0xfffff, v58
	v_add_nc_u32_e32 v58, v44, v61
                                        ; implicit-def: $vgpr44
	v_cmpx_ne_u32_e64 v59, v60
	s_xor_b32 s13, exec_lo, s13
; %bb.1430:                             ;   in Loop: Header=BB4_1295 Depth=2
	v_cmp_lt_u32_e32 vcc_lo, 0xffffff, v58
	v_sub_nc_u32_e32 v44, v59, v60
	v_cndmask_b32_e64 v59, 0, 1, vcc_lo
	v_add_co_ci_u32_e64 v44, null, 0, v44, vcc_lo
	v_lshrrev_b32_e32 v58, v59, v58
; %bb.1431:                             ;   in Loop: Header=BB4_1295 Depth=2
	s_andn2_saveexec_b32 s13, s13
; %bb.1432:                             ;   in Loop: Header=BB4_1295 Depth=2
	v_bfe_u32 v44, v58, 23, 1
; %bb.1433:                             ;   in Loop: Header=BB4_1295 Depth=2
	s_or_b32 exec_lo, exec_lo, s13
	v_lshrrev_b32_e32 v58, 20, v58
	v_cmp_gt_i32_e32 vcc_lo, 16, v44
	v_min_i32_e32 v59, 15, v44
	v_and_b32_sdwa v57, v57, v114 dst_sel:DWORD dst_unused:UNUSED_PAD src0_sel:BYTE_3 src1_sel:DWORD
	v_cndmask_b32_e32 v58, 7, v58, vcc_lo
	v_lshlrev_b32_e32 v59, 3, v59
	v_and_b32_e32 v60, 7, v58
	v_or_b32_e32 v44, v44, v58
	v_or3_b32 v57, v59, v57, v60
	v_cmp_ne_u32_e32 vcc_lo, 0, v44
	v_cndmask_b32_e32 v44, 0, v57, vcc_lo
.LBB4_1434:                             ;   in Loop: Header=BB4_1295 Depth=2
	s_or_b32 exec_lo, exec_lo, s29
.LBB4_1435:                             ;   in Loop: Header=BB4_1295 Depth=2
	s_or_b32 exec_lo, exec_lo, s28
	v_cmp_gt_i16_sdwa s28, v56, v101 src0_sel:BYTE_0 src1_sel:DWORD
	s_mov_b32 s13, 0
	s_and_saveexec_b32 s29, s28
	s_xor_b32 s28, exec_lo, s29
	s_cbranch_execz .LBB4_1641
; %bb.1436:                             ;   in Loop: Header=BB4_1295 Depth=2
	v_cmp_eq_u16_sdwa s40, v56, v114 src0_sel:BYTE_0 src1_sel:DWORD
	s_mov_b32 s13, -1
	s_and_saveexec_b32 s29, s40
; %bb.1437:                             ;   in Loop: Header=BB4_1295 Depth=2
	s_xor_b32 s13, exec_lo, -1
; %bb.1438:                             ;   in Loop: Header=BB4_1295 Depth=2
	s_or_b32 exec_lo, exec_lo, s29
	s_and_b32 s13, s13, exec_lo
	s_or_saveexec_b32 s28, s28
	v_mov_b32_e32 v57, 0x7f800001
	s_xor_b32 exec_lo, exec_lo, s28
	s_cbranch_execnz .LBB4_1642
.LBB4_1439:                             ;   in Loop: Header=BB4_1295 Depth=2
	s_or_b32 exec_lo, exec_lo, s28
	s_and_saveexec_b32 s28, s13
	s_cbranch_execz .LBB4_1441
.LBB4_1440:                             ;   in Loop: Header=BB4_1295 Depth=2
	v_and_b32_e32 v57, 7, v56
	v_lshrrev_b16 v59, 3, v56
	v_ffbh_u32_e32 v58, v57
	v_and_b32_e32 v59, 15, v59
	v_min_u32_e32 v58, 32, v58
	v_cmp_eq_u32_e32 vcc_lo, 0, v59
	v_subrev_nc_u32_e32 v60, 28, v58
	v_sub_nc_u32_e32 v58, 29, v58
	v_lshlrev_b32_e32 v60, v60, v56
	v_lshlrev_b32_e32 v56, 24, v56
	v_cndmask_b32_e32 v58, v59, v58, vcc_lo
	v_and_b32_e32 v60, 7, v60
	v_and_b32_e32 v56, 0x80000000, v56
	v_lshl_add_u32 v58, v58, 23, 0x3b800000
	v_cndmask_b32_e32 v57, v57, v60, vcc_lo
	v_lshlrev_b32_e32 v57, 20, v57
	v_or3_b32 v57, v56, v58, v57
.LBB4_1441:                             ;   in Loop: Header=BB4_1295 Depth=2
	s_or_b32 exec_lo, exec_lo, s28
	s_waitcnt vmcnt(8) lgkmcnt(8)
	v_cmp_gt_i16_sdwa s28, v47, v101 src0_sel:BYTE_0 src1_sel:DWORD
	s_mov_b32 s13, 0
	s_and_saveexec_b32 s29, s28
	s_xor_b32 s28, exec_lo, s29
	s_cbranch_execz .LBB4_1643
; %bb.1442:                             ;   in Loop: Header=BB4_1295 Depth=2
	v_cmp_eq_u16_sdwa s40, v47, v114 src0_sel:BYTE_0 src1_sel:DWORD
	s_mov_b32 s13, -1
	s_and_saveexec_b32 s29, s40
; %bb.1443:                             ;   in Loop: Header=BB4_1295 Depth=2
	s_xor_b32 s13, exec_lo, -1
; %bb.1444:                             ;   in Loop: Header=BB4_1295 Depth=2
	s_or_b32 exec_lo, exec_lo, s29
	s_and_b32 s13, s13, exec_lo
	s_or_saveexec_b32 s28, s28
	v_mov_b32_e32 v56, 0x7f800001
	s_xor_b32 exec_lo, exec_lo, s28
	s_cbranch_execnz .LBB4_1644
.LBB4_1445:                             ;   in Loop: Header=BB4_1295 Depth=2
	s_or_b32 exec_lo, exec_lo, s28
	s_and_saveexec_b32 s28, s13
	s_cbranch_execz .LBB4_1447
.LBB4_1446:                             ;   in Loop: Header=BB4_1295 Depth=2
	v_and_b32_e32 v56, 7, v47
	v_lshrrev_b16 v59, 3, v47
	v_ffbh_u32_e32 v58, v56
	v_and_b32_e32 v59, 15, v59
	v_min_u32_e32 v58, 32, v58
	v_cmp_eq_u32_e32 vcc_lo, 0, v59
	v_subrev_nc_u32_e32 v60, 28, v58
	v_sub_nc_u32_e32 v58, 29, v58
	v_lshlrev_b32_e32 v60, v60, v47
	v_lshlrev_b32_e32 v47, 24, v47
	v_cndmask_b32_e32 v58, v59, v58, vcc_lo
	v_and_b32_e32 v60, 7, v60
	v_and_b32_e32 v47, 0x80000000, v47
	v_lshl_add_u32 v58, v58, 23, 0x3b800000
	v_cndmask_b32_e32 v56, v56, v60, vcc_lo
	v_lshlrev_b32_e32 v56, 20, v56
	v_or3_b32 v56, v47, v58, v56
.LBB4_1447:                             ;   in Loop: Header=BB4_1295 Depth=2
	s_or_b32 exec_lo, exec_lo, s28
	v_add_f32_e32 v56, v57, v56
	v_and_b32_e32 v47, 0x7f800000, v56
	v_cmp_ne_u32_e32 vcc_lo, 0x7f800000, v47
	v_mov_b32_e32 v47, 0x80
	s_and_saveexec_b32 s28, vcc_lo
	s_cbranch_execz .LBB4_1455
; %bb.1448:                             ;   in Loop: Header=BB4_1295 Depth=2
	v_mov_b32_e32 v47, 0
	s_mov_b32 s29, exec_lo
	v_cmpx_ne_u32_e32 0, v56
	s_cbranch_execz .LBB4_1454
; %bb.1449:                             ;   in Loop: Header=BB4_1295 Depth=2
	v_bfe_u32 v47, v56, 23, 8
	v_and_b32_e32 v57, 0x7fffff, v56
	v_sub_nc_u32_e32 v58, 0x78, v47
	v_cmp_gt_u32_e32 vcc_lo, 0x79, v47
	v_or_b32_e32 v59, 0x800000, v57
	v_cndmask_b32_e32 v58, 0, v58, vcc_lo
	v_cmp_eq_u32_e32 vcc_lo, 0, v47
	v_add_nc_u32_e32 v47, 0xffffff89, v47
	v_cndmask_b32_e64 v58, v58, 0x77, vcc_lo
	v_cndmask_b32_e32 v57, v59, v57, vcc_lo
	v_cndmask_b32_e64 v47, v47, 0xffffff8a, vcc_lo
	v_lshl_add_u32 v59, 0x100000, v58, -1
	v_lshrrev_b32_e32 v60, v58, v57
	v_lshlrev_b32_e64 v62, v58, 0x80000
	v_add_nc_u32_e32 v58, v58, v47
	v_and_b32_e32 v57, v59, v57
	v_bfe_u32 v61, v60, 20, 1
	v_cmp_eq_u32_e64 s13, v57, v62
	v_add_nc_u32_e32 v59, -1, v61
	v_cndmask_b32_e64 v57, 0, v59, s13
	v_lshrrev_b32_e32 v59, 23, v60
	s_mov_b32 s13, exec_lo
	v_add_nc_u32_e32 v57, v57, v60
	v_xor_b32_e32 v59, 1, v59
	v_and_b32_e32 v47, 0xfffff, v57
	v_add_nc_u32_e32 v57, v47, v60
                                        ; implicit-def: $vgpr47
	v_cmpx_ne_u32_e64 v58, v59
	s_xor_b32 s13, exec_lo, s13
; %bb.1450:                             ;   in Loop: Header=BB4_1295 Depth=2
	v_cmp_lt_u32_e32 vcc_lo, 0xffffff, v57
	v_sub_nc_u32_e32 v47, v58, v59
	v_cndmask_b32_e64 v58, 0, 1, vcc_lo
	v_add_co_ci_u32_e64 v47, null, 0, v47, vcc_lo
	v_lshrrev_b32_e32 v57, v58, v57
; %bb.1451:                             ;   in Loop: Header=BB4_1295 Depth=2
	s_andn2_saveexec_b32 s13, s13
; %bb.1452:                             ;   in Loop: Header=BB4_1295 Depth=2
	v_bfe_u32 v47, v57, 23, 1
; %bb.1453:                             ;   in Loop: Header=BB4_1295 Depth=2
	s_or_b32 exec_lo, exec_lo, s13
	v_lshrrev_b32_e32 v57, 20, v57
	v_cmp_gt_i32_e32 vcc_lo, 16, v47
	v_min_i32_e32 v58, 15, v47
	v_and_b32_sdwa v56, v56, v114 dst_sel:DWORD dst_unused:UNUSED_PAD src0_sel:BYTE_3 src1_sel:DWORD
	v_cndmask_b32_e32 v57, 7, v57, vcc_lo
	v_lshlrev_b32_e32 v58, 3, v58
	v_and_b32_e32 v59, 7, v57
	v_or_b32_e32 v47, v47, v57
	v_or3_b32 v56, v58, v56, v59
	v_cmp_ne_u32_e32 vcc_lo, 0, v47
	v_cndmask_b32_e32 v47, 0, v56, vcc_lo
.LBB4_1454:                             ;   in Loop: Header=BB4_1295 Depth=2
	s_or_b32 exec_lo, exec_lo, s29
.LBB4_1455:                             ;   in Loop: Header=BB4_1295 Depth=2
	s_or_b32 exec_lo, exec_lo, s28
	v_cmp_gt_i16_sdwa s28, v46, v101 src0_sel:BYTE_0 src1_sel:DWORD
	s_mov_b32 s13, 0
	s_and_saveexec_b32 s29, s28
	s_xor_b32 s28, exec_lo, s29
	s_cbranch_execz .LBB4_1645
; %bb.1456:                             ;   in Loop: Header=BB4_1295 Depth=2
	v_cmp_eq_u16_sdwa s40, v46, v114 src0_sel:BYTE_0 src1_sel:DWORD
	s_mov_b32 s13, -1
	s_and_saveexec_b32 s29, s40
; %bb.1457:                             ;   in Loop: Header=BB4_1295 Depth=2
	s_xor_b32 s13, exec_lo, -1
; %bb.1458:                             ;   in Loop: Header=BB4_1295 Depth=2
	s_or_b32 exec_lo, exec_lo, s29
	s_and_b32 s13, s13, exec_lo
	s_or_saveexec_b32 s28, s28
	v_mov_b32_e32 v56, 0x7f800001
	s_xor_b32 exec_lo, exec_lo, s28
	s_cbranch_execnz .LBB4_1646
.LBB4_1459:                             ;   in Loop: Header=BB4_1295 Depth=2
	s_or_b32 exec_lo, exec_lo, s28
	s_and_saveexec_b32 s28, s13
	s_cbranch_execz .LBB4_1461
.LBB4_1460:                             ;   in Loop: Header=BB4_1295 Depth=2
	v_and_b32_e32 v56, 7, v46
	v_lshrrev_b16 v58, 3, v46
	v_ffbh_u32_e32 v57, v56
	v_and_b32_e32 v58, 15, v58
	v_min_u32_e32 v57, 32, v57
	v_cmp_eq_u32_e32 vcc_lo, 0, v58
	v_subrev_nc_u32_e32 v59, 28, v57
	v_sub_nc_u32_e32 v57, 29, v57
	v_lshlrev_b32_e32 v59, v59, v46
	v_lshlrev_b32_e32 v46, 24, v46
	v_cndmask_b32_e32 v57, v58, v57, vcc_lo
	v_and_b32_e32 v59, 7, v59
	v_and_b32_e32 v46, 0x80000000, v46
	v_lshl_add_u32 v57, v57, 23, 0x3b800000
	v_cndmask_b32_e32 v56, v56, v59, vcc_lo
	v_lshlrev_b32_e32 v56, 20, v56
	v_or3_b32 v56, v46, v57, v56
.LBB4_1461:                             ;   in Loop: Header=BB4_1295 Depth=2
	s_or_b32 exec_lo, exec_lo, s28
	s_waitcnt vmcnt(7) lgkmcnt(7)
	v_cmp_gt_i16_sdwa s28, v45, v101 src0_sel:BYTE_0 src1_sel:DWORD
	s_mov_b32 s13, 0
	s_and_saveexec_b32 s29, s28
	s_xor_b32 s28, exec_lo, s29
	s_cbranch_execz .LBB4_1647
; %bb.1462:                             ;   in Loop: Header=BB4_1295 Depth=2
	v_cmp_eq_u16_sdwa s40, v45, v114 src0_sel:BYTE_0 src1_sel:DWORD
	s_mov_b32 s13, -1
	s_and_saveexec_b32 s29, s40
; %bb.1463:                             ;   in Loop: Header=BB4_1295 Depth=2
	s_xor_b32 s13, exec_lo, -1
; %bb.1464:                             ;   in Loop: Header=BB4_1295 Depth=2
	s_or_b32 exec_lo, exec_lo, s29
	s_and_b32 s13, s13, exec_lo
	s_or_saveexec_b32 s28, s28
	v_mov_b32_e32 v46, 0x7f800001
	s_xor_b32 exec_lo, exec_lo, s28
	s_cbranch_execnz .LBB4_1648
.LBB4_1465:                             ;   in Loop: Header=BB4_1295 Depth=2
	s_or_b32 exec_lo, exec_lo, s28
	s_and_saveexec_b32 s28, s13
	s_cbranch_execz .LBB4_1467
.LBB4_1466:                             ;   in Loop: Header=BB4_1295 Depth=2
	v_and_b32_e32 v46, 7, v45
	v_lshrrev_b16 v58, 3, v45
	v_ffbh_u32_e32 v57, v46
	v_and_b32_e32 v58, 15, v58
	v_min_u32_e32 v57, 32, v57
	v_cmp_eq_u32_e32 vcc_lo, 0, v58
	v_subrev_nc_u32_e32 v59, 28, v57
	v_sub_nc_u32_e32 v57, 29, v57
	v_lshlrev_b32_e32 v59, v59, v45
	v_lshlrev_b32_e32 v45, 24, v45
	v_cndmask_b32_e32 v57, v58, v57, vcc_lo
	v_and_b32_e32 v59, 7, v59
	v_and_b32_e32 v45, 0x80000000, v45
	v_lshl_add_u32 v57, v57, 23, 0x3b800000
	v_cndmask_b32_e32 v46, v46, v59, vcc_lo
	v_lshlrev_b32_e32 v46, 20, v46
	v_or3_b32 v46, v45, v57, v46
.LBB4_1467:                             ;   in Loop: Header=BB4_1295 Depth=2
	s_or_b32 exec_lo, exec_lo, s28
	v_add_f32_e32 v46, v56, v46
	v_and_b32_e32 v45, 0x7f800000, v46
	v_cmp_ne_u32_e32 vcc_lo, 0x7f800000, v45
	v_mov_b32_e32 v45, 0x80
	s_and_saveexec_b32 s28, vcc_lo
	s_cbranch_execz .LBB4_1475
; %bb.1468:                             ;   in Loop: Header=BB4_1295 Depth=2
	v_mov_b32_e32 v45, 0
	s_mov_b32 s29, exec_lo
	v_cmpx_ne_u32_e32 0, v46
	s_cbranch_execz .LBB4_1474
; %bb.1469:                             ;   in Loop: Header=BB4_1295 Depth=2
	v_bfe_u32 v45, v46, 23, 8
	v_and_b32_e32 v56, 0x7fffff, v46
	v_sub_nc_u32_e32 v57, 0x78, v45
	v_cmp_gt_u32_e32 vcc_lo, 0x79, v45
	v_or_b32_e32 v58, 0x800000, v56
	v_cndmask_b32_e32 v57, 0, v57, vcc_lo
	v_cmp_eq_u32_e32 vcc_lo, 0, v45
	v_add_nc_u32_e32 v45, 0xffffff89, v45
	v_cndmask_b32_e64 v57, v57, 0x77, vcc_lo
	v_cndmask_b32_e32 v56, v58, v56, vcc_lo
	v_cndmask_b32_e64 v45, v45, 0xffffff8a, vcc_lo
	v_lshl_add_u32 v58, 0x100000, v57, -1
	v_lshrrev_b32_e32 v59, v57, v56
	v_lshlrev_b32_e64 v61, v57, 0x80000
	v_add_nc_u32_e32 v57, v57, v45
	v_and_b32_e32 v56, v58, v56
	v_bfe_u32 v60, v59, 20, 1
	v_cmp_eq_u32_e64 s13, v56, v61
	v_add_nc_u32_e32 v58, -1, v60
	v_cndmask_b32_e64 v56, 0, v58, s13
	v_lshrrev_b32_e32 v58, 23, v59
	s_mov_b32 s13, exec_lo
	v_add_nc_u32_e32 v56, v56, v59
	v_xor_b32_e32 v58, 1, v58
	v_and_b32_e32 v45, 0xfffff, v56
	v_add_nc_u32_e32 v56, v45, v59
                                        ; implicit-def: $vgpr45
	v_cmpx_ne_u32_e64 v57, v58
	s_xor_b32 s13, exec_lo, s13
; %bb.1470:                             ;   in Loop: Header=BB4_1295 Depth=2
	v_cmp_lt_u32_e32 vcc_lo, 0xffffff, v56
	v_sub_nc_u32_e32 v45, v57, v58
	v_cndmask_b32_e64 v57, 0, 1, vcc_lo
	v_add_co_ci_u32_e64 v45, null, 0, v45, vcc_lo
	v_lshrrev_b32_e32 v56, v57, v56
; %bb.1471:                             ;   in Loop: Header=BB4_1295 Depth=2
	s_andn2_saveexec_b32 s13, s13
; %bb.1472:                             ;   in Loop: Header=BB4_1295 Depth=2
	v_bfe_u32 v45, v56, 23, 1
; %bb.1473:                             ;   in Loop: Header=BB4_1295 Depth=2
	s_or_b32 exec_lo, exec_lo, s13
	v_lshrrev_b32_e32 v56, 20, v56
	v_cmp_gt_i32_e32 vcc_lo, 16, v45
	v_min_i32_e32 v57, 15, v45
	v_and_b32_sdwa v46, v46, v114 dst_sel:DWORD dst_unused:UNUSED_PAD src0_sel:BYTE_3 src1_sel:DWORD
	v_cndmask_b32_e32 v56, 7, v56, vcc_lo
	v_lshlrev_b32_e32 v57, 3, v57
	v_and_b32_e32 v58, 7, v56
	v_or_b32_e32 v45, v45, v56
	v_or3_b32 v46, v57, v46, v58
	v_cmp_ne_u32_e32 vcc_lo, 0, v45
	v_cndmask_b32_e32 v45, 0, v46, vcc_lo
.LBB4_1474:                             ;   in Loop: Header=BB4_1295 Depth=2
	s_or_b32 exec_lo, exec_lo, s29
.LBB4_1475:                             ;   in Loop: Header=BB4_1295 Depth=2
	s_or_b32 exec_lo, exec_lo, s28
	v_cmp_gt_i16_sdwa s28, v43, v101 src0_sel:BYTE_0 src1_sel:DWORD
	s_mov_b32 s13, 0
	s_and_saveexec_b32 s29, s28
	s_xor_b32 s28, exec_lo, s29
	s_cbranch_execz .LBB4_1649
; %bb.1476:                             ;   in Loop: Header=BB4_1295 Depth=2
	v_cmp_eq_u16_sdwa s40, v43, v114 src0_sel:BYTE_0 src1_sel:DWORD
	s_mov_b32 s13, -1
	s_and_saveexec_b32 s29, s40
; %bb.1477:                             ;   in Loop: Header=BB4_1295 Depth=2
	s_xor_b32 s13, exec_lo, -1
; %bb.1478:                             ;   in Loop: Header=BB4_1295 Depth=2
	s_or_b32 exec_lo, exec_lo, s29
	s_and_b32 s13, s13, exec_lo
	s_or_saveexec_b32 s28, s28
	v_mov_b32_e32 v46, 0x7f800001
	s_xor_b32 exec_lo, exec_lo, s28
	s_cbranch_execnz .LBB4_1650
.LBB4_1479:                             ;   in Loop: Header=BB4_1295 Depth=2
	s_or_b32 exec_lo, exec_lo, s28
	s_and_saveexec_b32 s28, s13
	s_cbranch_execz .LBB4_1481
.LBB4_1480:                             ;   in Loop: Header=BB4_1295 Depth=2
	v_and_b32_e32 v46, 7, v43
	v_lshrrev_b16 v57, 3, v43
	v_ffbh_u32_e32 v56, v46
	v_and_b32_e32 v57, 15, v57
	v_min_u32_e32 v56, 32, v56
	v_cmp_eq_u32_e32 vcc_lo, 0, v57
	v_subrev_nc_u32_e32 v58, 28, v56
	v_sub_nc_u32_e32 v56, 29, v56
	v_lshlrev_b32_e32 v58, v58, v43
	v_lshlrev_b32_e32 v43, 24, v43
	v_cndmask_b32_e32 v56, v57, v56, vcc_lo
	v_and_b32_e32 v58, 7, v58
	v_and_b32_e32 v43, 0x80000000, v43
	v_lshl_add_u32 v56, v56, 23, 0x3b800000
	v_cndmask_b32_e32 v46, v46, v58, vcc_lo
	v_lshlrev_b32_e32 v46, 20, v46
	v_or3_b32 v46, v43, v56, v46
.LBB4_1481:                             ;   in Loop: Header=BB4_1295 Depth=2
	s_or_b32 exec_lo, exec_lo, s28
	s_waitcnt vmcnt(6) lgkmcnt(6)
	v_cmp_gt_i16_sdwa s28, v42, v101 src0_sel:BYTE_0 src1_sel:DWORD
	s_mov_b32 s13, 0
	s_and_saveexec_b32 s29, s28
	s_xor_b32 s28, exec_lo, s29
	s_cbranch_execz .LBB4_1651
; %bb.1482:                             ;   in Loop: Header=BB4_1295 Depth=2
	v_cmp_eq_u16_sdwa s40, v42, v114 src0_sel:BYTE_0 src1_sel:DWORD
	s_mov_b32 s13, -1
	s_and_saveexec_b32 s29, s40
; %bb.1483:                             ;   in Loop: Header=BB4_1295 Depth=2
	s_xor_b32 s13, exec_lo, -1
; %bb.1484:                             ;   in Loop: Header=BB4_1295 Depth=2
	s_or_b32 exec_lo, exec_lo, s29
	s_and_b32 s13, s13, exec_lo
	s_or_saveexec_b32 s28, s28
	v_mov_b32_e32 v43, 0x7f800001
	s_xor_b32 exec_lo, exec_lo, s28
	s_cbranch_execnz .LBB4_1652
.LBB4_1485:                             ;   in Loop: Header=BB4_1295 Depth=2
	s_or_b32 exec_lo, exec_lo, s28
	s_and_saveexec_b32 s28, s13
	s_cbranch_execz .LBB4_1487
.LBB4_1486:                             ;   in Loop: Header=BB4_1295 Depth=2
	v_and_b32_e32 v43, 7, v42
	v_lshrrev_b16 v57, 3, v42
	v_ffbh_u32_e32 v56, v43
	v_and_b32_e32 v57, 15, v57
	v_min_u32_e32 v56, 32, v56
	v_cmp_eq_u32_e32 vcc_lo, 0, v57
	v_subrev_nc_u32_e32 v58, 28, v56
	v_sub_nc_u32_e32 v56, 29, v56
	v_lshlrev_b32_e32 v58, v58, v42
	v_lshlrev_b32_e32 v42, 24, v42
	v_cndmask_b32_e32 v56, v57, v56, vcc_lo
	v_and_b32_e32 v58, 7, v58
	v_and_b32_e32 v42, 0x80000000, v42
	v_lshl_add_u32 v56, v56, 23, 0x3b800000
	v_cndmask_b32_e32 v43, v43, v58, vcc_lo
	v_lshlrev_b32_e32 v43, 20, v43
	v_or3_b32 v43, v42, v56, v43
.LBB4_1487:                             ;   in Loop: Header=BB4_1295 Depth=2
	s_or_b32 exec_lo, exec_lo, s28
	v_add_f32_e32 v43, v46, v43
	v_and_b32_e32 v42, 0x7f800000, v43
	v_cmp_ne_u32_e32 vcc_lo, 0x7f800000, v42
	v_mov_b32_e32 v42, 0x80
	s_and_saveexec_b32 s28, vcc_lo
	s_cbranch_execz .LBB4_1495
; %bb.1488:                             ;   in Loop: Header=BB4_1295 Depth=2
	v_mov_b32_e32 v42, 0
	s_mov_b32 s29, exec_lo
	v_cmpx_ne_u32_e32 0, v43
	s_cbranch_execz .LBB4_1494
; %bb.1489:                             ;   in Loop: Header=BB4_1295 Depth=2
	v_bfe_u32 v42, v43, 23, 8
	v_and_b32_e32 v46, 0x7fffff, v43
	v_sub_nc_u32_e32 v56, 0x78, v42
	v_cmp_gt_u32_e32 vcc_lo, 0x79, v42
	v_or_b32_e32 v57, 0x800000, v46
	v_cndmask_b32_e32 v56, 0, v56, vcc_lo
	v_cmp_eq_u32_e32 vcc_lo, 0, v42
	v_add_nc_u32_e32 v42, 0xffffff89, v42
	v_cndmask_b32_e64 v56, v56, 0x77, vcc_lo
	v_cndmask_b32_e32 v46, v57, v46, vcc_lo
	v_cndmask_b32_e64 v42, v42, 0xffffff8a, vcc_lo
	v_lshl_add_u32 v57, 0x100000, v56, -1
	v_lshrrev_b32_e32 v58, v56, v46
	v_lshlrev_b32_e64 v60, v56, 0x80000
	v_add_nc_u32_e32 v56, v56, v42
	v_and_b32_e32 v46, v57, v46
	v_bfe_u32 v59, v58, 20, 1
	v_cmp_eq_u32_e64 s13, v46, v60
	v_add_nc_u32_e32 v57, -1, v59
	v_cndmask_b32_e64 v46, 0, v57, s13
	v_lshrrev_b32_e32 v57, 23, v58
	s_mov_b32 s13, exec_lo
	v_add_nc_u32_e32 v46, v46, v58
	v_xor_b32_e32 v57, 1, v57
	v_and_b32_e32 v42, 0xfffff, v46
	v_add_nc_u32_e32 v46, v42, v58
                                        ; implicit-def: $vgpr42
	v_cmpx_ne_u32_e64 v56, v57
	s_xor_b32 s13, exec_lo, s13
; %bb.1490:                             ;   in Loop: Header=BB4_1295 Depth=2
	v_cmp_lt_u32_e32 vcc_lo, 0xffffff, v46
	v_sub_nc_u32_e32 v42, v56, v57
	v_cndmask_b32_e64 v56, 0, 1, vcc_lo
	v_add_co_ci_u32_e64 v42, null, 0, v42, vcc_lo
	v_lshrrev_b32_e32 v46, v56, v46
; %bb.1491:                             ;   in Loop: Header=BB4_1295 Depth=2
	s_andn2_saveexec_b32 s13, s13
; %bb.1492:                             ;   in Loop: Header=BB4_1295 Depth=2
	v_bfe_u32 v42, v46, 23, 1
; %bb.1493:                             ;   in Loop: Header=BB4_1295 Depth=2
	s_or_b32 exec_lo, exec_lo, s13
	v_lshrrev_b32_e32 v46, 20, v46
	v_cmp_gt_i32_e32 vcc_lo, 16, v42
	v_min_i32_e32 v56, 15, v42
	v_and_b32_sdwa v43, v43, v114 dst_sel:DWORD dst_unused:UNUSED_PAD src0_sel:BYTE_3 src1_sel:DWORD
	v_cndmask_b32_e32 v46, 7, v46, vcc_lo
	v_lshlrev_b32_e32 v56, 3, v56
	v_and_b32_e32 v57, 7, v46
	v_or_b32_e32 v42, v42, v46
	v_or3_b32 v43, v56, v43, v57
	v_cmp_ne_u32_e32 vcc_lo, 0, v42
	v_cndmask_b32_e32 v42, 0, v43, vcc_lo
.LBB4_1494:                             ;   in Loop: Header=BB4_1295 Depth=2
	s_or_b32 exec_lo, exec_lo, s29
.LBB4_1495:                             ;   in Loop: Header=BB4_1295 Depth=2
	s_or_b32 exec_lo, exec_lo, s28
	v_cmp_gt_i16_sdwa s28, v40, v101 src0_sel:BYTE_0 src1_sel:DWORD
	s_mov_b32 s13, 0
	s_and_saveexec_b32 s29, s28
	s_xor_b32 s28, exec_lo, s29
	s_cbranch_execz .LBB4_1653
; %bb.1496:                             ;   in Loop: Header=BB4_1295 Depth=2
	v_cmp_eq_u16_sdwa s40, v40, v114 src0_sel:BYTE_0 src1_sel:DWORD
	s_mov_b32 s13, -1
	s_and_saveexec_b32 s29, s40
; %bb.1497:                             ;   in Loop: Header=BB4_1295 Depth=2
	s_xor_b32 s13, exec_lo, -1
; %bb.1498:                             ;   in Loop: Header=BB4_1295 Depth=2
	s_or_b32 exec_lo, exec_lo, s29
	s_and_b32 s13, s13, exec_lo
	s_or_saveexec_b32 s28, s28
	v_mov_b32_e32 v43, 0x7f800001
	s_xor_b32 exec_lo, exec_lo, s28
	s_cbranch_execnz .LBB4_1654
.LBB4_1499:                             ;   in Loop: Header=BB4_1295 Depth=2
	s_or_b32 exec_lo, exec_lo, s28
	s_and_saveexec_b32 s28, s13
	s_cbranch_execz .LBB4_1501
.LBB4_1500:                             ;   in Loop: Header=BB4_1295 Depth=2
	v_and_b32_e32 v43, 7, v40
	v_lshrrev_b16 v56, 3, v40
	v_ffbh_u32_e32 v46, v43
	v_and_b32_e32 v56, 15, v56
	v_min_u32_e32 v46, 32, v46
	v_cmp_eq_u32_e32 vcc_lo, 0, v56
	v_subrev_nc_u32_e32 v57, 28, v46
	v_sub_nc_u32_e32 v46, 29, v46
	v_lshlrev_b32_e32 v57, v57, v40
	v_lshlrev_b32_e32 v40, 24, v40
	v_cndmask_b32_e32 v46, v56, v46, vcc_lo
	v_and_b32_e32 v57, 7, v57
	v_and_b32_e32 v40, 0x80000000, v40
	v_lshl_add_u32 v46, v46, 23, 0x3b800000
	v_cndmask_b32_e32 v43, v43, v57, vcc_lo
	v_lshlrev_b32_e32 v43, 20, v43
	v_or3_b32 v43, v40, v46, v43
.LBB4_1501:                             ;   in Loop: Header=BB4_1295 Depth=2
	s_or_b32 exec_lo, exec_lo, s28
	s_waitcnt vmcnt(5) lgkmcnt(5)
	v_cmp_gt_i16_sdwa s28, v119, v101 src0_sel:BYTE_0 src1_sel:DWORD
	s_mov_b32 s13, 0
	s_and_saveexec_b32 s29, s28
	s_xor_b32 s28, exec_lo, s29
	s_cbranch_execz .LBB4_1655
; %bb.1502:                             ;   in Loop: Header=BB4_1295 Depth=2
	v_cmp_eq_u16_sdwa s40, v119, v114 src0_sel:BYTE_0 src1_sel:DWORD
	s_mov_b32 s13, -1
	s_and_saveexec_b32 s29, s40
; %bb.1503:                             ;   in Loop: Header=BB4_1295 Depth=2
	s_xor_b32 s13, exec_lo, -1
; %bb.1504:                             ;   in Loop: Header=BB4_1295 Depth=2
	s_or_b32 exec_lo, exec_lo, s29
	s_and_b32 s13, s13, exec_lo
	s_or_saveexec_b32 s28, s28
	v_mov_b32_e32 v40, 0x7f800001
	s_xor_b32 exec_lo, exec_lo, s28
	s_cbranch_execnz .LBB4_1656
.LBB4_1505:                             ;   in Loop: Header=BB4_1295 Depth=2
	s_or_b32 exec_lo, exec_lo, s28
	s_and_saveexec_b32 s28, s13
	s_cbranch_execz .LBB4_1507
.LBB4_1506:                             ;   in Loop: Header=BB4_1295 Depth=2
	v_and_b32_e32 v40, 7, v119
	v_lshrrev_b16 v56, 3, v119
	v_ffbh_u32_e32 v46, v40
	v_and_b32_e32 v56, 15, v56
	v_min_u32_e32 v46, 32, v46
	v_cmp_eq_u32_e32 vcc_lo, 0, v56
	v_subrev_nc_u32_e32 v57, 28, v46
	v_sub_nc_u32_e32 v46, 29, v46
	v_lshlrev_b32_e32 v57, v57, v119
	v_lshlrev_b32_e32 v119, 24, v119
	v_cndmask_b32_e32 v46, v56, v46, vcc_lo
	v_and_b32_e32 v57, 7, v57
	v_and_b32_e32 v119, 0x80000000, v119
	v_lshl_add_u32 v46, v46, 23, 0x3b800000
	v_cndmask_b32_e32 v40, v40, v57, vcc_lo
	v_lshlrev_b32_e32 v40, 20, v40
	v_or3_b32 v40, v119, v46, v40
.LBB4_1507:                             ;   in Loop: Header=BB4_1295 Depth=2
	s_or_b32 exec_lo, exec_lo, s28
	v_add_f32_e32 v40, v43, v40
	v_and_b32_e32 v119, 0x7f800000, v40
	v_cmp_ne_u32_e32 vcc_lo, 0x7f800000, v119
	v_mov_b32_e32 v119, 0x80
	s_and_saveexec_b32 s28, vcc_lo
	s_cbranch_execz .LBB4_1515
; %bb.1508:                             ;   in Loop: Header=BB4_1295 Depth=2
	v_mov_b32_e32 v119, 0
	s_mov_b32 s29, exec_lo
	v_cmpx_ne_u32_e32 0, v40
	s_cbranch_execz .LBB4_1514
; %bb.1509:                             ;   in Loop: Header=BB4_1295 Depth=2
	v_bfe_u32 v119, v40, 23, 8
	v_and_b32_e32 v43, 0x7fffff, v40
	v_sub_nc_u32_e32 v46, 0x78, v119
	v_cmp_gt_u32_e32 vcc_lo, 0x79, v119
	v_or_b32_e32 v56, 0x800000, v43
	v_cndmask_b32_e32 v46, 0, v46, vcc_lo
	v_cmp_eq_u32_e32 vcc_lo, 0, v119
	v_add_nc_u32_e32 v119, 0xffffff89, v119
	v_cndmask_b32_e64 v46, v46, 0x77, vcc_lo
	v_cndmask_b32_e32 v43, v56, v43, vcc_lo
	v_cndmask_b32_e64 v119, v119, 0xffffff8a, vcc_lo
	v_lshl_add_u32 v56, 0x100000, v46, -1
	v_lshrrev_b32_e32 v57, v46, v43
	v_lshlrev_b32_e64 v59, v46, 0x80000
	v_add_nc_u32_e32 v46, v46, v119
	v_and_b32_e32 v43, v56, v43
	v_bfe_u32 v58, v57, 20, 1
	v_cmp_eq_u32_e64 s13, v43, v59
	v_add_nc_u32_e32 v56, -1, v58
	v_cndmask_b32_e64 v43, 0, v56, s13
	v_lshrrev_b32_e32 v56, 23, v57
	s_mov_b32 s13, exec_lo
	v_add_nc_u32_e32 v43, v43, v57
	v_xor_b32_e32 v56, 1, v56
	v_and_b32_e32 v119, 0xfffff, v43
	v_add_nc_u32_e32 v43, v119, v57
                                        ; implicit-def: $vgpr119
	v_cmpx_ne_u32_e64 v46, v56
	s_xor_b32 s13, exec_lo, s13
; %bb.1510:                             ;   in Loop: Header=BB4_1295 Depth=2
	v_cmp_lt_u32_e32 vcc_lo, 0xffffff, v43
	v_sub_nc_u32_e32 v119, v46, v56
	v_cndmask_b32_e64 v46, 0, 1, vcc_lo
	v_add_co_ci_u32_e64 v119, null, 0, v119, vcc_lo
	v_lshrrev_b32_e32 v43, v46, v43
; %bb.1511:                             ;   in Loop: Header=BB4_1295 Depth=2
	s_andn2_saveexec_b32 s13, s13
; %bb.1512:                             ;   in Loop: Header=BB4_1295 Depth=2
	v_bfe_u32 v119, v43, 23, 1
; %bb.1513:                             ;   in Loop: Header=BB4_1295 Depth=2
	s_or_b32 exec_lo, exec_lo, s13
	v_lshrrev_b32_e32 v43, 20, v43
	v_cmp_gt_i32_e32 vcc_lo, 16, v119
	v_min_i32_e32 v46, 15, v119
	v_and_b32_sdwa v40, v40, v114 dst_sel:DWORD dst_unused:UNUSED_PAD src0_sel:BYTE_3 src1_sel:DWORD
	v_cndmask_b32_e32 v43, 7, v43, vcc_lo
	v_lshlrev_b32_e32 v46, 3, v46
	v_and_b32_e32 v56, 7, v43
	v_or_b32_e32 v119, v119, v43
	v_or3_b32 v40, v46, v40, v56
	v_cmp_ne_u32_e32 vcc_lo, 0, v119
	v_cndmask_b32_e32 v119, 0, v40, vcc_lo
.LBB4_1514:                             ;   in Loop: Header=BB4_1295 Depth=2
	s_or_b32 exec_lo, exec_lo, s29
.LBB4_1515:                             ;   in Loop: Header=BB4_1295 Depth=2
	s_or_b32 exec_lo, exec_lo, s28
	v_cmp_gt_i16_sdwa s28, v82, v101 src0_sel:BYTE_0 src1_sel:DWORD
	s_mov_b32 s13, 0
	s_and_saveexec_b32 s29, s28
	s_xor_b32 s28, exec_lo, s29
	s_cbranch_execz .LBB4_1657
; %bb.1516:                             ;   in Loop: Header=BB4_1295 Depth=2
	v_cmp_eq_u16_sdwa s40, v82, v114 src0_sel:BYTE_0 src1_sel:DWORD
	s_mov_b32 s13, -1
	s_and_saveexec_b32 s29, s40
; %bb.1517:                             ;   in Loop: Header=BB4_1295 Depth=2
	s_xor_b32 s13, exec_lo, -1
; %bb.1518:                             ;   in Loop: Header=BB4_1295 Depth=2
	s_or_b32 exec_lo, exec_lo, s29
	s_and_b32 s13, s13, exec_lo
	s_or_saveexec_b32 s28, s28
	v_mov_b32_e32 v40, 0x7f800001
	s_xor_b32 exec_lo, exec_lo, s28
	s_cbranch_execnz .LBB4_1658
.LBB4_1519:                             ;   in Loop: Header=BB4_1295 Depth=2
	s_or_b32 exec_lo, exec_lo, s28
	s_and_saveexec_b32 s28, s13
	s_cbranch_execz .LBB4_1521
.LBB4_1520:                             ;   in Loop: Header=BB4_1295 Depth=2
	v_and_b32_e32 v40, 7, v82
	v_lshrrev_b16 v46, 3, v82
	v_ffbh_u32_e32 v43, v40
	v_and_b32_e32 v46, 15, v46
	v_min_u32_e32 v43, 32, v43
	v_cmp_eq_u32_e32 vcc_lo, 0, v46
	v_subrev_nc_u32_e32 v56, 28, v43
	v_sub_nc_u32_e32 v43, 29, v43
	v_lshlrev_b32_e32 v56, v56, v82
	v_lshlrev_b32_e32 v82, 24, v82
	v_cndmask_b32_e32 v43, v46, v43, vcc_lo
	v_and_b32_e32 v56, 7, v56
	v_and_b32_e32 v82, 0x80000000, v82
	v_lshl_add_u32 v43, v43, 23, 0x3b800000
	v_cndmask_b32_e32 v40, v40, v56, vcc_lo
	v_lshlrev_b32_e32 v40, 20, v40
	v_or3_b32 v40, v82, v43, v40
.LBB4_1521:                             ;   in Loop: Header=BB4_1295 Depth=2
	s_or_b32 exec_lo, exec_lo, s28
	s_waitcnt vmcnt(4) lgkmcnt(4)
	v_cmp_gt_i16_sdwa s28, v81, v101 src0_sel:BYTE_0 src1_sel:DWORD
	s_mov_b32 s13, 0
	s_and_saveexec_b32 s29, s28
	s_xor_b32 s28, exec_lo, s29
	s_cbranch_execz .LBB4_1659
; %bb.1522:                             ;   in Loop: Header=BB4_1295 Depth=2
	v_cmp_eq_u16_sdwa s40, v81, v114 src0_sel:BYTE_0 src1_sel:DWORD
	s_mov_b32 s13, -1
	s_and_saveexec_b32 s29, s40
; %bb.1523:                             ;   in Loop: Header=BB4_1295 Depth=2
	s_xor_b32 s13, exec_lo, -1
; %bb.1524:                             ;   in Loop: Header=BB4_1295 Depth=2
	s_or_b32 exec_lo, exec_lo, s29
	s_and_b32 s13, s13, exec_lo
	s_or_saveexec_b32 s28, s28
	v_mov_b32_e32 v82, 0x7f800001
	s_xor_b32 exec_lo, exec_lo, s28
	s_cbranch_execnz .LBB4_1660
.LBB4_1525:                             ;   in Loop: Header=BB4_1295 Depth=2
	s_or_b32 exec_lo, exec_lo, s28
	s_and_saveexec_b32 s28, s13
	s_cbranch_execz .LBB4_1527
.LBB4_1526:                             ;   in Loop: Header=BB4_1295 Depth=2
	v_and_b32_e32 v82, 7, v81
	v_lshrrev_b16 v46, 3, v81
	v_ffbh_u32_e32 v43, v82
	v_and_b32_e32 v46, 15, v46
	v_min_u32_e32 v43, 32, v43
	v_cmp_eq_u32_e32 vcc_lo, 0, v46
	v_subrev_nc_u32_e32 v56, 28, v43
	v_sub_nc_u32_e32 v43, 29, v43
	v_lshlrev_b32_e32 v56, v56, v81
	v_lshlrev_b32_e32 v81, 24, v81
	v_cndmask_b32_e32 v43, v46, v43, vcc_lo
	v_and_b32_e32 v56, 7, v56
	v_and_b32_e32 v81, 0x80000000, v81
	v_lshl_add_u32 v43, v43, 23, 0x3b800000
	v_cndmask_b32_e32 v82, v82, v56, vcc_lo
	v_lshlrev_b32_e32 v82, 20, v82
	v_or3_b32 v82, v81, v43, v82
.LBB4_1527:                             ;   in Loop: Header=BB4_1295 Depth=2
	s_or_b32 exec_lo, exec_lo, s28
	v_add_f32_e32 v82, v40, v82
	v_and_b32_e32 v81, 0x7f800000, v82
	v_cmp_ne_u32_e32 vcc_lo, 0x7f800000, v81
	v_mov_b32_e32 v81, 0x80
	s_and_saveexec_b32 s28, vcc_lo
	s_cbranch_execz .LBB4_1535
; %bb.1528:                             ;   in Loop: Header=BB4_1295 Depth=2
	v_mov_b32_e32 v81, 0
	s_mov_b32 s29, exec_lo
	v_cmpx_ne_u32_e32 0, v82
	s_cbranch_execz .LBB4_1534
; %bb.1529:                             ;   in Loop: Header=BB4_1295 Depth=2
	v_bfe_u32 v81, v82, 23, 8
	v_and_b32_e32 v40, 0x7fffff, v82
	v_sub_nc_u32_e32 v43, 0x78, v81
	v_cmp_gt_u32_e32 vcc_lo, 0x79, v81
	v_or_b32_e32 v46, 0x800000, v40
	v_cndmask_b32_e32 v43, 0, v43, vcc_lo
	v_cmp_eq_u32_e32 vcc_lo, 0, v81
	v_add_nc_u32_e32 v81, 0xffffff89, v81
	v_cndmask_b32_e64 v43, v43, 0x77, vcc_lo
	v_cndmask_b32_e32 v40, v46, v40, vcc_lo
	v_cndmask_b32_e64 v81, v81, 0xffffff8a, vcc_lo
	v_lshl_add_u32 v46, 0x100000, v43, -1
	v_lshrrev_b32_e32 v56, v43, v40
	v_lshlrev_b32_e64 v58, v43, 0x80000
	v_add_nc_u32_e32 v43, v43, v81
	v_and_b32_e32 v40, v46, v40
	v_bfe_u32 v57, v56, 20, 1
	v_cmp_eq_u32_e64 s13, v40, v58
	v_add_nc_u32_e32 v46, -1, v57
	v_cndmask_b32_e64 v40, 0, v46, s13
	v_lshrrev_b32_e32 v46, 23, v56
	s_mov_b32 s13, exec_lo
	v_add_nc_u32_e32 v40, v40, v56
	v_xor_b32_e32 v46, 1, v46
	v_and_b32_e32 v81, 0xfffff, v40
	v_add_nc_u32_e32 v40, v81, v56
                                        ; implicit-def: $vgpr81
	v_cmpx_ne_u32_e64 v43, v46
	s_xor_b32 s13, exec_lo, s13
; %bb.1530:                             ;   in Loop: Header=BB4_1295 Depth=2
	v_cmp_lt_u32_e32 vcc_lo, 0xffffff, v40
	v_sub_nc_u32_e32 v81, v43, v46
	v_cndmask_b32_e64 v43, 0, 1, vcc_lo
	v_add_co_ci_u32_e64 v81, null, 0, v81, vcc_lo
	v_lshrrev_b32_e32 v40, v43, v40
; %bb.1531:                             ;   in Loop: Header=BB4_1295 Depth=2
	s_andn2_saveexec_b32 s13, s13
; %bb.1532:                             ;   in Loop: Header=BB4_1295 Depth=2
	v_bfe_u32 v81, v40, 23, 1
; %bb.1533:                             ;   in Loop: Header=BB4_1295 Depth=2
	s_or_b32 exec_lo, exec_lo, s13
	v_lshrrev_b32_e32 v40, 20, v40
	v_cmp_gt_i32_e32 vcc_lo, 16, v81
	v_min_i32_e32 v43, 15, v81
	v_and_b32_sdwa v82, v82, v114 dst_sel:DWORD dst_unused:UNUSED_PAD src0_sel:BYTE_3 src1_sel:DWORD
	v_cndmask_b32_e32 v40, 7, v40, vcc_lo
	v_lshlrev_b32_e32 v43, 3, v43
	v_and_b32_e32 v46, 7, v40
	v_or_b32_e32 v81, v81, v40
	v_or3_b32 v82, v43, v82, v46
	v_cmp_ne_u32_e32 vcc_lo, 0, v81
	v_cndmask_b32_e32 v81, 0, v82, vcc_lo
.LBB4_1534:                             ;   in Loop: Header=BB4_1295 Depth=2
	s_or_b32 exec_lo, exec_lo, s29
.LBB4_1535:                             ;   in Loop: Header=BB4_1295 Depth=2
	s_or_b32 exec_lo, exec_lo, s28
	v_cmp_gt_i16_sdwa s28, v71, v101 src0_sel:BYTE_0 src1_sel:DWORD
	s_mov_b32 s13, 0
	s_and_saveexec_b32 s29, s28
	s_xor_b32 s28, exec_lo, s29
	s_cbranch_execz .LBB4_1661
; %bb.1536:                             ;   in Loop: Header=BB4_1295 Depth=2
	v_cmp_eq_u16_sdwa s40, v71, v114 src0_sel:BYTE_0 src1_sel:DWORD
	s_mov_b32 s13, -1
	s_and_saveexec_b32 s29, s40
; %bb.1537:                             ;   in Loop: Header=BB4_1295 Depth=2
	s_xor_b32 s13, exec_lo, -1
; %bb.1538:                             ;   in Loop: Header=BB4_1295 Depth=2
	s_or_b32 exec_lo, exec_lo, s29
	s_and_b32 s13, s13, exec_lo
	s_or_saveexec_b32 s28, s28
	v_mov_b32_e32 v82, 0x7f800001
	s_xor_b32 exec_lo, exec_lo, s28
	s_cbranch_execnz .LBB4_1662
.LBB4_1539:                             ;   in Loop: Header=BB4_1295 Depth=2
	s_or_b32 exec_lo, exec_lo, s28
	s_and_saveexec_b32 s28, s13
	s_cbranch_execz .LBB4_1541
.LBB4_1540:                             ;   in Loop: Header=BB4_1295 Depth=2
	v_and_b32_e32 v82, 7, v71
	v_lshrrev_b16 v43, 3, v71
	v_ffbh_u32_e32 v40, v82
	v_and_b32_e32 v43, 15, v43
	v_min_u32_e32 v40, 32, v40
	v_cmp_eq_u32_e32 vcc_lo, 0, v43
	v_subrev_nc_u32_e32 v46, 28, v40
	v_sub_nc_u32_e32 v40, 29, v40
	v_lshlrev_b32_e32 v46, v46, v71
	v_lshlrev_b32_e32 v71, 24, v71
	v_cndmask_b32_e32 v40, v43, v40, vcc_lo
	v_and_b32_e32 v46, 7, v46
	v_and_b32_e32 v71, 0x80000000, v71
	v_lshl_add_u32 v40, v40, 23, 0x3b800000
	v_cndmask_b32_e32 v82, v82, v46, vcc_lo
	v_lshlrev_b32_e32 v82, 20, v82
	v_or3_b32 v82, v71, v40, v82
.LBB4_1541:                             ;   in Loop: Header=BB4_1295 Depth=2
	s_or_b32 exec_lo, exec_lo, s28
	s_waitcnt vmcnt(3) lgkmcnt(3)
	v_cmp_gt_i16_sdwa s28, v70, v101 src0_sel:BYTE_0 src1_sel:DWORD
	s_mov_b32 s13, 0
	s_and_saveexec_b32 s29, s28
	s_xor_b32 s28, exec_lo, s29
	s_cbranch_execz .LBB4_1663
; %bb.1542:                             ;   in Loop: Header=BB4_1295 Depth=2
	v_cmp_eq_u16_sdwa s40, v70, v114 src0_sel:BYTE_0 src1_sel:DWORD
	s_mov_b32 s13, -1
	s_and_saveexec_b32 s29, s40
; %bb.1543:                             ;   in Loop: Header=BB4_1295 Depth=2
	s_xor_b32 s13, exec_lo, -1
; %bb.1544:                             ;   in Loop: Header=BB4_1295 Depth=2
	s_or_b32 exec_lo, exec_lo, s29
	s_and_b32 s13, s13, exec_lo
	s_or_saveexec_b32 s28, s28
	v_mov_b32_e32 v71, 0x7f800001
	s_xor_b32 exec_lo, exec_lo, s28
	s_cbranch_execnz .LBB4_1664
.LBB4_1545:                             ;   in Loop: Header=BB4_1295 Depth=2
	s_or_b32 exec_lo, exec_lo, s28
	s_and_saveexec_b32 s28, s13
	s_cbranch_execz .LBB4_1547
.LBB4_1546:                             ;   in Loop: Header=BB4_1295 Depth=2
	v_and_b32_e32 v71, 7, v70
	v_lshrrev_b16 v43, 3, v70
	v_ffbh_u32_e32 v40, v71
	v_and_b32_e32 v43, 15, v43
	v_min_u32_e32 v40, 32, v40
	v_cmp_eq_u32_e32 vcc_lo, 0, v43
	v_subrev_nc_u32_e32 v46, 28, v40
	v_sub_nc_u32_e32 v40, 29, v40
	v_lshlrev_b32_e32 v46, v46, v70
	v_lshlrev_b32_e32 v70, 24, v70
	v_cndmask_b32_e32 v40, v43, v40, vcc_lo
	v_and_b32_e32 v46, 7, v46
	v_and_b32_e32 v70, 0x80000000, v70
	v_lshl_add_u32 v40, v40, 23, 0x3b800000
	v_cndmask_b32_e32 v71, v71, v46, vcc_lo
	v_lshlrev_b32_e32 v71, 20, v71
	v_or3_b32 v71, v70, v40, v71
.LBB4_1547:                             ;   in Loop: Header=BB4_1295 Depth=2
	s_or_b32 exec_lo, exec_lo, s28
	v_add_f32_e32 v71, v82, v71
	v_and_b32_e32 v70, 0x7f800000, v71
	v_cmp_ne_u32_e32 vcc_lo, 0x7f800000, v70
	v_mov_b32_e32 v70, 0x80
	s_and_saveexec_b32 s28, vcc_lo
	s_cbranch_execz .LBB4_1555
; %bb.1548:                             ;   in Loop: Header=BB4_1295 Depth=2
	v_mov_b32_e32 v70, 0
	s_mov_b32 s29, exec_lo
	v_cmpx_ne_u32_e32 0, v71
	s_cbranch_execz .LBB4_1554
; %bb.1549:                             ;   in Loop: Header=BB4_1295 Depth=2
	v_bfe_u32 v70, v71, 23, 8
	v_and_b32_e32 v82, 0x7fffff, v71
	v_sub_nc_u32_e32 v40, 0x78, v70
	v_cmp_gt_u32_e32 vcc_lo, 0x79, v70
	v_or_b32_e32 v43, 0x800000, v82
	v_cndmask_b32_e32 v40, 0, v40, vcc_lo
	v_cmp_eq_u32_e32 vcc_lo, 0, v70
	v_add_nc_u32_e32 v70, 0xffffff89, v70
	v_cndmask_b32_e64 v40, v40, 0x77, vcc_lo
	v_cndmask_b32_e32 v82, v43, v82, vcc_lo
	v_cndmask_b32_e64 v70, v70, 0xffffff8a, vcc_lo
	v_lshl_add_u32 v43, 0x100000, v40, -1
	v_lshrrev_b32_e32 v46, v40, v82
	v_lshlrev_b32_e64 v57, v40, 0x80000
	v_add_nc_u32_e32 v40, v40, v70
	v_and_b32_e32 v82, v43, v82
	v_bfe_u32 v56, v46, 20, 1
	v_cmp_eq_u32_e64 s13, v82, v57
	v_add_nc_u32_e32 v43, -1, v56
	v_cndmask_b32_e64 v82, 0, v43, s13
	v_lshrrev_b32_e32 v43, 23, v46
	s_mov_b32 s13, exec_lo
	v_add_nc_u32_e32 v82, v82, v46
	v_xor_b32_e32 v43, 1, v43
	v_and_b32_e32 v70, 0xfffff, v82
	v_add_nc_u32_e32 v82, v70, v46
                                        ; implicit-def: $vgpr70
	v_cmpx_ne_u32_e64 v40, v43
	s_xor_b32 s13, exec_lo, s13
; %bb.1550:                             ;   in Loop: Header=BB4_1295 Depth=2
	v_cmp_lt_u32_e32 vcc_lo, 0xffffff, v82
	v_sub_nc_u32_e32 v70, v40, v43
	v_cndmask_b32_e64 v40, 0, 1, vcc_lo
	v_add_co_ci_u32_e64 v70, null, 0, v70, vcc_lo
	v_lshrrev_b32_e32 v82, v40, v82
; %bb.1551:                             ;   in Loop: Header=BB4_1295 Depth=2
	s_andn2_saveexec_b32 s13, s13
; %bb.1552:                             ;   in Loop: Header=BB4_1295 Depth=2
	v_bfe_u32 v70, v82, 23, 1
; %bb.1553:                             ;   in Loop: Header=BB4_1295 Depth=2
	s_or_b32 exec_lo, exec_lo, s13
	v_lshrrev_b32_e32 v82, 20, v82
	v_cmp_gt_i32_e32 vcc_lo, 16, v70
	v_min_i32_e32 v40, 15, v70
	v_and_b32_sdwa v71, v71, v114 dst_sel:DWORD dst_unused:UNUSED_PAD src0_sel:BYTE_3 src1_sel:DWORD
	v_cndmask_b32_e32 v82, 7, v82, vcc_lo
	v_lshlrev_b32_e32 v40, 3, v40
	v_and_b32_e32 v43, 7, v82
	v_or_b32_e32 v70, v70, v82
	v_or3_b32 v71, v40, v71, v43
	v_cmp_ne_u32_e32 vcc_lo, 0, v70
	v_cndmask_b32_e32 v70, 0, v71, vcc_lo
.LBB4_1554:                             ;   in Loop: Header=BB4_1295 Depth=2
	s_or_b32 exec_lo, exec_lo, s29
.LBB4_1555:                             ;   in Loop: Header=BB4_1295 Depth=2
	s_or_b32 exec_lo, exec_lo, s28
	v_cmp_gt_i16_sdwa s28, v68, v101 src0_sel:BYTE_0 src1_sel:DWORD
	s_mov_b32 s13, 0
	s_and_saveexec_b32 s29, s28
	s_xor_b32 s28, exec_lo, s29
	s_cbranch_execz .LBB4_1665
; %bb.1556:                             ;   in Loop: Header=BB4_1295 Depth=2
	v_cmp_eq_u16_sdwa s40, v68, v114 src0_sel:BYTE_0 src1_sel:DWORD
	s_mov_b32 s13, -1
	s_and_saveexec_b32 s29, s40
; %bb.1557:                             ;   in Loop: Header=BB4_1295 Depth=2
	s_xor_b32 s13, exec_lo, -1
; %bb.1558:                             ;   in Loop: Header=BB4_1295 Depth=2
	s_or_b32 exec_lo, exec_lo, s29
	s_and_b32 s13, s13, exec_lo
	s_or_saveexec_b32 s28, s28
	v_mov_b32_e32 v71, 0x7f800001
	s_xor_b32 exec_lo, exec_lo, s28
	s_cbranch_execnz .LBB4_1666
.LBB4_1559:                             ;   in Loop: Header=BB4_1295 Depth=2
	s_or_b32 exec_lo, exec_lo, s28
	s_and_saveexec_b32 s28, s13
	s_cbranch_execz .LBB4_1561
.LBB4_1560:                             ;   in Loop: Header=BB4_1295 Depth=2
	v_and_b32_e32 v71, 7, v68
	v_lshrrev_b16 v40, 3, v68
	v_ffbh_u32_e32 v82, v71
	v_and_b32_e32 v40, 15, v40
	v_min_u32_e32 v82, 32, v82
	v_cmp_eq_u32_e32 vcc_lo, 0, v40
	v_subrev_nc_u32_e32 v43, 28, v82
	v_sub_nc_u32_e32 v82, 29, v82
	v_lshlrev_b32_e32 v43, v43, v68
	v_lshlrev_b32_e32 v68, 24, v68
	v_cndmask_b32_e32 v82, v40, v82, vcc_lo
	v_and_b32_e32 v43, 7, v43
	v_and_b32_e32 v68, 0x80000000, v68
	v_lshl_add_u32 v82, v82, 23, 0x3b800000
	v_cndmask_b32_e32 v71, v71, v43, vcc_lo
	v_lshlrev_b32_e32 v71, 20, v71
	v_or3_b32 v71, v68, v82, v71
.LBB4_1561:                             ;   in Loop: Header=BB4_1295 Depth=2
	s_or_b32 exec_lo, exec_lo, s28
	s_waitcnt vmcnt(2) lgkmcnt(2)
	v_cmp_gt_i16_sdwa s28, v67, v101 src0_sel:BYTE_0 src1_sel:DWORD
	s_mov_b32 s13, 0
	s_and_saveexec_b32 s29, s28
	s_xor_b32 s28, exec_lo, s29
	s_cbranch_execz .LBB4_1667
; %bb.1562:                             ;   in Loop: Header=BB4_1295 Depth=2
	v_cmp_eq_u16_sdwa s40, v67, v114 src0_sel:BYTE_0 src1_sel:DWORD
	s_mov_b32 s13, -1
	s_and_saveexec_b32 s29, s40
; %bb.1563:                             ;   in Loop: Header=BB4_1295 Depth=2
	s_xor_b32 s13, exec_lo, -1
; %bb.1564:                             ;   in Loop: Header=BB4_1295 Depth=2
	s_or_b32 exec_lo, exec_lo, s29
	s_and_b32 s13, s13, exec_lo
	s_or_saveexec_b32 s28, s28
	v_mov_b32_e32 v68, 0x7f800001
	s_xor_b32 exec_lo, exec_lo, s28
	s_cbranch_execnz .LBB4_1668
.LBB4_1565:                             ;   in Loop: Header=BB4_1295 Depth=2
	s_or_b32 exec_lo, exec_lo, s28
	s_and_saveexec_b32 s28, s13
	s_cbranch_execz .LBB4_1567
.LBB4_1566:                             ;   in Loop: Header=BB4_1295 Depth=2
	v_and_b32_e32 v68, 7, v67
	v_lshrrev_b16 v40, 3, v67
	v_ffbh_u32_e32 v82, v68
	v_and_b32_e32 v40, 15, v40
	v_min_u32_e32 v82, 32, v82
	v_cmp_eq_u32_e32 vcc_lo, 0, v40
	v_subrev_nc_u32_e32 v43, 28, v82
	v_sub_nc_u32_e32 v82, 29, v82
	v_lshlrev_b32_e32 v43, v43, v67
	v_lshlrev_b32_e32 v67, 24, v67
	v_cndmask_b32_e32 v82, v40, v82, vcc_lo
	v_and_b32_e32 v43, 7, v43
	v_and_b32_e32 v67, 0x80000000, v67
	v_lshl_add_u32 v82, v82, 23, 0x3b800000
	v_cndmask_b32_e32 v68, v68, v43, vcc_lo
	v_lshlrev_b32_e32 v68, 20, v68
	v_or3_b32 v68, v67, v82, v68
.LBB4_1567:                             ;   in Loop: Header=BB4_1295 Depth=2
	s_or_b32 exec_lo, exec_lo, s28
	v_add_f32_e32 v68, v71, v68
	v_and_b32_e32 v67, 0x7f800000, v68
	v_cmp_ne_u32_e32 vcc_lo, 0x7f800000, v67
	v_mov_b32_e32 v67, 0x80
	s_and_saveexec_b32 s28, vcc_lo
	s_cbranch_execz .LBB4_1575
; %bb.1568:                             ;   in Loop: Header=BB4_1295 Depth=2
	v_mov_b32_e32 v67, 0
	s_mov_b32 s29, exec_lo
	v_cmpx_ne_u32_e32 0, v68
	s_cbranch_execz .LBB4_1574
; %bb.1569:                             ;   in Loop: Header=BB4_1295 Depth=2
	v_bfe_u32 v67, v68, 23, 8
	v_and_b32_e32 v71, 0x7fffff, v68
	v_sub_nc_u32_e32 v82, 0x78, v67
	v_cmp_gt_u32_e32 vcc_lo, 0x79, v67
	v_or_b32_e32 v40, 0x800000, v71
	v_cndmask_b32_e32 v82, 0, v82, vcc_lo
	v_cmp_eq_u32_e32 vcc_lo, 0, v67
	v_add_nc_u32_e32 v67, 0xffffff89, v67
	v_cndmask_b32_e64 v82, v82, 0x77, vcc_lo
	v_cndmask_b32_e32 v71, v40, v71, vcc_lo
	v_cndmask_b32_e64 v67, v67, 0xffffff8a, vcc_lo
	v_lshl_add_u32 v40, 0x100000, v82, -1
	v_lshrrev_b32_e32 v43, v82, v71
	v_lshlrev_b32_e64 v56, v82, 0x80000
	v_add_nc_u32_e32 v82, v82, v67
	v_and_b32_e32 v71, v40, v71
	v_bfe_u32 v46, v43, 20, 1
	v_cmp_eq_u32_e64 s13, v71, v56
	v_add_nc_u32_e32 v40, -1, v46
	v_cndmask_b32_e64 v71, 0, v40, s13
	v_lshrrev_b32_e32 v40, 23, v43
	s_mov_b32 s13, exec_lo
	v_add_nc_u32_e32 v71, v71, v43
	v_xor_b32_e32 v40, 1, v40
	v_and_b32_e32 v67, 0xfffff, v71
	v_add_nc_u32_e32 v71, v67, v43
                                        ; implicit-def: $vgpr67
	v_cmpx_ne_u32_e64 v82, v40
	s_xor_b32 s13, exec_lo, s13
; %bb.1570:                             ;   in Loop: Header=BB4_1295 Depth=2
	v_cmp_lt_u32_e32 vcc_lo, 0xffffff, v71
	v_sub_nc_u32_e32 v67, v82, v40
	v_cndmask_b32_e64 v82, 0, 1, vcc_lo
	v_add_co_ci_u32_e64 v67, null, 0, v67, vcc_lo
	v_lshrrev_b32_e32 v71, v82, v71
; %bb.1571:                             ;   in Loop: Header=BB4_1295 Depth=2
	s_andn2_saveexec_b32 s13, s13
; %bb.1572:                             ;   in Loop: Header=BB4_1295 Depth=2
	v_bfe_u32 v67, v71, 23, 1
; %bb.1573:                             ;   in Loop: Header=BB4_1295 Depth=2
	s_or_b32 exec_lo, exec_lo, s13
	v_lshrrev_b32_e32 v71, 20, v71
	v_cmp_gt_i32_e32 vcc_lo, 16, v67
	v_min_i32_e32 v82, 15, v67
	v_and_b32_sdwa v68, v68, v114 dst_sel:DWORD dst_unused:UNUSED_PAD src0_sel:BYTE_3 src1_sel:DWORD
	v_cndmask_b32_e32 v71, 7, v71, vcc_lo
	v_lshlrev_b32_e32 v82, 3, v82
	v_and_b32_e32 v40, 7, v71
	v_or_b32_e32 v67, v67, v71
	v_or3_b32 v68, v82, v68, v40
	v_cmp_ne_u32_e32 vcc_lo, 0, v67
	v_cndmask_b32_e32 v67, 0, v68, vcc_lo
.LBB4_1574:                             ;   in Loop: Header=BB4_1295 Depth=2
	s_or_b32 exec_lo, exec_lo, s29
.LBB4_1575:                             ;   in Loop: Header=BB4_1295 Depth=2
	s_or_b32 exec_lo, exec_lo, s28
	v_cmp_gt_i16_sdwa s28, v25, v101 src0_sel:BYTE_0 src1_sel:DWORD
	s_mov_b32 s13, 0
	s_and_saveexec_b32 s29, s28
	s_xor_b32 s28, exec_lo, s29
	s_cbranch_execz .LBB4_1669
; %bb.1576:                             ;   in Loop: Header=BB4_1295 Depth=2
	v_cmp_eq_u16_sdwa s40, v25, v114 src0_sel:BYTE_0 src1_sel:DWORD
	s_mov_b32 s13, -1
	s_and_saveexec_b32 s29, s40
; %bb.1577:                             ;   in Loop: Header=BB4_1295 Depth=2
	s_xor_b32 s13, exec_lo, -1
; %bb.1578:                             ;   in Loop: Header=BB4_1295 Depth=2
	s_or_b32 exec_lo, exec_lo, s29
	s_and_b32 s13, s13, exec_lo
	s_or_saveexec_b32 s28, s28
	v_mov_b32_e32 v68, 0x7f800001
	s_xor_b32 exec_lo, exec_lo, s28
	s_cbranch_execnz .LBB4_1670
.LBB4_1579:                             ;   in Loop: Header=BB4_1295 Depth=2
	s_or_b32 exec_lo, exec_lo, s28
	s_and_saveexec_b32 s28, s13
	s_cbranch_execz .LBB4_1581
.LBB4_1580:                             ;   in Loop: Header=BB4_1295 Depth=2
	v_and_b32_e32 v68, 7, v25
	v_lshrrev_b16 v82, 3, v25
	v_ffbh_u32_e32 v71, v68
	v_and_b32_e32 v82, 15, v82
	v_min_u32_e32 v71, 32, v71
	v_cmp_eq_u32_e32 vcc_lo, 0, v82
	v_subrev_nc_u32_e32 v40, 28, v71
	v_sub_nc_u32_e32 v71, 29, v71
	v_lshlrev_b32_e32 v40, v40, v25
	v_lshlrev_b32_e32 v25, 24, v25
	v_cndmask_b32_e32 v71, v82, v71, vcc_lo
	v_and_b32_e32 v40, 7, v40
	v_and_b32_e32 v25, 0x80000000, v25
	v_lshl_add_u32 v71, v71, 23, 0x3b800000
	v_cndmask_b32_e32 v68, v68, v40, vcc_lo
	v_lshlrev_b32_e32 v68, 20, v68
	v_or3_b32 v68, v25, v71, v68
.LBB4_1581:                             ;   in Loop: Header=BB4_1295 Depth=2
	s_or_b32 exec_lo, exec_lo, s28
	s_waitcnt vmcnt(1) lgkmcnt(1)
	v_cmp_gt_i16_sdwa s28, v24, v101 src0_sel:BYTE_0 src1_sel:DWORD
	s_mov_b32 s13, 0
	s_and_saveexec_b32 s29, s28
	s_xor_b32 s28, exec_lo, s29
	s_cbranch_execz .LBB4_1671
; %bb.1582:                             ;   in Loop: Header=BB4_1295 Depth=2
	v_cmp_eq_u16_sdwa s40, v24, v114 src0_sel:BYTE_0 src1_sel:DWORD
	s_mov_b32 s13, -1
	s_and_saveexec_b32 s29, s40
; %bb.1583:                             ;   in Loop: Header=BB4_1295 Depth=2
	s_xor_b32 s13, exec_lo, -1
; %bb.1584:                             ;   in Loop: Header=BB4_1295 Depth=2
	s_or_b32 exec_lo, exec_lo, s29
	s_and_b32 s13, s13, exec_lo
	s_or_saveexec_b32 s28, s28
	v_mov_b32_e32 v25, 0x7f800001
	s_xor_b32 exec_lo, exec_lo, s28
	s_cbranch_execnz .LBB4_1672
.LBB4_1585:                             ;   in Loop: Header=BB4_1295 Depth=2
	s_or_b32 exec_lo, exec_lo, s28
	s_and_saveexec_b32 s28, s13
	s_cbranch_execz .LBB4_1587
.LBB4_1586:                             ;   in Loop: Header=BB4_1295 Depth=2
	v_and_b32_e32 v25, 7, v24
	v_lshrrev_b16 v82, 3, v24
	v_ffbh_u32_e32 v71, v25
	v_and_b32_e32 v82, 15, v82
	v_min_u32_e32 v71, 32, v71
	v_cmp_eq_u32_e32 vcc_lo, 0, v82
	v_subrev_nc_u32_e32 v40, 28, v71
	v_sub_nc_u32_e32 v71, 29, v71
	v_lshlrev_b32_e32 v40, v40, v24
	v_lshlrev_b32_e32 v24, 24, v24
	v_cndmask_b32_e32 v71, v82, v71, vcc_lo
	v_and_b32_e32 v40, 7, v40
	v_and_b32_e32 v24, 0x80000000, v24
	v_lshl_add_u32 v71, v71, 23, 0x3b800000
	v_cndmask_b32_e32 v25, v25, v40, vcc_lo
	v_lshlrev_b32_e32 v25, 20, v25
	v_or3_b32 v25, v24, v71, v25
.LBB4_1587:                             ;   in Loop: Header=BB4_1295 Depth=2
	s_or_b32 exec_lo, exec_lo, s28
	v_add_f32_e32 v25, v68, v25
	v_and_b32_e32 v24, 0x7f800000, v25
	v_cmp_ne_u32_e32 vcc_lo, 0x7f800000, v24
	v_mov_b32_e32 v24, 0x80
	s_and_saveexec_b32 s28, vcc_lo
	s_cbranch_execz .LBB4_1595
; %bb.1588:                             ;   in Loop: Header=BB4_1295 Depth=2
	v_mov_b32_e32 v24, 0
	s_mov_b32 s29, exec_lo
	v_cmpx_ne_u32_e32 0, v25
	s_cbranch_execz .LBB4_1594
; %bb.1589:                             ;   in Loop: Header=BB4_1295 Depth=2
	v_bfe_u32 v24, v25, 23, 8
	v_and_b32_e32 v68, 0x7fffff, v25
	v_sub_nc_u32_e32 v71, 0x78, v24
	v_cmp_gt_u32_e32 vcc_lo, 0x79, v24
	v_or_b32_e32 v82, 0x800000, v68
	v_cndmask_b32_e32 v71, 0, v71, vcc_lo
	v_cmp_eq_u32_e32 vcc_lo, 0, v24
	v_add_nc_u32_e32 v24, 0xffffff89, v24
	v_cndmask_b32_e64 v71, v71, 0x77, vcc_lo
	v_cndmask_b32_e32 v68, v82, v68, vcc_lo
	v_cndmask_b32_e64 v24, v24, 0xffffff8a, vcc_lo
	v_lshl_add_u32 v82, 0x100000, v71, -1
	v_lshrrev_b32_e32 v40, v71, v68
	v_lshlrev_b32_e64 v46, v71, 0x80000
	v_add_nc_u32_e32 v71, v71, v24
	v_and_b32_e32 v68, v82, v68
	v_bfe_u32 v43, v40, 20, 1
	v_cmp_eq_u32_e64 s13, v68, v46
	v_add_nc_u32_e32 v82, -1, v43
	v_cndmask_b32_e64 v68, 0, v82, s13
	v_lshrrev_b32_e32 v82, 23, v40
	s_mov_b32 s13, exec_lo
	v_add_nc_u32_e32 v68, v68, v40
	v_xor_b32_e32 v82, 1, v82
	v_and_b32_e32 v24, 0xfffff, v68
	v_add_nc_u32_e32 v68, v24, v40
                                        ; implicit-def: $vgpr24
	v_cmpx_ne_u32_e64 v71, v82
	s_xor_b32 s13, exec_lo, s13
; %bb.1590:                             ;   in Loop: Header=BB4_1295 Depth=2
	v_cmp_lt_u32_e32 vcc_lo, 0xffffff, v68
	v_sub_nc_u32_e32 v24, v71, v82
	v_cndmask_b32_e64 v71, 0, 1, vcc_lo
	v_add_co_ci_u32_e64 v24, null, 0, v24, vcc_lo
	v_lshrrev_b32_e32 v68, v71, v68
; %bb.1591:                             ;   in Loop: Header=BB4_1295 Depth=2
	s_andn2_saveexec_b32 s13, s13
; %bb.1592:                             ;   in Loop: Header=BB4_1295 Depth=2
	v_bfe_u32 v24, v68, 23, 1
; %bb.1593:                             ;   in Loop: Header=BB4_1295 Depth=2
	s_or_b32 exec_lo, exec_lo, s13
	v_lshrrev_b32_e32 v68, 20, v68
	v_cmp_gt_i32_e32 vcc_lo, 16, v24
	v_min_i32_e32 v71, 15, v24
	v_and_b32_sdwa v25, v25, v114 dst_sel:DWORD dst_unused:UNUSED_PAD src0_sel:BYTE_3 src1_sel:DWORD
	v_cndmask_b32_e32 v68, 7, v68, vcc_lo
	v_lshlrev_b32_e32 v71, 3, v71
	v_and_b32_e32 v82, 7, v68
	v_or_b32_e32 v24, v24, v68
	v_or3_b32 v25, v71, v25, v82
	v_cmp_ne_u32_e32 vcc_lo, 0, v24
	v_cndmask_b32_e32 v24, 0, v25, vcc_lo
.LBB4_1594:                             ;   in Loop: Header=BB4_1295 Depth=2
	s_or_b32 exec_lo, exec_lo, s29
.LBB4_1595:                             ;   in Loop: Header=BB4_1295 Depth=2
	s_or_b32 exec_lo, exec_lo, s28
	v_cmp_gt_i16_sdwa s28, v22, v101 src0_sel:BYTE_0 src1_sel:DWORD
	s_mov_b32 s13, 0
	s_and_saveexec_b32 s29, s28
	s_xor_b32 s28, exec_lo, s29
	s_cbranch_execz .LBB4_1673
; %bb.1596:                             ;   in Loop: Header=BB4_1295 Depth=2
	v_cmp_eq_u16_sdwa s40, v22, v114 src0_sel:BYTE_0 src1_sel:DWORD
	s_mov_b32 s13, -1
	s_and_saveexec_b32 s29, s40
; %bb.1597:                             ;   in Loop: Header=BB4_1295 Depth=2
	s_xor_b32 s13, exec_lo, -1
; %bb.1598:                             ;   in Loop: Header=BB4_1295 Depth=2
	s_or_b32 exec_lo, exec_lo, s29
	s_and_b32 s13, s13, exec_lo
	s_or_saveexec_b32 s28, s28
	v_mov_b32_e32 v25, 0x7f800001
	s_xor_b32 exec_lo, exec_lo, s28
	s_cbranch_execnz .LBB4_1674
.LBB4_1599:                             ;   in Loop: Header=BB4_1295 Depth=2
	s_or_b32 exec_lo, exec_lo, s28
	s_and_saveexec_b32 s28, s13
	s_cbranch_execz .LBB4_1601
.LBB4_1600:                             ;   in Loop: Header=BB4_1295 Depth=2
	v_and_b32_e32 v25, 7, v22
	v_lshrrev_b16 v71, 3, v22
	v_ffbh_u32_e32 v68, v25
	v_and_b32_e32 v71, 15, v71
	v_min_u32_e32 v68, 32, v68
	v_cmp_eq_u32_e32 vcc_lo, 0, v71
	v_subrev_nc_u32_e32 v82, 28, v68
	v_sub_nc_u32_e32 v68, 29, v68
	v_lshlrev_b32_e32 v82, v82, v22
	v_lshlrev_b32_e32 v22, 24, v22
	v_cndmask_b32_e32 v68, v71, v68, vcc_lo
	v_and_b32_e32 v82, 7, v82
	v_and_b32_e32 v22, 0x80000000, v22
	v_lshl_add_u32 v68, v68, 23, 0x3b800000
	v_cndmask_b32_e32 v25, v25, v82, vcc_lo
	v_lshlrev_b32_e32 v25, 20, v25
	v_or3_b32 v25, v22, v68, v25
.LBB4_1601:                             ;   in Loop: Header=BB4_1295 Depth=2
	s_or_b32 exec_lo, exec_lo, s28
	s_waitcnt vmcnt(0) lgkmcnt(0)
	v_cmp_gt_i16_sdwa s28, v21, v101 src0_sel:BYTE_0 src1_sel:DWORD
	s_mov_b32 s13, 0
	s_and_saveexec_b32 s29, s28
	s_xor_b32 s28, exec_lo, s29
	s_cbranch_execz .LBB4_1675
; %bb.1602:                             ;   in Loop: Header=BB4_1295 Depth=2
	v_cmp_eq_u16_sdwa s40, v21, v114 src0_sel:BYTE_0 src1_sel:DWORD
	s_mov_b32 s13, -1
	s_and_saveexec_b32 s29, s40
; %bb.1603:                             ;   in Loop: Header=BB4_1295 Depth=2
	s_xor_b32 s13, exec_lo, -1
; %bb.1604:                             ;   in Loop: Header=BB4_1295 Depth=2
	s_or_b32 exec_lo, exec_lo, s29
	s_and_b32 s13, s13, exec_lo
	s_or_saveexec_b32 s28, s28
	v_mov_b32_e32 v22, 0x7f800001
	s_xor_b32 exec_lo, exec_lo, s28
	s_cbranch_execnz .LBB4_1676
.LBB4_1605:                             ;   in Loop: Header=BB4_1295 Depth=2
	s_or_b32 exec_lo, exec_lo, s28
	s_and_saveexec_b32 s28, s13
	s_cbranch_execz .LBB4_1607
.LBB4_1606:                             ;   in Loop: Header=BB4_1295 Depth=2
	v_and_b32_e32 v22, 7, v21
	v_lshrrev_b16 v71, 3, v21
	v_ffbh_u32_e32 v68, v22
	v_and_b32_e32 v71, 15, v71
	v_min_u32_e32 v68, 32, v68
	v_cmp_eq_u32_e32 vcc_lo, 0, v71
	v_subrev_nc_u32_e32 v82, 28, v68
	v_sub_nc_u32_e32 v68, 29, v68
	v_lshlrev_b32_e32 v82, v82, v21
	v_lshlrev_b32_e32 v21, 24, v21
	v_cndmask_b32_e32 v68, v71, v68, vcc_lo
	v_and_b32_e32 v82, 7, v82
	v_and_b32_e32 v21, 0x80000000, v21
	v_lshl_add_u32 v68, v68, 23, 0x3b800000
	v_cndmask_b32_e32 v22, v22, v82, vcc_lo
	v_lshlrev_b32_e32 v22, 20, v22
	v_or3_b32 v22, v21, v68, v22
.LBB4_1607:                             ;   in Loop: Header=BB4_1295 Depth=2
	s_or_b32 exec_lo, exec_lo, s28
	v_add_f32_e32 v22, v25, v22
	v_and_b32_e32 v21, 0x7f800000, v22
	v_cmp_ne_u32_e32 vcc_lo, 0x7f800000, v21
	v_mov_b32_e32 v21, 0x80
	s_and_saveexec_b32 s28, vcc_lo
	s_cbranch_execz .LBB4_1294
; %bb.1608:                             ;   in Loop: Header=BB4_1295 Depth=2
	v_mov_b32_e32 v21, 0
	s_mov_b32 s29, exec_lo
	v_cmpx_ne_u32_e32 0, v22
	s_cbranch_execz .LBB4_1293
; %bb.1609:                             ;   in Loop: Header=BB4_1295 Depth=2
	v_bfe_u32 v21, v22, 23, 8
	v_and_b32_e32 v25, 0x7fffff, v22
	v_sub_nc_u32_e32 v68, 0x78, v21
	v_cmp_gt_u32_e32 vcc_lo, 0x79, v21
	v_or_b32_e32 v71, 0x800000, v25
	v_cndmask_b32_e32 v68, 0, v68, vcc_lo
	v_cmp_eq_u32_e32 vcc_lo, 0, v21
	v_add_nc_u32_e32 v21, 0xffffff89, v21
	v_cndmask_b32_e64 v68, v68, 0x77, vcc_lo
	v_cndmask_b32_e32 v25, v71, v25, vcc_lo
	v_cndmask_b32_e64 v21, v21, 0xffffff8a, vcc_lo
	v_lshl_add_u32 v71, 0x100000, v68, -1
	v_lshrrev_b32_e32 v82, v68, v25
	v_lshlrev_b32_e64 v43, v68, 0x80000
	v_add_nc_u32_e32 v68, v68, v21
	v_and_b32_e32 v25, v71, v25
	v_bfe_u32 v40, v82, 20, 1
	v_cmp_eq_u32_e64 s13, v25, v43
	v_add_nc_u32_e32 v71, -1, v40
	v_cndmask_b32_e64 v25, 0, v71, s13
	v_lshrrev_b32_e32 v71, 23, v82
	s_mov_b32 s13, exec_lo
	v_add_nc_u32_e32 v25, v25, v82
	v_xor_b32_e32 v71, 1, v71
	v_and_b32_e32 v21, 0xfffff, v25
	v_add_nc_u32_e32 v25, v21, v82
                                        ; implicit-def: $vgpr21
	v_cmpx_ne_u32_e64 v68, v71
	s_xor_b32 s13, exec_lo, s13
; %bb.1610:                             ;   in Loop: Header=BB4_1295 Depth=2
	v_cmp_lt_u32_e32 vcc_lo, 0xffffff, v25
	v_sub_nc_u32_e32 v21, v68, v71
	v_cndmask_b32_e64 v68, 0, 1, vcc_lo
	v_add_co_ci_u32_e64 v21, null, 0, v21, vcc_lo
	v_lshrrev_b32_e32 v25, v68, v25
; %bb.1611:                             ;   in Loop: Header=BB4_1295 Depth=2
	s_andn2_saveexec_b32 s13, s13
	s_cbranch_execz .LBB4_1292
; %bb.1612:                             ;   in Loop: Header=BB4_1295 Depth=2
	v_bfe_u32 v21, v25, 23, 1
	s_branch .LBB4_1292
.LBB4_1613:                             ;   in Loop: Header=BB4_1295 Depth=2
	s_or_saveexec_b32 s28, s28
	v_mov_b32_e32 v63, 0x7f800001
	s_xor_b32 exec_lo, exec_lo, s28
	s_cbranch_execz .LBB4_1299
.LBB4_1614:                             ;   in Loop: Header=BB4_1295 Depth=2
	v_cmp_ne_u16_e32 vcc_lo, 0, v72
	v_mov_b32_e32 v63, 0
	s_andn2_b32 s13, s13, exec_lo
	s_and_b32 s29, vcc_lo, exec_lo
	s_or_b32 s13, s13, s29
	s_or_b32 exec_lo, exec_lo, s28
	s_and_saveexec_b32 s28, s13
	s_cbranch_execnz .LBB4_1300
	s_branch .LBB4_1301
.LBB4_1615:                             ;   in Loop: Header=BB4_1295 Depth=2
	s_or_saveexec_b32 s28, s28
	v_mov_b32_e32 v72, 0x7f800001
	s_xor_b32 exec_lo, exec_lo, s28
	s_cbranch_execz .LBB4_1305
.LBB4_1616:                             ;   in Loop: Header=BB4_1295 Depth=2
	v_cmp_ne_u16_sdwa s29, v23, v52 src0_sel:BYTE_0 src1_sel:DWORD
	v_mov_b32_e32 v72, 0
	s_andn2_b32 s13, s13, exec_lo
	s_and_b32 s29, s29, exec_lo
	s_or_b32 s13, s13, s29
	s_or_b32 exec_lo, exec_lo, s28
	s_and_saveexec_b32 s28, s13
	s_cbranch_execnz .LBB4_1306
	s_branch .LBB4_1307
.LBB4_1617:                             ;   in Loop: Header=BB4_1295 Depth=2
	s_or_saveexec_b32 s28, s28
	v_mov_b32_e32 v63, 0x7f800001
	s_xor_b32 exec_lo, exec_lo, s28
	s_cbranch_execz .LBB4_1319
.LBB4_1618:                             ;   in Loop: Header=BB4_1295 Depth=2
	v_cmp_ne_u16_sdwa s29, v62, v52 src0_sel:BYTE_0 src1_sel:DWORD
	v_mov_b32_e32 v63, 0
	s_andn2_b32 s13, s13, exec_lo
	s_and_b32 s29, s29, exec_lo
	s_or_b32 s13, s13, s29
	s_or_b32 exec_lo, exec_lo, s28
	s_and_saveexec_b32 s28, s13
	s_cbranch_execnz .LBB4_1320
	s_branch .LBB4_1321
.LBB4_1619:                             ;   in Loop: Header=BB4_1295 Depth=2
	s_or_saveexec_b32 s28, s28
	v_mov_b32_e32 v62, 0x7f800001
	s_xor_b32 exec_lo, exec_lo, s28
	s_cbranch_execz .LBB4_1325
.LBB4_1620:                             ;   in Loop: Header=BB4_1295 Depth=2
	v_cmp_ne_u16_sdwa s29, v66, v52 src0_sel:BYTE_0 src1_sel:DWORD
	v_mov_b32_e32 v62, 0
	s_andn2_b32 s13, s13, exec_lo
	s_and_b32 s29, s29, exec_lo
	s_or_b32 s13, s13, s29
	s_or_b32 exec_lo, exec_lo, s28
	s_and_saveexec_b32 s28, s13
	s_cbranch_execnz .LBB4_1326
	s_branch .LBB4_1327
.LBB4_1621:                             ;   in Loop: Header=BB4_1295 Depth=2
	s_or_saveexec_b32 s28, s28
	v_mov_b32_e32 v62, 0x7f800001
	s_xor_b32 exec_lo, exec_lo, s28
	s_cbranch_execz .LBB4_1339
.LBB4_1622:                             ;   in Loop: Header=BB4_1295 Depth=2
	v_cmp_ne_u16_sdwa s29, v61, v52 src0_sel:BYTE_0 src1_sel:DWORD
	v_mov_b32_e32 v62, 0
	s_andn2_b32 s13, s13, exec_lo
	s_and_b32 s29, s29, exec_lo
	s_or_b32 s13, s13, s29
	s_or_b32 exec_lo, exec_lo, s28
	s_and_saveexec_b32 s28, s13
	s_cbranch_execnz .LBB4_1340
	s_branch .LBB4_1341
.LBB4_1623:                             ;   in Loop: Header=BB4_1295 Depth=2
	s_or_saveexec_b32 s28, s28
	v_mov_b32_e32 v61, 0x7f800001
	s_xor_b32 exec_lo, exec_lo, s28
	s_cbranch_execz .LBB4_1345
.LBB4_1624:                             ;   in Loop: Header=BB4_1295 Depth=2
	v_cmp_ne_u16_sdwa s29, v69, v52 src0_sel:BYTE_0 src1_sel:DWORD
	v_mov_b32_e32 v61, 0
	s_andn2_b32 s13, s13, exec_lo
	s_and_b32 s29, s29, exec_lo
	s_or_b32 s13, s13, s29
	s_or_b32 exec_lo, exec_lo, s28
	s_and_saveexec_b32 s28, s13
	s_cbranch_execnz .LBB4_1346
	s_branch .LBB4_1347
.LBB4_1625:                             ;   in Loop: Header=BB4_1295 Depth=2
	s_or_saveexec_b32 s28, s28
	v_mov_b32_e32 v61, 0x7f800001
	s_xor_b32 exec_lo, exec_lo, s28
	s_cbranch_execz .LBB4_1359
.LBB4_1626:                             ;   in Loop: Header=BB4_1295 Depth=2
	v_cmp_ne_u16_sdwa s29, v60, v52 src0_sel:BYTE_0 src1_sel:DWORD
	v_mov_b32_e32 v61, 0
	s_andn2_b32 s13, s13, exec_lo
	s_and_b32 s29, s29, exec_lo
	s_or_b32 s13, s13, s29
	s_or_b32 exec_lo, exec_lo, s28
	s_and_saveexec_b32 s28, s13
	s_cbranch_execnz .LBB4_1360
	s_branch .LBB4_1361
.LBB4_1627:                             ;   in Loop: Header=BB4_1295 Depth=2
	s_or_saveexec_b32 s28, s28
	v_mov_b32_e32 v60, 0x7f800001
	s_xor_b32 exec_lo, exec_lo, s28
	s_cbranch_execz .LBB4_1365
.LBB4_1628:                             ;   in Loop: Header=BB4_1295 Depth=2
	v_cmp_ne_u16_sdwa s29, v80, v52 src0_sel:BYTE_0 src1_sel:DWORD
	v_mov_b32_e32 v60, 0
	s_andn2_b32 s13, s13, exec_lo
	s_and_b32 s29, s29, exec_lo
	s_or_b32 s13, s13, s29
	s_or_b32 exec_lo, exec_lo, s28
	s_and_saveexec_b32 s28, s13
	s_cbranch_execnz .LBB4_1366
	s_branch .LBB4_1367
.LBB4_1629:                             ;   in Loop: Header=BB4_1295 Depth=2
	s_or_saveexec_b32 s28, s28
	v_mov_b32_e32 v60, 0x7f800001
	s_xor_b32 exec_lo, exec_lo, s28
	s_cbranch_execz .LBB4_1379
.LBB4_1630:                             ;   in Loop: Header=BB4_1295 Depth=2
	v_cmp_ne_u16_sdwa s29, v59, v52 src0_sel:BYTE_0 src1_sel:DWORD
	v_mov_b32_e32 v60, 0
	s_andn2_b32 s13, s13, exec_lo
	s_and_b32 s29, s29, exec_lo
	s_or_b32 s13, s13, s29
	s_or_b32 exec_lo, exec_lo, s28
	s_and_saveexec_b32 s28, s13
	s_cbranch_execnz .LBB4_1380
	s_branch .LBB4_1381
.LBB4_1631:                             ;   in Loop: Header=BB4_1295 Depth=2
	s_or_saveexec_b32 s28, s28
	v_mov_b32_e32 v59, 0x7f800001
	s_xor_b32 exec_lo, exec_lo, s28
	s_cbranch_execz .LBB4_1385
.LBB4_1632:                             ;   in Loop: Header=BB4_1295 Depth=2
	v_cmp_ne_u16_sdwa s29, v83, v52 src0_sel:BYTE_0 src1_sel:DWORD
	v_mov_b32_e32 v59, 0
	s_andn2_b32 s13, s13, exec_lo
	s_and_b32 s29, s29, exec_lo
	s_or_b32 s13, s13, s29
	s_or_b32 exec_lo, exec_lo, s28
	s_and_saveexec_b32 s28, s13
	s_cbranch_execnz .LBB4_1386
	s_branch .LBB4_1387
.LBB4_1633:                             ;   in Loop: Header=BB4_1295 Depth=2
	s_or_saveexec_b32 s28, s28
	v_mov_b32_e32 v59, 0x7f800001
	s_xor_b32 exec_lo, exec_lo, s28
	s_cbranch_execz .LBB4_1399
.LBB4_1634:                             ;   in Loop: Header=BB4_1295 Depth=2
	v_cmp_ne_u16_sdwa s29, v58, v52 src0_sel:BYTE_0 src1_sel:DWORD
	v_mov_b32_e32 v59, 0
	s_andn2_b32 s13, s13, exec_lo
	s_and_b32 s29, s29, exec_lo
	s_or_b32 s13, s13, s29
	s_or_b32 exec_lo, exec_lo, s28
	s_and_saveexec_b32 s28, s13
	s_cbranch_execnz .LBB4_1400
	s_branch .LBB4_1401
.LBB4_1635:                             ;   in Loop: Header=BB4_1295 Depth=2
	s_or_saveexec_b32 s28, s28
	v_mov_b32_e32 v58, 0x7f800001
	s_xor_b32 exec_lo, exec_lo, s28
	s_cbranch_execz .LBB4_1405
.LBB4_1636:                             ;   in Loop: Header=BB4_1295 Depth=2
	v_cmp_ne_u16_sdwa s29, v41, v52 src0_sel:BYTE_0 src1_sel:DWORD
	v_mov_b32_e32 v58, 0
	s_andn2_b32 s13, s13, exec_lo
	s_and_b32 s29, s29, exec_lo
	s_or_b32 s13, s13, s29
	s_or_b32 exec_lo, exec_lo, s28
	s_and_saveexec_b32 s28, s13
	s_cbranch_execnz .LBB4_1406
	s_branch .LBB4_1407
.LBB4_1637:                             ;   in Loop: Header=BB4_1295 Depth=2
	s_or_saveexec_b32 s28, s28
	v_mov_b32_e32 v58, 0x7f800001
	s_xor_b32 exec_lo, exec_lo, s28
	s_cbranch_execz .LBB4_1419
.LBB4_1638:                             ;   in Loop: Header=BB4_1295 Depth=2
	v_cmp_ne_u16_sdwa s29, v57, v52 src0_sel:BYTE_0 src1_sel:DWORD
	v_mov_b32_e32 v58, 0
	s_andn2_b32 s13, s13, exec_lo
	s_and_b32 s29, s29, exec_lo
	s_or_b32 s13, s13, s29
	s_or_b32 exec_lo, exec_lo, s28
	s_and_saveexec_b32 s28, s13
	s_cbranch_execnz .LBB4_1420
	s_branch .LBB4_1421
.LBB4_1639:                             ;   in Loop: Header=BB4_1295 Depth=2
	s_or_saveexec_b32 s28, s28
	v_mov_b32_e32 v57, 0x7f800001
	s_xor_b32 exec_lo, exec_lo, s28
	s_cbranch_execz .LBB4_1425
.LBB4_1640:                             ;   in Loop: Header=BB4_1295 Depth=2
	v_cmp_ne_u16_sdwa s29, v44, v52 src0_sel:BYTE_0 src1_sel:DWORD
	v_mov_b32_e32 v57, 0
	s_andn2_b32 s13, s13, exec_lo
	s_and_b32 s29, s29, exec_lo
	s_or_b32 s13, s13, s29
	s_or_b32 exec_lo, exec_lo, s28
	s_and_saveexec_b32 s28, s13
	s_cbranch_execnz .LBB4_1426
	s_branch .LBB4_1427
.LBB4_1641:                             ;   in Loop: Header=BB4_1295 Depth=2
	s_or_saveexec_b32 s28, s28
	v_mov_b32_e32 v57, 0x7f800001
	s_xor_b32 exec_lo, exec_lo, s28
	s_cbranch_execz .LBB4_1439
.LBB4_1642:                             ;   in Loop: Header=BB4_1295 Depth=2
	v_cmp_ne_u16_sdwa s29, v56, v52 src0_sel:BYTE_0 src1_sel:DWORD
	v_mov_b32_e32 v57, 0
	s_andn2_b32 s13, s13, exec_lo
	s_and_b32 s29, s29, exec_lo
	s_or_b32 s13, s13, s29
	s_or_b32 exec_lo, exec_lo, s28
	s_and_saveexec_b32 s28, s13
	s_cbranch_execnz .LBB4_1440
	s_branch .LBB4_1441
.LBB4_1643:                             ;   in Loop: Header=BB4_1295 Depth=2
	s_or_saveexec_b32 s28, s28
	v_mov_b32_e32 v56, 0x7f800001
	s_xor_b32 exec_lo, exec_lo, s28
	s_cbranch_execz .LBB4_1445
.LBB4_1644:                             ;   in Loop: Header=BB4_1295 Depth=2
	v_cmp_ne_u16_sdwa s29, v47, v52 src0_sel:BYTE_0 src1_sel:DWORD
	v_mov_b32_e32 v56, 0
	s_andn2_b32 s13, s13, exec_lo
	s_and_b32 s29, s29, exec_lo
	s_or_b32 s13, s13, s29
	s_or_b32 exec_lo, exec_lo, s28
	s_and_saveexec_b32 s28, s13
	s_cbranch_execnz .LBB4_1446
	s_branch .LBB4_1447
.LBB4_1645:                             ;   in Loop: Header=BB4_1295 Depth=2
	s_or_saveexec_b32 s28, s28
	v_mov_b32_e32 v56, 0x7f800001
	s_xor_b32 exec_lo, exec_lo, s28
	s_cbranch_execz .LBB4_1459
.LBB4_1646:                             ;   in Loop: Header=BB4_1295 Depth=2
	v_cmp_ne_u16_sdwa s29, v46, v52 src0_sel:BYTE_0 src1_sel:DWORD
	v_mov_b32_e32 v56, 0
	s_andn2_b32 s13, s13, exec_lo
	s_and_b32 s29, s29, exec_lo
	s_or_b32 s13, s13, s29
	s_or_b32 exec_lo, exec_lo, s28
	s_and_saveexec_b32 s28, s13
	s_cbranch_execnz .LBB4_1460
	s_branch .LBB4_1461
.LBB4_1647:                             ;   in Loop: Header=BB4_1295 Depth=2
	s_or_saveexec_b32 s28, s28
	v_mov_b32_e32 v46, 0x7f800001
	s_xor_b32 exec_lo, exec_lo, s28
	s_cbranch_execz .LBB4_1465
.LBB4_1648:                             ;   in Loop: Header=BB4_1295 Depth=2
	v_cmp_ne_u16_sdwa s29, v45, v52 src0_sel:BYTE_0 src1_sel:DWORD
	v_mov_b32_e32 v46, 0
	s_andn2_b32 s13, s13, exec_lo
	s_and_b32 s29, s29, exec_lo
	s_or_b32 s13, s13, s29
	s_or_b32 exec_lo, exec_lo, s28
	s_and_saveexec_b32 s28, s13
	s_cbranch_execnz .LBB4_1466
	s_branch .LBB4_1467
.LBB4_1649:                             ;   in Loop: Header=BB4_1295 Depth=2
	s_or_saveexec_b32 s28, s28
	v_mov_b32_e32 v46, 0x7f800001
	s_xor_b32 exec_lo, exec_lo, s28
	s_cbranch_execz .LBB4_1479
.LBB4_1650:                             ;   in Loop: Header=BB4_1295 Depth=2
	v_cmp_ne_u16_sdwa s29, v43, v52 src0_sel:BYTE_0 src1_sel:DWORD
	v_mov_b32_e32 v46, 0
	s_andn2_b32 s13, s13, exec_lo
	s_and_b32 s29, s29, exec_lo
	s_or_b32 s13, s13, s29
	s_or_b32 exec_lo, exec_lo, s28
	s_and_saveexec_b32 s28, s13
	s_cbranch_execnz .LBB4_1480
	s_branch .LBB4_1481
.LBB4_1651:                             ;   in Loop: Header=BB4_1295 Depth=2
	s_or_saveexec_b32 s28, s28
	v_mov_b32_e32 v43, 0x7f800001
	s_xor_b32 exec_lo, exec_lo, s28
	s_cbranch_execz .LBB4_1485
.LBB4_1652:                             ;   in Loop: Header=BB4_1295 Depth=2
	v_cmp_ne_u16_sdwa s29, v42, v52 src0_sel:BYTE_0 src1_sel:DWORD
	v_mov_b32_e32 v43, 0
	s_andn2_b32 s13, s13, exec_lo
	s_and_b32 s29, s29, exec_lo
	s_or_b32 s13, s13, s29
	s_or_b32 exec_lo, exec_lo, s28
	s_and_saveexec_b32 s28, s13
	s_cbranch_execnz .LBB4_1486
	s_branch .LBB4_1487
.LBB4_1653:                             ;   in Loop: Header=BB4_1295 Depth=2
	s_or_saveexec_b32 s28, s28
	v_mov_b32_e32 v43, 0x7f800001
	s_xor_b32 exec_lo, exec_lo, s28
	s_cbranch_execz .LBB4_1499
.LBB4_1654:                             ;   in Loop: Header=BB4_1295 Depth=2
	v_cmp_ne_u16_sdwa s29, v40, v52 src0_sel:BYTE_0 src1_sel:DWORD
	v_mov_b32_e32 v43, 0
	s_andn2_b32 s13, s13, exec_lo
	s_and_b32 s29, s29, exec_lo
	s_or_b32 s13, s13, s29
	s_or_b32 exec_lo, exec_lo, s28
	s_and_saveexec_b32 s28, s13
	s_cbranch_execnz .LBB4_1500
	s_branch .LBB4_1501
.LBB4_1655:                             ;   in Loop: Header=BB4_1295 Depth=2
	s_or_saveexec_b32 s28, s28
	v_mov_b32_e32 v40, 0x7f800001
	s_xor_b32 exec_lo, exec_lo, s28
	s_cbranch_execz .LBB4_1505
.LBB4_1656:                             ;   in Loop: Header=BB4_1295 Depth=2
	v_cmp_ne_u16_sdwa s29, v119, v52 src0_sel:BYTE_0 src1_sel:DWORD
	v_mov_b32_e32 v40, 0
	s_andn2_b32 s13, s13, exec_lo
	s_and_b32 s29, s29, exec_lo
	s_or_b32 s13, s13, s29
	s_or_b32 exec_lo, exec_lo, s28
	s_and_saveexec_b32 s28, s13
	s_cbranch_execnz .LBB4_1506
	s_branch .LBB4_1507
.LBB4_1657:                             ;   in Loop: Header=BB4_1295 Depth=2
	s_or_saveexec_b32 s28, s28
	v_mov_b32_e32 v40, 0x7f800001
	s_xor_b32 exec_lo, exec_lo, s28
	s_cbranch_execz .LBB4_1519
.LBB4_1658:                             ;   in Loop: Header=BB4_1295 Depth=2
	v_cmp_ne_u16_sdwa s29, v82, v52 src0_sel:BYTE_0 src1_sel:DWORD
	v_mov_b32_e32 v40, 0
	s_andn2_b32 s13, s13, exec_lo
	s_and_b32 s29, s29, exec_lo
	s_or_b32 s13, s13, s29
	s_or_b32 exec_lo, exec_lo, s28
	s_and_saveexec_b32 s28, s13
	s_cbranch_execnz .LBB4_1520
	s_branch .LBB4_1521
.LBB4_1659:                             ;   in Loop: Header=BB4_1295 Depth=2
	s_or_saveexec_b32 s28, s28
	v_mov_b32_e32 v82, 0x7f800001
	s_xor_b32 exec_lo, exec_lo, s28
	s_cbranch_execz .LBB4_1525
.LBB4_1660:                             ;   in Loop: Header=BB4_1295 Depth=2
	v_cmp_ne_u16_sdwa s29, v81, v52 src0_sel:BYTE_0 src1_sel:DWORD
	v_mov_b32_e32 v82, 0
	s_andn2_b32 s13, s13, exec_lo
	s_and_b32 s29, s29, exec_lo
	s_or_b32 s13, s13, s29
	s_or_b32 exec_lo, exec_lo, s28
	s_and_saveexec_b32 s28, s13
	s_cbranch_execnz .LBB4_1526
	s_branch .LBB4_1527
.LBB4_1661:                             ;   in Loop: Header=BB4_1295 Depth=2
	s_or_saveexec_b32 s28, s28
	v_mov_b32_e32 v82, 0x7f800001
	s_xor_b32 exec_lo, exec_lo, s28
	s_cbranch_execz .LBB4_1539
.LBB4_1662:                             ;   in Loop: Header=BB4_1295 Depth=2
	v_cmp_ne_u16_sdwa s29, v71, v52 src0_sel:BYTE_0 src1_sel:DWORD
	v_mov_b32_e32 v82, 0
	s_andn2_b32 s13, s13, exec_lo
	s_and_b32 s29, s29, exec_lo
	s_or_b32 s13, s13, s29
	s_or_b32 exec_lo, exec_lo, s28
	s_and_saveexec_b32 s28, s13
	s_cbranch_execnz .LBB4_1540
	s_branch .LBB4_1541
.LBB4_1663:                             ;   in Loop: Header=BB4_1295 Depth=2
	s_or_saveexec_b32 s28, s28
	v_mov_b32_e32 v71, 0x7f800001
	s_xor_b32 exec_lo, exec_lo, s28
	s_cbranch_execz .LBB4_1545
.LBB4_1664:                             ;   in Loop: Header=BB4_1295 Depth=2
	v_cmp_ne_u16_sdwa s29, v70, v52 src0_sel:BYTE_0 src1_sel:DWORD
	v_mov_b32_e32 v71, 0
	s_andn2_b32 s13, s13, exec_lo
	s_and_b32 s29, s29, exec_lo
	s_or_b32 s13, s13, s29
	s_or_b32 exec_lo, exec_lo, s28
	s_and_saveexec_b32 s28, s13
	s_cbranch_execnz .LBB4_1546
	s_branch .LBB4_1547
.LBB4_1665:                             ;   in Loop: Header=BB4_1295 Depth=2
	s_or_saveexec_b32 s28, s28
	v_mov_b32_e32 v71, 0x7f800001
	s_xor_b32 exec_lo, exec_lo, s28
	s_cbranch_execz .LBB4_1559
.LBB4_1666:                             ;   in Loop: Header=BB4_1295 Depth=2
	v_cmp_ne_u16_sdwa s29, v68, v52 src0_sel:BYTE_0 src1_sel:DWORD
	v_mov_b32_e32 v71, 0
	s_andn2_b32 s13, s13, exec_lo
	s_and_b32 s29, s29, exec_lo
	s_or_b32 s13, s13, s29
	s_or_b32 exec_lo, exec_lo, s28
	s_and_saveexec_b32 s28, s13
	s_cbranch_execnz .LBB4_1560
	s_branch .LBB4_1561
.LBB4_1667:                             ;   in Loop: Header=BB4_1295 Depth=2
	s_or_saveexec_b32 s28, s28
	v_mov_b32_e32 v68, 0x7f800001
	s_xor_b32 exec_lo, exec_lo, s28
	s_cbranch_execz .LBB4_1565
.LBB4_1668:                             ;   in Loop: Header=BB4_1295 Depth=2
	v_cmp_ne_u16_sdwa s29, v67, v52 src0_sel:BYTE_0 src1_sel:DWORD
	v_mov_b32_e32 v68, 0
	s_andn2_b32 s13, s13, exec_lo
	s_and_b32 s29, s29, exec_lo
	s_or_b32 s13, s13, s29
	s_or_b32 exec_lo, exec_lo, s28
	s_and_saveexec_b32 s28, s13
	s_cbranch_execnz .LBB4_1566
	s_branch .LBB4_1567
.LBB4_1669:                             ;   in Loop: Header=BB4_1295 Depth=2
	s_or_saveexec_b32 s28, s28
	v_mov_b32_e32 v68, 0x7f800001
	s_xor_b32 exec_lo, exec_lo, s28
	s_cbranch_execz .LBB4_1579
.LBB4_1670:                             ;   in Loop: Header=BB4_1295 Depth=2
	v_cmp_ne_u16_sdwa s29, v25, v52 src0_sel:BYTE_0 src1_sel:DWORD
	v_mov_b32_e32 v68, 0
	s_andn2_b32 s13, s13, exec_lo
	s_and_b32 s29, s29, exec_lo
	s_or_b32 s13, s13, s29
	s_or_b32 exec_lo, exec_lo, s28
	s_and_saveexec_b32 s28, s13
	s_cbranch_execnz .LBB4_1580
	s_branch .LBB4_1581
.LBB4_1671:                             ;   in Loop: Header=BB4_1295 Depth=2
	s_or_saveexec_b32 s28, s28
	v_mov_b32_e32 v25, 0x7f800001
	s_xor_b32 exec_lo, exec_lo, s28
	s_cbranch_execz .LBB4_1585
.LBB4_1672:                             ;   in Loop: Header=BB4_1295 Depth=2
	v_cmp_ne_u16_sdwa s29, v24, v52 src0_sel:BYTE_0 src1_sel:DWORD
	v_mov_b32_e32 v25, 0
	s_andn2_b32 s13, s13, exec_lo
	s_and_b32 s29, s29, exec_lo
	s_or_b32 s13, s13, s29
	s_or_b32 exec_lo, exec_lo, s28
	s_and_saveexec_b32 s28, s13
	s_cbranch_execnz .LBB4_1586
	s_branch .LBB4_1587
.LBB4_1673:                             ;   in Loop: Header=BB4_1295 Depth=2
	s_or_saveexec_b32 s28, s28
	v_mov_b32_e32 v25, 0x7f800001
	s_xor_b32 exec_lo, exec_lo, s28
	s_cbranch_execz .LBB4_1599
.LBB4_1674:                             ;   in Loop: Header=BB4_1295 Depth=2
	v_cmp_ne_u16_sdwa s29, v22, v52 src0_sel:BYTE_0 src1_sel:DWORD
	v_mov_b32_e32 v25, 0
	s_andn2_b32 s13, s13, exec_lo
	s_and_b32 s29, s29, exec_lo
	s_or_b32 s13, s13, s29
	s_or_b32 exec_lo, exec_lo, s28
	s_and_saveexec_b32 s28, s13
	s_cbranch_execnz .LBB4_1600
	s_branch .LBB4_1601
.LBB4_1675:                             ;   in Loop: Header=BB4_1295 Depth=2
	s_or_saveexec_b32 s28, s28
	v_mov_b32_e32 v22, 0x7f800001
	s_xor_b32 exec_lo, exec_lo, s28
	s_cbranch_execz .LBB4_1605
.LBB4_1676:                             ;   in Loop: Header=BB4_1295 Depth=2
	v_cmp_ne_u16_sdwa s29, v21, v52 src0_sel:BYTE_0 src1_sel:DWORD
	v_mov_b32_e32 v22, 0
	s_andn2_b32 s13, s13, exec_lo
	s_and_b32 s29, s29, exec_lo
	s_or_b32 s13, s13, s29
	s_or_b32 exec_lo, exec_lo, s28
	s_and_saveexec_b32 s28, s13
	s_cbranch_execnz .LBB4_1606
	s_branch .LBB4_1607
.LBB4_1677:                             ;   in Loop: Header=BB4_49 Depth=1
	s_or_b32 exec_lo, exec_lo, s27
.LBB4_1678:                             ;   in Loop: Header=BB4_49 Depth=1
	s_or_b32 exec_lo, exec_lo, s26
	v_and_b32_e32 v10, 0xfffffe00, v17
	v_cmp_ne_u32_e32 vcc_lo, v17, v10
	s_and_b32 exec_lo, exec_lo, vcc_lo
	s_cbranch_execz .LBB4_1706
; %bb.1679:                             ;   in Loop: Header=BB4_49 Depth=1
	v_add_nc_u32_e32 v11, v18, v20
	v_lshlrev_b32_e32 v12, 5, v19
	v_and_b32_e32 v11, 0xffffffe0, v11
	v_sub_nc_u32_e32 v11, v18, v11
	v_sub_nc_u32_e32 v11, v11, v12
	v_and_b32_e32 v12, 0x1ff, v17
	v_sub_nc_u32_e32 v17, v12, v11
	v_cmp_lt_i32_e32 vcc_lo, 0, v17
	s_and_b32 exec_lo, exec_lo, vcc_lo
	s_cbranch_execz .LBB4_1706
; %bb.1680:                             ;   in Loop: Header=BB4_49 Depth=1
	s_trap 2
	ds_read_b128 v[12:15], v0
	ds_read_b64 v[18:19], v0
	v_add3_u32 v16, v10, v16, v11
	s_mov_b32 s26, 0
	v_ashrrev_i32_e32 v20, 31, v16
	s_waitcnt lgkmcnt(1)
	v_add_co_u32 v10, vcc_lo, v12, v16
	v_add_co_ci_u32_e64 v11, null, v13, v20, vcc_lo
	v_add_co_u32 v12, vcc_lo, v14, v16
	v_add_co_ci_u32_e64 v13, null, v15, v20, vcc_lo
	s_waitcnt lgkmcnt(0)
	v_add_co_u32 v14, vcc_lo, v18, v16
	v_add_co_ci_u32_e64 v15, null, v19, v20, vcc_lo
	s_branch .LBB4_1684
.LBB4_1681:                             ;   in Loop: Header=BB4_1684 Depth=2
	s_or_b32 exec_lo, exec_lo, s13
	v_lshrrev_b32_e32 v19, 20, v19
	v_cmp_gt_i32_e32 vcc_lo, 16, v18
	v_min_i32_e32 v20, 15, v18
	v_and_b32_sdwa v16, v16, v114 dst_sel:DWORD dst_unused:UNUSED_PAD src0_sel:BYTE_3 src1_sel:DWORD
	v_cndmask_b32_e32 v19, 7, v19, vcc_lo
	v_lshlrev_b32_e32 v20, 3, v20
	v_and_b32_e32 v21, 7, v19
	v_or_b32_e32 v18, v18, v19
	v_or3_b32 v16, v20, v16, v21
	v_cmp_ne_u32_e32 vcc_lo, 0, v18
	v_cndmask_b32_e32 v18, 0, v16, vcc_lo
.LBB4_1682:                             ;   in Loop: Header=BB4_1684 Depth=2
	s_or_b32 exec_lo, exec_lo, s28
.LBB4_1683:                             ;   in Loop: Header=BB4_1684 Depth=2
	s_or_b32 exec_lo, exec_lo, s27
	v_sub_nc_u32_e32 v17, v17, v96
	v_add_co_u32 v10, vcc_lo, v10, v96
	v_add_co_ci_u32_e64 v11, null, 0, v11, vcc_lo
	v_add_co_u32 v12, vcc_lo, v12, v96
	flat_store_byte v[14:15], v18 glc slc
	v_add_co_ci_u32_e64 v13, null, 0, v13, vcc_lo
	v_cmp_gt_i32_e32 vcc_lo, 1, v17
	v_add_co_u32 v14, s13, v14, v96
	v_add_co_ci_u32_e64 v15, null, 0, v15, s13
	s_or_b32 s26, vcc_lo, s26
	s_andn2_b32 exec_lo, exec_lo, s26
	s_cbranch_execz .LBB4_1706
.LBB4_1684:                             ;   Parent Loop BB4_49 Depth=1
                                        ; =>  This Inner Loop Header: Depth=2
	flat_load_ubyte v19, v[10:11] slc
	flat_load_ubyte v16, v[12:13] slc
	s_mov_b32 s13, 0
	s_mov_b32 s27, exec_lo
	s_waitcnt vmcnt(1) lgkmcnt(1)
	v_cmpx_lt_i16_e32 0x7f, v19
	s_xor_b32 s27, exec_lo, s27
	s_cbranch_execz .LBB4_1702
; %bb.1685:                             ;   in Loop: Header=BB4_1684 Depth=2
	s_mov_b32 s13, -1
	s_mov_b32 s28, exec_lo
	v_cmpx_eq_u16_e32 0x80, v19
; %bb.1686:                             ;   in Loop: Header=BB4_1684 Depth=2
	s_xor_b32 s13, exec_lo, -1
; %bb.1687:                             ;   in Loop: Header=BB4_1684 Depth=2
	s_or_b32 exec_lo, exec_lo, s28
	s_and_b32 s13, s13, exec_lo
	s_or_saveexec_b32 s27, s27
	v_mov_b32_e32 v18, 0x7f800001
	s_xor_b32 exec_lo, exec_lo, s27
	s_cbranch_execnz .LBB4_1703
.LBB4_1688:                             ;   in Loop: Header=BB4_1684 Depth=2
	s_or_b32 exec_lo, exec_lo, s27
	s_and_saveexec_b32 s27, s13
	s_cbranch_execz .LBB4_1690
.LBB4_1689:                             ;   in Loop: Header=BB4_1684 Depth=2
	v_and_b32_e32 v18, 0xffff, v19
	v_lshlrev_b32_e32 v19, 24, v19
	v_and_b32_e32 v20, 7, v18
	v_bfe_u32 v23, v18, 3, 4
	v_and_b32_e32 v19, 0x80000000, v19
	v_ffbh_u32_e32 v21, v20
	v_cmp_eq_u32_e32 vcc_lo, 0, v23
	v_min_u32_e32 v21, 32, v21
	v_subrev_nc_u32_e32 v22, 28, v21
	v_sub_nc_u32_e32 v21, 29, v21
	v_lshlrev_b32_e32 v18, v22, v18
	v_cndmask_b32_e32 v21, v23, v21, vcc_lo
	v_and_b32_e32 v18, 7, v18
	v_cndmask_b32_e32 v18, v20, v18, vcc_lo
	v_lshl_add_u32 v20, v21, 23, 0x3b800000
	v_lshlrev_b32_e32 v18, 20, v18
	v_or3_b32 v18, v19, v20, v18
.LBB4_1690:                             ;   in Loop: Header=BB4_1684 Depth=2
	s_or_b32 exec_lo, exec_lo, s27
	s_waitcnt vmcnt(0) lgkmcnt(0)
	v_cmp_gt_i16_sdwa s27, v16, v101 src0_sel:BYTE_0 src1_sel:DWORD
	s_mov_b32 s13, 0
	s_and_saveexec_b32 s28, s27
	s_xor_b32 s27, exec_lo, s28
	s_cbranch_execz .LBB4_1704
; %bb.1691:                             ;   in Loop: Header=BB4_1684 Depth=2
	v_cmp_eq_u16_sdwa s29, v16, v114 src0_sel:BYTE_0 src1_sel:DWORD
	s_mov_b32 s13, -1
	s_and_saveexec_b32 s28, s29
; %bb.1692:                             ;   in Loop: Header=BB4_1684 Depth=2
	s_xor_b32 s13, exec_lo, -1
; %bb.1693:                             ;   in Loop: Header=BB4_1684 Depth=2
	s_or_b32 exec_lo, exec_lo, s28
	s_and_b32 s13, s13, exec_lo
	s_or_saveexec_b32 s27, s27
	v_mov_b32_e32 v19, 0x7f800001
	s_xor_b32 exec_lo, exec_lo, s27
	s_cbranch_execnz .LBB4_1705
.LBB4_1694:                             ;   in Loop: Header=BB4_1684 Depth=2
	s_or_b32 exec_lo, exec_lo, s27
	s_and_saveexec_b32 s27, s13
	s_cbranch_execz .LBB4_1696
.LBB4_1695:                             ;   in Loop: Header=BB4_1684 Depth=2
	v_and_b32_e32 v19, 7, v16
	v_lshrrev_b16 v21, 3, v16
	v_ffbh_u32_e32 v20, v19
	v_and_b32_e32 v21, 15, v21
	v_min_u32_e32 v20, 32, v20
	v_cmp_eq_u32_e32 vcc_lo, 0, v21
	v_subrev_nc_u32_e32 v22, 28, v20
	v_sub_nc_u32_e32 v20, 29, v20
	v_lshlrev_b32_e32 v22, v22, v16
	v_lshlrev_b32_e32 v16, 24, v16
	v_cndmask_b32_e32 v20, v21, v20, vcc_lo
	v_and_b32_e32 v22, 7, v22
	v_and_b32_e32 v16, 0x80000000, v16
	v_lshl_add_u32 v20, v20, 23, 0x3b800000
	v_cndmask_b32_e32 v19, v19, v22, vcc_lo
	v_lshlrev_b32_e32 v19, 20, v19
	v_or3_b32 v19, v16, v20, v19
.LBB4_1696:                             ;   in Loop: Header=BB4_1684 Depth=2
	s_or_b32 exec_lo, exec_lo, s27
	v_add_f32_e32 v16, v18, v19
	v_and_b32_e32 v18, 0x7f800000, v16
	v_cmp_ne_u32_e32 vcc_lo, 0x7f800000, v18
	v_mov_b32_e32 v18, 0x80
	s_and_saveexec_b32 s27, vcc_lo
	s_cbranch_execz .LBB4_1683
; %bb.1697:                             ;   in Loop: Header=BB4_1684 Depth=2
	v_mov_b32_e32 v18, 0
	s_mov_b32 s28, exec_lo
	v_cmpx_ne_u32_e32 0, v16
	s_cbranch_execz .LBB4_1682
; %bb.1698:                             ;   in Loop: Header=BB4_1684 Depth=2
	v_bfe_u32 v18, v16, 23, 8
	v_and_b32_e32 v19, 0x7fffff, v16
	v_sub_nc_u32_e32 v20, 0x78, v18
	v_cmp_gt_u32_e32 vcc_lo, 0x79, v18
	v_or_b32_e32 v21, 0x800000, v19
	v_cndmask_b32_e32 v20, 0, v20, vcc_lo
	v_cmp_eq_u32_e32 vcc_lo, 0, v18
	v_add_nc_u32_e32 v18, 0xffffff89, v18
	v_cndmask_b32_e64 v20, v20, 0x77, vcc_lo
	v_cndmask_b32_e32 v19, v21, v19, vcc_lo
	v_cndmask_b32_e64 v18, v18, 0xffffff8a, vcc_lo
	v_lshl_add_u32 v21, 0x100000, v20, -1
	v_lshrrev_b32_e32 v22, v20, v19
	v_lshlrev_b32_e64 v24, v20, 0x80000
	v_add_nc_u32_e32 v20, v20, v18
	v_and_b32_e32 v19, v21, v19
	v_bfe_u32 v23, v22, 20, 1
	v_cmp_eq_u32_e64 s13, v19, v24
	v_add_nc_u32_e32 v21, -1, v23
	v_cndmask_b32_e64 v19, 0, v21, s13
	v_lshrrev_b32_e32 v21, 23, v22
	s_mov_b32 s13, exec_lo
	v_add_nc_u32_e32 v19, v19, v22
	v_xor_b32_e32 v21, 1, v21
	v_and_b32_e32 v18, 0xfffff, v19
	v_add_nc_u32_e32 v19, v18, v22
                                        ; implicit-def: $vgpr18
	v_cmpx_ne_u32_e64 v20, v21
	s_xor_b32 s13, exec_lo, s13
; %bb.1699:                             ;   in Loop: Header=BB4_1684 Depth=2
	v_cmp_lt_u32_e32 vcc_lo, 0xffffff, v19
	v_sub_nc_u32_e32 v18, v20, v21
	v_cndmask_b32_e64 v20, 0, 1, vcc_lo
	v_add_co_ci_u32_e64 v18, null, 0, v18, vcc_lo
	v_lshrrev_b32_e32 v19, v20, v19
; %bb.1700:                             ;   in Loop: Header=BB4_1684 Depth=2
	s_andn2_saveexec_b32 s13, s13
	s_cbranch_execz .LBB4_1681
; %bb.1701:                             ;   in Loop: Header=BB4_1684 Depth=2
	v_bfe_u32 v18, v19, 23, 1
	s_branch .LBB4_1681
.LBB4_1702:                             ;   in Loop: Header=BB4_1684 Depth=2
	s_or_saveexec_b32 s27, s27
	v_mov_b32_e32 v18, 0x7f800001
	s_xor_b32 exec_lo, exec_lo, s27
	s_cbranch_execz .LBB4_1688
.LBB4_1703:                             ;   in Loop: Header=BB4_1684 Depth=2
	v_cmp_ne_u16_e32 vcc_lo, 0, v19
	v_mov_b32_e32 v18, 0
	s_andn2_b32 s13, s13, exec_lo
	s_and_b32 s28, vcc_lo, exec_lo
	s_or_b32 s13, s13, s28
	s_or_b32 exec_lo, exec_lo, s27
	s_and_saveexec_b32 s27, s13
	s_cbranch_execnz .LBB4_1689
	s_branch .LBB4_1690
.LBB4_1704:                             ;   in Loop: Header=BB4_1684 Depth=2
	s_or_saveexec_b32 s27, s27
	v_mov_b32_e32 v19, 0x7f800001
	s_xor_b32 exec_lo, exec_lo, s27
	s_cbranch_execz .LBB4_1694
.LBB4_1705:                             ;   in Loop: Header=BB4_1684 Depth=2
	v_cmp_ne_u16_sdwa s28, v16, v52 src0_sel:BYTE_0 src1_sel:DWORD
	v_mov_b32_e32 v19, 0
	s_andn2_b32 s13, s13, exec_lo
	s_and_b32 s28, s28, exec_lo
	s_or_b32 s13, s13, s28
	s_or_b32 exec_lo, exec_lo, s27
	s_and_saveexec_b32 s27, s13
	s_cbranch_execnz .LBB4_1695
	s_branch .LBB4_1696
.LBB4_1706:                             ;   in Loop: Header=BB4_49 Depth=1
	s_or_b32 exec_lo, exec_lo, s14
	v_cmp_ne_u32_e64 s13, 0, v53
	s_and_saveexec_b32 s14, s6
	s_cbranch_execz .LBB4_1725
.LBB4_1707:                             ;   in Loop: Header=BB4_49 Depth=1
	s_and_saveexec_b32 s26, s20
	s_xor_b32 s26, exec_lo, s26
	s_cbranch_execz .LBB4_1722
; %bb.1708:                             ;   in Loop: Header=BB4_49 Depth=1
	s_and_saveexec_b32 s27, s10
	s_cbranch_execz .LBB4_1721
; %bb.1709:                             ;   in Loop: Header=BB4_49 Depth=1
	s_mov_b32 s29, exec_lo
	s_mov_b32 s28, exec_lo
	v_mbcnt_lo_u32_b32 v10, s29, 0
	s_waitcnt vmcnt(0) lgkmcnt(0)
	s_waitcnt_vscnt null, 0x0
	buffer_gl1_inv
	buffer_gl0_inv
	v_cmpx_eq_u32_e32 0, v10
	s_cbranch_execz .LBB4_1711
; %bb.1710:                             ;   in Loop: Header=BB4_49 Depth=1
	s_bcnt1_i32_b32 s29, s29
	v_mov_b32_e32 v11, v52
	v_mov_b32_e32 v10, s29
	ds_add_u64 v0, v[10:11]
	s_trap 2
.LBB4_1711:                             ;   in Loop: Header=BB4_49 Depth=1
	s_or_b32 exec_lo, exec_lo, s28
	s_trap 2
	ds_read_b64 v[10:11], v0
	s_waitcnt lgkmcnt(0)
	buffer_gl0_inv
	v_add_co_u32 v38, vcc_lo, v38, v87
	v_add_co_ci_u32_e64 v39, null, 0, v39, vcc_lo
	s_mov_b32 s28, exec_lo
	v_cmpx_lt_u64_e64 v[10:11], v[38:39]
	s_cbranch_execz .LBB4_1720
; %bb.1712:                             ;   in Loop: Header=BB4_49 Depth=1
	s_mov_b32 s29, 0
	s_mov_b32 s42, 0
                                        ; implicit-def: $sgpr40
                                        ; implicit-def: $sgpr41
	s_inst_prefetch 0x1
	s_branch .LBB4_1714
	.p2align	6
.LBB4_1713:                             ;   in Loop: Header=BB4_1714 Depth=2
	s_or_b32 exec_lo, exec_lo, s44
	s_and_b32 s43, exec_lo, s45
	s_or_b32 s29, s43, s29
	s_andn2_b32 s40, s40, exec_lo
	s_and_b32 s43, s41, exec_lo
	s_or_b32 s40, s40, s43
	s_andn2_b32 exec_lo, exec_lo, s29
	s_cbranch_execz .LBB4_1718
.LBB4_1714:                             ;   Parent Loop BB4_49 Depth=1
                                        ; =>  This Inner Loop Header: Depth=2
	s_add_i32 s42, s42, 1
	s_cmpk_lg_i32 s42, 0x2710
	s_cselect_b32 s43, -1, 0
	s_and_b32 vcc_lo, exec_lo, s43
	s_cbranch_vccz .LBB4_1716
; %bb.1715:                             ;   in Loop: Header=BB4_1714 Depth=2
	s_mov_b32 s45, -1
	s_or_b32 s41, s41, exec_lo
	s_and_saveexec_b32 s44, s43
	s_cbranch_execz .LBB4_1713
	s_branch .LBB4_1717
	.p2align	6
.LBB4_1716:                             ;   in Loop: Header=BB4_1714 Depth=2
	s_trap 2
	ds_read_b64 v[10:11], v0
	s_andn2_b32 s43, s43, exec_lo
	s_mov_b32 s42, 0
	s_waitcnt lgkmcnt(0)
	flat_load_dword v10, v[10:11] glc dlc
	s_waitcnt vmcnt(0) lgkmcnt(0)
	buffer_gl1_inv
	buffer_gl0_inv
	v_cmp_eq_u32_e32 vcc_lo, 0, v10
	s_and_b32 s44, vcc_lo, exec_lo
	s_or_b32 s43, s43, s44
	s_mov_b32 s45, -1
	s_or_b32 s41, s41, exec_lo
	s_and_saveexec_b32 s44, s43
	s_cbranch_execz .LBB4_1713
.LBB4_1717:                             ;   in Loop: Header=BB4_1714 Depth=2
	s_sleep 1
	s_trap 2
	ds_read_b64 v[10:11], v0
	s_waitcnt lgkmcnt(0)
	buffer_gl0_inv
	s_andn2_b32 s41, s41, exec_lo
	v_cmp_ge_u64_e32 vcc_lo, v[10:11], v[38:39]
	s_orn2_b32 s45, vcc_lo, exec_lo
	s_branch .LBB4_1713
.LBB4_1718:                             ;   in Loop: Header=BB4_49 Depth=1
	s_inst_prefetch 0x2
	s_or_b32 exec_lo, exec_lo, s29
	s_and_saveexec_b32 s29, s40
	s_xor_b32 s29, exec_lo, s29
	s_cbranch_execz .LBB4_1720
; %bb.1719:                             ;   in Loop: Header=BB4_49 Depth=1
	ds_write_b32 v0, v98
	s_trap 2
.LBB4_1720:                             ;   in Loop: Header=BB4_49 Depth=1
	s_or_b32 exec_lo, exec_lo, s28
	;;#ASMSTART
	s_wakeup
	;;#ASMEND
.LBB4_1721:                             ;   in Loop: Header=BB4_49 Depth=1
	s_or_b32 exec_lo, exec_lo, s27
.LBB4_1722:                             ;   in Loop: Header=BB4_49 Depth=1
	s_andn2_saveexec_b32 s26, s26
	s_cbranch_execz .LBB4_1724
; %bb.1723:                             ;   in Loop: Header=BB4_49 Depth=1
	s_waitcnt vmcnt(0) lgkmcnt(0)
	s_waitcnt_vscnt null, 0x0
	buffer_gl1_inv
	buffer_gl0_inv
	s_barrier
.LBB4_1724:                             ;   in Loop: Header=BB4_49 Depth=1
	s_or_b32 exec_lo, exec_lo, s26
.LBB4_1725:                             ;   in Loop: Header=BB4_49 Depth=1
	s_or_b32 exec_lo, exec_lo, s14
	v_and_b32_e32 v10, 16, v84
	v_cmp_ne_u32_e32 vcc_lo, 0, v10
	s_and_b32 s14, vcc_lo, s13
	s_and_saveexec_b32 s13, s14
	s_cbranch_execz .LBB4_1727
; %bb.1726:                             ;   in Loop: Header=BB4_49 Depth=1
	s_waitcnt vmcnt(0) lgkmcnt(0)
	s_waitcnt_vscnt null, 0x0
	buffer_gl1_inv
	buffer_gl0_inv
.LBB4_1727:                             ;   in Loop: Header=BB4_49 Depth=1
	s_or_b32 exec_lo, exec_lo, s13
	v_cmp_ne_u32_e32 vcc_lo, 0, v10
	s_xor_b32 s13, s7, -1
	s_and_b32 s14, vcc_lo, s13
	s_and_saveexec_b32 s13, s14
	s_cbranch_execz .LBB4_1729
; %bb.1728:                             ;   in Loop: Header=BB4_49 Depth=1
	s_waitcnt vmcnt(0) lgkmcnt(0)
	s_waitcnt_vscnt null, 0x0
	flat_store_dword v[50:51], v98
.LBB4_1729:                             ;   in Loop: Header=BB4_49 Depth=1
	s_or_b32 exec_lo, exec_lo, s13
	v_and_b32_e32 v10, 48, v84
	s_mov_b32 s13, exec_lo
	v_cmpx_ne_u32_e32 0, v10
	s_cbranch_execz .LBB4_1731
; %bb.1730:                             ;   in Loop: Header=BB4_49 Depth=1
	v_add_co_u32 v8, vcc_lo, v8, 1
	v_add_co_ci_u32_e64 v9, null, 0, v9, vcc_lo
	s_waitcnt vmcnt(0) lgkmcnt(0)
	s_waitcnt_vscnt null, 0x0
	flat_store_dwordx2 v[32:33], v[8:9]
.LBB4_1731:                             ;   in Loop: Header=BB4_49 Depth=1
	s_or_b32 exec_lo, exec_lo, s13
	v_mov_b32_e32 v10, v65
.LBB4_1732:                             ;   in Loop: Header=BB4_49 Depth=1
	s_or_b32 exec_lo, exec_lo, s25
	s_and_saveexec_b32 s14, s24
	s_cbranch_execz .LBB4_48
; %bb.1733:                             ;   in Loop: Header=BB4_49 Depth=1
	v_sub_nc_u32_e32 v10, v64, v10
	v_and_b32_e32 v11, 12, v84
	s_mov_b32 s24, exec_lo
	v_min_i32_e32 v10, v65, v10
	v_cmpx_ne_u32_e32 0, v11
	s_cbranch_execz .LBB4_1759
; %bb.1734:                             ;   in Loop: Header=BB4_49 Depth=1
	v_and_b32_e32 v16, 8, v84
	s_mov_b32 s25, exec_lo
	s_waitcnt vmcnt(0)
	v_add_co_u32 v14, vcc_lo, v36, v16
	v_add_co_ci_u32_e64 v15, null, 0, v37, vcc_lo
	s_waitcnt lgkmcnt(0)
	v_add_co_u32 v12, vcc_lo, v8, 1
	v_add_co_ci_u32_e64 v13, null, 0, v9, vcc_lo
	v_cmpx_lt_u64_e64 v[14:15], v[12:13]
	s_cbranch_execz .LBB4_1746
; %bb.1735:                             ;   in Loop: Header=BB4_49 Depth=1
	v_and_b32_e32 v9, 64, v84
	s_mov_b32 s26, 0
	s_mov_b32 s40, 0
                                        ; implicit-def: $sgpr27
                                        ; implicit-def: $sgpr28
                                        ; implicit-def: $sgpr29
	v_cmp_eq_u32_e32 vcc_lo, 0, v9
	s_branch .LBB4_1739
.LBB4_1736:                             ;   in Loop: Header=BB4_1739 Depth=2
	s_waitcnt vmcnt(0) lgkmcnt(0)
	v_add_co_u32 v14, s13, v36, v16
	v_add_co_ci_u32_e64 v15, null, 0, v37, s13
	s_or_b32 s43, s43, exec_lo
	v_cmp_ge_u64_e64 s13, v[14:15], v[12:13]
	s_orn2_b32 s42, s13, exec_lo
.LBB4_1737:                             ;   in Loop: Header=BB4_1739 Depth=2
	s_or_b32 exec_lo, exec_lo, s45
	s_andn2_b32 s13, s29, exec_lo
	s_and_b32 s29, s43, exec_lo
	s_andn2_b32 s28, s28, exec_lo
	s_and_b32 s42, s42, exec_lo
	s_or_b32 s29, s13, s29
	s_or_b32 s28, s28, s42
.LBB4_1738:                             ;   in Loop: Header=BB4_1739 Depth=2
	s_or_b32 exec_lo, exec_lo, s41
	s_and_b32 s13, exec_lo, s28
	s_or_b32 s26, s13, s26
	s_andn2_b32 s13, s27, exec_lo
	s_and_b32 s27, s29, exec_lo
	s_or_b32 s27, s13, s27
	s_andn2_b32 exec_lo, exec_lo, s26
	s_cbranch_execz .LBB4_1743
.LBB4_1739:                             ;   Parent Loop BB4_49 Depth=1
                                        ; =>  This Inner Loop Header: Depth=2
	s_sleep 1
	s_waitcnt vmcnt(0) lgkmcnt(0)
	flat_load_dwordx2 v[36:37], v[32:33] glc dlc
	s_or_b32 s29, s29, exec_lo
	s_or_b32 s28, s28, exec_lo
                                        ; implicit-def: $vgpr9
	s_and_saveexec_b32 s41, vcc_lo
	s_cbranch_execz .LBB4_1738
; %bb.1740:                             ;   in Loop: Header=BB4_1739 Depth=2
	s_cmpk_lt_i32 s40, 0x270f
	s_mov_b32 s42, -1
	s_cselect_b32 s44, -1, 0
	s_cmpk_gt_i32 s40, 0x270e
	s_cbranch_scc0 .LBB4_1742
; %bb.1741:                             ;   in Loop: Header=BB4_1739 Depth=2
	s_trap 2
	ds_read_b64 v[14:15], v0
	s_andn2_b32 s40, s44, exec_lo
	s_mov_b32 s43, 0
	s_waitcnt vmcnt(0) lgkmcnt(0)
	s_waitcnt_vscnt null, 0x0
	flat_load_dword v9, v[14:15] glc dlc
	s_waitcnt vmcnt(0) lgkmcnt(0)
	buffer_gl1_inv
	buffer_gl0_inv
	v_cmp_eq_u32_e64 s13, 0, v9
	s_and_b32 s13, s13, exec_lo
	s_or_b32 s44, s40, s13
	s_mov_b32 s40, 0
	s_and_saveexec_b32 s45, s44
	s_cbranch_execz .LBB4_1737
	s_branch .LBB4_1736
.LBB4_1742:                             ;   in Loop: Header=BB4_1739 Depth=2
	s_add_i32 s40, s40, 1
	s_mov_b32 s43, -1
                                        ; implicit-def: $vgpr9
	s_and_saveexec_b32 s45, s44
	s_cbranch_execz .LBB4_1737
	s_branch .LBB4_1736
.LBB4_1743:                             ;   in Loop: Header=BB4_49 Depth=1
	s_or_b32 exec_lo, exec_lo, s26
	s_xor_b32 s13, s27, -1
	s_and_saveexec_b32 s26, s13
	s_xor_b32 s13, exec_lo, s26
	s_cbranch_execz .LBB4_1745
; %bb.1744:                             ;   in Loop: Header=BB4_49 Depth=1
	v_or_b32_e32 v84, 64, v84
	s_waitcnt vmcnt(0) lgkmcnt(0)
	s_waitcnt_vscnt null, 0x0
	ds_write_b32 v0, v9
	s_trap 2
.LBB4_1745:                             ;   in Loop: Header=BB4_49 Depth=1
	s_or_b32 exec_lo, exec_lo, s13
.LBB4_1746:                             ;   in Loop: Header=BB4_49 Depth=1
	s_or_b32 exec_lo, exec_lo, s25
	v_and_b32_e32 v9, 0x108, v84
	v_and_b32_e32 v17, 7, v8
	s_mov_b32 s13, exec_lo
	;;#ASMSTART
	s_wakeup
	;;#ASMEND
	v_cmpx_ne_u32_e32 0x108, v9
	s_xor_b32 s13, exec_lo, s13
                                        ; implicit-def: $vgpr18
; %bb.1747:                             ;   in Loop: Header=BB4_49 Depth=1
	v_mov_b32_e32 v18, v52
; %bb.1748:                             ;   in Loop: Header=BB4_49 Depth=1
	s_andn2_saveexec_b32 s13, s13
	s_cbranch_execz .LBB4_1750
; %bb.1749:                             ;   in Loop: Header=BB4_49 Depth=1
	v_mad_u64_u32 v[8:9], null, v17, 24, v[6:7]
	v_ashrrev_i32_e32 v11, 31, v10
	v_mov_b32_e32 v18, v52
	flat_store_dwordx2 v[8:9], v[10:11] offset:8
.LBB4_1750:                             ;   in Loop: Header=BB4_49 Depth=1
	s_or_b32 exec_lo, exec_lo, s13
	v_and_b32_e32 v8, 0x100, v84
	s_mov_b32 s13, -1
	v_cmp_ne_u32_e32 vcc_lo, 0, v8
                                        ; implicit-def: $vgpr8_vgpr9
	s_and_saveexec_b32 s25, vcc_lo
	s_cbranch_execz .LBB4_1754
; %bb.1751:                             ;   in Loop: Header=BB4_49 Depth=1
	v_mad_u64_u32 v[14:15], null, v17, 24, v[6:7]
	v_mov_b32_e32 v8, v15
	v_mad_u64_u32 v[8:9], null, v18, 24, v[8:9]
	v_mov_b32_e32 v15, v8
	flat_load_dword v8, v[14:15]
	s_waitcnt vmcnt(0) lgkmcnt(0)
	v_cmp_eq_u32_e64 s13, 1, v8
	v_cmp_ne_u32_e32 vcc_lo, 1, v8
                                        ; implicit-def: $vgpr8_vgpr9
	s_and_saveexec_b32 s26, s13
	s_cbranch_execz .LBB4_1753
; %bb.1752:                             ;   in Loop: Header=BB4_49 Depth=1
	flat_load_dword v8, v[14:15] offset:4 glc dlc
	s_waitcnt vmcnt(0) lgkmcnt(0)
	v_ashrrev_i32_e32 v9, 31, v8
.LBB4_1753:                             ;   in Loop: Header=BB4_49 Depth=1
	s_or_b32 exec_lo, exec_lo, s26
	s_orn2_b32 s13, vcc_lo, exec_lo
.LBB4_1754:                             ;   in Loop: Header=BB4_49 Depth=1
	s_or_b32 exec_lo, exec_lo, s25
	s_and_saveexec_b32 s25, s13
; %bb.1755:                             ;   in Loop: Header=BB4_49 Depth=1
	v_mul_lo_u32 v11, v18, v85
	v_mul_lo_u32 v14, v17, v86
	v_mad_u64_u32 v[8:9], null, v17, v85, 0
	v_add3_u32 v9, v9, v14, v11
; %bb.1756:                             ;   in Loop: Header=BB4_49 Depth=1
	s_or_b32 exec_lo, exec_lo, s25
	v_cmp_eq_u32_e32 vcc_lo, 0, v16
	v_and_b32_e32 v14, 0x2000, v84
	s_mov_b32 s13, exec_lo
	v_cndmask_b32_e32 v11, 0xc8, v99, vcc_lo
	v_add_co_u32 v8, vcc_lo, v34, v8
	v_add_co_ci_u32_e64 v9, null, v35, v9, vcc_lo
	v_add_nc_u32_e32 v11, v0, v11
	ds_write_b64 v11, v[8:9] offset:584
	v_cmpx_ne_u32_e32 0, v14
	s_cbranch_execz .LBB4_1758
; %bb.1757:                             ;   in Loop: Header=BB4_49 Depth=1
	ds_read_b64 v[8:9], v0 offset:872
	s_waitcnt lgkmcnt(0)
	v_add_co_u32 v8, vcc_lo, v8, 1
	v_add_co_ci_u32_e64 v9, null, 0, v9, vcc_lo
	ds_write_b64 v0, v[8:9] offset:872
.LBB4_1758:                             ;   in Loop: Header=BB4_49 Depth=1
	s_or_b32 exec_lo, exec_lo, s13
	v_mov_b32_e32 v8, v12
	v_mov_b32_e32 v9, v13
.LBB4_1759:                             ;   in Loop: Header=BB4_49 Depth=1
	s_or_b32 exec_lo, exec_lo, s24
	s_and_saveexec_b32 s13, s6
	s_cbranch_execz .LBB4_1778
; %bb.1760:                             ;   in Loop: Header=BB4_49 Depth=1
	s_and_saveexec_b32 s24, s20
	s_xor_b32 s24, exec_lo, s24
	s_cbranch_execz .LBB4_1775
; %bb.1761:                             ;   in Loop: Header=BB4_49 Depth=1
	s_and_saveexec_b32 s25, s10
	s_cbranch_execz .LBB4_1774
; %bb.1762:                             ;   in Loop: Header=BB4_49 Depth=1
	s_mov_b32 s27, exec_lo
	s_mov_b32 s26, exec_lo
	v_mbcnt_lo_u32_b32 v11, s27, 0
	s_waitcnt vmcnt(0) lgkmcnt(0)
	s_waitcnt_vscnt null, 0x0
	buffer_gl1_inv
	buffer_gl0_inv
	v_cmpx_eq_u32_e32 0, v11
	s_cbranch_execz .LBB4_1764
; %bb.1763:                             ;   in Loop: Header=BB4_49 Depth=1
	s_bcnt1_i32_b32 s27, s27
	v_mov_b32_e32 v12, v52
	v_mov_b32_e32 v11, s27
	ds_add_u64 v0, v[11:12]
	s_trap 2
.LBB4_1764:                             ;   in Loop: Header=BB4_49 Depth=1
	s_or_b32 exec_lo, exec_lo, s26
	s_trap 2
	ds_read_b64 v[11:12], v0
	s_waitcnt lgkmcnt(0)
	buffer_gl0_inv
	v_add_co_u32 v38, vcc_lo, v38, v87
	v_add_co_ci_u32_e64 v39, null, 0, v39, vcc_lo
	s_mov_b32 s26, exec_lo
	v_cmpx_lt_u64_e64 v[11:12], v[38:39]
	s_cbranch_execz .LBB4_1773
; %bb.1765:                             ;   in Loop: Header=BB4_49 Depth=1
	s_mov_b32 s27, 0
	s_mov_b32 s40, 0
                                        ; implicit-def: $sgpr28
                                        ; implicit-def: $sgpr29
	s_inst_prefetch 0x1
	s_branch .LBB4_1767
	.p2align	6
.LBB4_1766:                             ;   in Loop: Header=BB4_1767 Depth=2
	s_or_b32 exec_lo, exec_lo, s42
	s_and_b32 s41, exec_lo, s43
	s_or_b32 s27, s41, s27
	s_andn2_b32 s28, s28, exec_lo
	s_and_b32 s41, s29, exec_lo
	s_or_b32 s28, s28, s41
	s_andn2_b32 exec_lo, exec_lo, s27
	s_cbranch_execz .LBB4_1771
.LBB4_1767:                             ;   Parent Loop BB4_49 Depth=1
                                        ; =>  This Inner Loop Header: Depth=2
	s_add_i32 s40, s40, 1
	s_cmpk_lg_i32 s40, 0x2710
	s_cselect_b32 s41, -1, 0
	s_and_b32 vcc_lo, exec_lo, s41
	s_cbranch_vccz .LBB4_1769
; %bb.1768:                             ;   in Loop: Header=BB4_1767 Depth=2
	s_mov_b32 s43, -1
	s_or_b32 s29, s29, exec_lo
	s_and_saveexec_b32 s42, s41
	s_cbranch_execz .LBB4_1766
	s_branch .LBB4_1770
	.p2align	6
.LBB4_1769:                             ;   in Loop: Header=BB4_1767 Depth=2
	s_trap 2
	ds_read_b64 v[11:12], v0
	s_andn2_b32 s41, s41, exec_lo
	s_mov_b32 s40, 0
	s_waitcnt lgkmcnt(0)
	flat_load_dword v11, v[11:12] glc dlc
	s_waitcnt vmcnt(0) lgkmcnt(0)
	buffer_gl1_inv
	buffer_gl0_inv
	v_cmp_eq_u32_e32 vcc_lo, 0, v11
	s_and_b32 s42, vcc_lo, exec_lo
	s_or_b32 s41, s41, s42
	s_mov_b32 s43, -1
	s_or_b32 s29, s29, exec_lo
	s_and_saveexec_b32 s42, s41
	s_cbranch_execz .LBB4_1766
.LBB4_1770:                             ;   in Loop: Header=BB4_1767 Depth=2
	s_sleep 1
	s_trap 2
	ds_read_b64 v[11:12], v0
	s_waitcnt lgkmcnt(0)
	buffer_gl0_inv
	s_andn2_b32 s29, s29, exec_lo
	v_cmp_ge_u64_e32 vcc_lo, v[11:12], v[38:39]
	s_orn2_b32 s43, vcc_lo, exec_lo
	s_branch .LBB4_1766
.LBB4_1771:                             ;   in Loop: Header=BB4_49 Depth=1
	s_inst_prefetch 0x2
	s_or_b32 exec_lo, exec_lo, s27
	s_and_saveexec_b32 s27, s28
	s_xor_b32 s27, exec_lo, s27
	s_cbranch_execz .LBB4_1773
; %bb.1772:                             ;   in Loop: Header=BB4_49 Depth=1
	ds_write_b32 v0, v98
	s_trap 2
.LBB4_1773:                             ;   in Loop: Header=BB4_49 Depth=1
	s_or_b32 exec_lo, exec_lo, s26
	;;#ASMSTART
	s_wakeup
	;;#ASMEND
.LBB4_1774:                             ;   in Loop: Header=BB4_49 Depth=1
	s_or_b32 exec_lo, exec_lo, s25
.LBB4_1775:                             ;   in Loop: Header=BB4_49 Depth=1
	s_andn2_saveexec_b32 s24, s24
	s_cbranch_execz .LBB4_1777
; %bb.1776:                             ;   in Loop: Header=BB4_49 Depth=1
	s_waitcnt vmcnt(0) lgkmcnt(0)
	s_waitcnt_vscnt null, 0x0
	buffer_gl1_inv
	buffer_gl0_inv
	s_barrier
.LBB4_1777:                             ;   in Loop: Header=BB4_49 Depth=1
	s_or_b32 exec_lo, exec_lo, s24
.LBB4_1778:                             ;   in Loop: Header=BB4_49 Depth=1
	s_or_b32 exec_lo, exec_lo, s13
	s_trap 2
	ds_read_b32 v11, v0
	v_cmp_lt_i32_e32 vcc_lo, 0, v10
	s_waitcnt lgkmcnt(0)
	v_readfirstlane_b32 s13, v11
	v_and_b32_e32 v11, 16, v84
	s_cmp_eq_u32 s13, 0
	v_cmp_ne_u32_e64 s13, 0, v11
	s_cselect_b32 s24, -1, 0
	s_and_b32 s24, vcc_lo, s24
	s_and_b32 s24, s13, s24
	s_and_saveexec_b32 s13, s24
	s_cbranch_execz .LBB4_1780
; %bb.1779:                             ;   in Loop: Header=BB4_49 Depth=1
	s_waitcnt vmcnt(0)
	s_waitcnt_vscnt null, 0x0
	buffer_gl1_inv
	buffer_gl0_inv
.LBB4_1780:                             ;   in Loop: Header=BB4_49 Depth=1
	s_or_b32 exec_lo, exec_lo, s13
	v_cmp_ne_u32_e32 vcc_lo, 0, v11
	s_xor_b32 s13, s7, -1
	s_and_b32 s24, vcc_lo, s13
	s_and_saveexec_b32 s13, s24
	s_cbranch_execz .LBB4_1782
; %bb.1781:                             ;   in Loop: Header=BB4_49 Depth=1
	s_waitcnt vmcnt(0)
	s_waitcnt_vscnt null, 0x0
	flat_store_dword v[50:51], v98
.LBB4_1782:                             ;   in Loop: Header=BB4_49 Depth=1
	s_or_b32 exec_lo, exec_lo, s13
	v_and_b32_e32 v10, 48, v84
	s_mov_b32 s13, exec_lo
	v_cmpx_ne_u32_e32 0, v10
	s_cbranch_execz .LBB4_47
; %bb.1783:                             ;   in Loop: Header=BB4_49 Depth=1
	v_add_co_u32 v8, vcc_lo, v8, 1
	v_add_co_ci_u32_e64 v9, null, 0, v9, vcc_lo
	s_waitcnt vmcnt(0) lgkmcnt(0)
	s_waitcnt_vscnt null, 0x0
	flat_store_dwordx2 v[32:33], v[8:9]
	s_branch .LBB4_47
.LBB4_1784:
	s_or_b32 exec_lo, exec_lo, s21
.LBB4_1785:
	s_or_b32 exec_lo, exec_lo, s19
                                        ; implicit-def: $vgpr26_vgpr27
                                        ; implicit-def: $vgpr4_vgpr5
                                        ; implicit-def: $vgpr85
                                        ; implicit-def: $vgpr36_vgpr37
                                        ; implicit-def: $vgpr34_vgpr35
                                        ; implicit-def: $vgpr32_vgpr33
                                        ; implicit-def: $vgpr0
                                        ; implicit-def: $vgpr64
                                        ; implicit-def: $vgpr48
.LBB4_1786:
	s_andn2_saveexec_b32 s14, s18
	s_cbranch_execz .LBB4_3516
; %bb.1787:
	v_mov_b32_e32 v38, 0
	v_mov_b32_e32 v39, 0
	s_mov_b32 s18, exec_lo
	v_cmpx_ne_u64_e32 0, v[4:5]
	s_cbranch_execz .LBB4_3515
; %bb.1788:
	v_ashrrev_i32_e32 v10, 31, v0
	v_and_b32_e32 v11, 31, v31
	v_lshrrev_b32_e32 v82, 5, v1
	s_ashr_i32 s7, s16, 31
	v_cmp_eq_u32_e32 vcc_lo, 32, v1
	v_lshrrev_b32_e32 v10, 27, v10
	s_lshr_b32 s7, s7, 24
	v_mov_b32_e32 v52, 0
	v_mov_b32_e32 v38, 0
	v_cmp_ge_i32_e64 s5, v0, v1
	v_add_nc_u32_e32 v10, v0, v10
	v_cmp_ne_u32_e64 s6, 32, v1
	s_waitcnt vmcnt(0)
	v_cmp_ne_u32_sdwa s19, v1, v30 src0_sel:DWORD src1_sel:WORD_0
	s_waitcnt lgkmcnt(1)
	v_mov_b32_e32 v51, 0
	v_and_b32_e32 v83, 0x1fe0, v1
	v_and_b32_e32 v12, 0xffffffe0, v10
	v_ashrrev_i32_e32 v87, 5, v10
	v_mov_b32_e32 v53, 0
	v_mov_b32_e32 v86, 1
	;; [unrolled: 1-line block ×3, first 2 shown]
	v_sub_nc_u32_e32 v99, v0, v12
	v_lshlrev_b32_e32 v10, 10, v87
	v_mov_b32_e32 v97, 0x80
	v_mov_b32_e32 v98, 0xffff
	;; [unrolled: 1-line block ×3, first 2 shown]
	s_add_i32 s12, s16, s7
	v_lshl_add_u32 v101, v99, 4, v10
	v_cmp_eq_u32_e64 s7, 0, v11
	v_lshlrev_b32_e32 v102, 10, v82
	v_lshlrev_b32_e32 v103, 9, v82
	v_cmp_le_i32_e64 s10, v99, v64
	v_cmp_gt_i32_e64 s11, 1, v99
	v_ashrrev_i32_e32 v112, 31, v101
	v_mov_b32_e32 v113, 0xff
	v_mov_b32_e32 v39, 0
	;; [unrolled: 1-line block ×3, first 2 shown]
	s_ashr_i32 s21, s12, 8
	s_mov_b32 s20, 0
	s_xor_b32 s22, vcc_lo, -1
	s_trap 2
	s_branch .LBB4_1791
.LBB4_1789:                             ;   in Loop: Header=BB4_1791 Depth=1
	s_or_b32 exec_lo, exec_lo, s12
.LBB4_1790:                             ;   in Loop: Header=BB4_1791 Depth=1
	s_or_b32 exec_lo, exec_lo, s13
	v_add_co_u32 v52, vcc_lo, v52, v48
	v_add_co_ci_u32_e64 v53, null, 0, v53, vcc_lo
	v_cmp_ge_u64_e32 vcc_lo, v[52:53], v[4:5]
	s_or_b32 s20, vcc_lo, s20
	s_andn2_b32 exec_lo, exec_lo, s20
	s_cbranch_execz .LBB4_3514
.LBB4_1791:                             ; =>This Loop Header: Depth=1
                                        ;     Child Loop BB4_1800 Depth 2
                                        ;     Child Loop BB4_1824 Depth 2
	;; [unrolled: 1-line block ×10, first 2 shown]
	v_sub_co_u32 v10, vcc_lo, v4, v52
	v_sub_co_ci_u32_e64 v11, null, v5, v53, vcc_lo
	v_mov_b32_e32 v14, 0
	v_cmp_lt_u64_e32 vcc_lo, v[48:49], v[10:11]
	v_cndmask_b32_e32 v54, v10, v48, vcc_lo
	v_cndmask_b32_e64 v55, v11, 0, vcc_lo
	v_add_nc_u32_e32 v10, 15, v54
	v_cmp_eq_u64_e32 vcc_lo, 0, v[54:55]
	v_and_b32_e32 v10, 0x7ffffff0, v10
	s_or_b32 s23, s5, vcc_lo
	s_xor_b32 s12, s23, -1
	v_max_i32_e32 v55, s21, v10
	s_and_saveexec_b32 s24, s12
	s_cbranch_execz .LBB4_3468
; %bb.1792:                             ;   in Loop: Header=BB4_1791 Depth=1
	s_and_saveexec_b32 s13, s4
	s_cbranch_execz .LBB4_1794
; %bb.1793:                             ;   in Loop: Header=BB4_1791 Depth=1
	s_trap 2
	ds_read2_b64 v[10:13], v0 offset1:1
	ds_read_b64 v[14:15], v0
	v_add_co_u32 v16, vcc_lo, v52, v26
	v_add_co_ci_u32_e64 v17, null, v53, v27, vcc_lo
	s_waitcnt lgkmcnt(1)
	v_add_co_u32 v10, vcc_lo, v10, v16
	v_add_co_ci_u32_e64 v11, null, v11, v17, vcc_lo
	s_waitcnt lgkmcnt(0)
	v_add_co_u32 v18, vcc_lo, v14, v16
	v_add_co_ci_u32_e64 v19, null, v15, v17, vcc_lo
	v_cmp_ne_u64_e32 vcc_lo, 0, v[14:15]
	v_add_co_u32 v12, s12, v12, v16
	v_add_co_ci_u32_e64 v13, null, v13, v17, s12
	v_cndmask_b32_e32 v15, 0, v19, vcc_lo
	v_cndmask_b32_e32 v14, 0, v18, vcc_lo
	ds_write_b64 v0, v[10:11]
	ds_write_b64 v0, v[12:13]
	;; [unrolled: 1-line block ×3, first 2 shown]
.LBB4_1794:                             ;   in Loop: Header=BB4_1791 Depth=1
	s_or_b32 exec_lo, exec_lo, s13
	v_and_b32_e32 v10, 4, v84
	s_mov_b32 s13, exec_lo
	v_cmpx_ne_u32_e32 0, v10
	s_cbranch_execz .LBB4_1816
; %bb.1795:                             ;   in Loop: Header=BB4_1791 Depth=1
	s_waitcnt lgkmcnt(0)
	v_add_co_u32 v10, vcc_lo, v8, 1
	v_add_co_ci_u32_e64 v11, null, 0, v9, vcc_lo
	s_mov_b32 s25, exec_lo
	s_waitcnt vmcnt(0)
	v_cmpx_lt_u64_e64 v[36:37], v[10:11]
	s_cbranch_execz .LBB4_1807
; %bb.1796:                             ;   in Loop: Header=BB4_1791 Depth=1
	v_and_b32_e32 v9, 64, v84
	s_mov_b32 s26, 0
	s_mov_b32 s40, 0
                                        ; implicit-def: $sgpr27
                                        ; implicit-def: $sgpr28
                                        ; implicit-def: $sgpr29
	v_cmp_eq_u32_e32 vcc_lo, 0, v9
	s_branch .LBB4_1800
.LBB4_1797:                             ;   in Loop: Header=BB4_1800 Depth=2
	s_waitcnt vmcnt(0) lgkmcnt(0)
	v_cmp_ge_u64_e64 s12, v[36:37], v[10:11]
	s_or_b32 s43, s43, exec_lo
	s_orn2_b32 s42, s12, exec_lo
.LBB4_1798:                             ;   in Loop: Header=BB4_1800 Depth=2
	s_or_b32 exec_lo, exec_lo, s45
	s_andn2_b32 s12, s29, exec_lo
	s_and_b32 s29, s43, exec_lo
	s_andn2_b32 s28, s28, exec_lo
	s_and_b32 s42, s42, exec_lo
	s_or_b32 s29, s12, s29
	s_or_b32 s28, s28, s42
.LBB4_1799:                             ;   in Loop: Header=BB4_1800 Depth=2
	s_or_b32 exec_lo, exec_lo, s41
	s_and_b32 s12, exec_lo, s28
	s_or_b32 s26, s12, s26
	s_andn2_b32 s12, s27, exec_lo
	s_and_b32 s27, s29, exec_lo
	s_or_b32 s27, s12, s27
	s_andn2_b32 exec_lo, exec_lo, s26
	s_cbranch_execz .LBB4_1804
.LBB4_1800:                             ;   Parent Loop BB4_1791 Depth=1
                                        ; =>  This Inner Loop Header: Depth=2
	s_sleep 1
	s_waitcnt vmcnt(0) lgkmcnt(0)
	flat_load_dwordx2 v[36:37], v[32:33] glc dlc
	s_or_b32 s29, s29, exec_lo
	s_or_b32 s28, s28, exec_lo
                                        ; implicit-def: $vgpr9
	s_and_saveexec_b32 s41, vcc_lo
	s_cbranch_execz .LBB4_1799
; %bb.1801:                             ;   in Loop: Header=BB4_1800 Depth=2
	s_cmpk_lt_i32 s40, 0x270f
	s_mov_b32 s42, -1
	s_cselect_b32 s44, -1, 0
	s_cmpk_gt_i32 s40, 0x270e
	s_cbranch_scc0 .LBB4_1803
; %bb.1802:                             ;   in Loop: Header=BB4_1800 Depth=2
	s_trap 2
	ds_read_b64 v[12:13], v0
	s_andn2_b32 s40, s44, exec_lo
	s_mov_b32 s43, 0
	s_waitcnt vmcnt(0) lgkmcnt(0)
	s_waitcnt_vscnt null, 0x0
	flat_load_dword v9, v[12:13] glc dlc
	s_waitcnt vmcnt(0) lgkmcnt(0)
	buffer_gl1_inv
	buffer_gl0_inv
	v_cmp_eq_u32_e64 s12, 0, v9
	s_and_b32 s12, s12, exec_lo
	s_or_b32 s44, s40, s12
	s_mov_b32 s40, 0
	s_and_saveexec_b32 s45, s44
	s_cbranch_execz .LBB4_1798
	s_branch .LBB4_1797
.LBB4_1803:                             ;   in Loop: Header=BB4_1800 Depth=2
	s_add_i32 s40, s40, 1
	s_mov_b32 s43, -1
                                        ; implicit-def: $vgpr9
	s_and_saveexec_b32 s45, s44
	s_cbranch_execz .LBB4_1798
	s_branch .LBB4_1797
.LBB4_1804:                             ;   in Loop: Header=BB4_1791 Depth=1
	s_or_b32 exec_lo, exec_lo, s26
	s_xor_b32 s12, s27, -1
	s_and_saveexec_b32 s26, s12
	s_xor_b32 s12, exec_lo, s26
	s_cbranch_execz .LBB4_1806
; %bb.1805:                             ;   in Loop: Header=BB4_1791 Depth=1
	v_or_b32_e32 v84, 64, v84
	s_waitcnt vmcnt(0) lgkmcnt(0)
	s_waitcnt_vscnt null, 0x0
	ds_write_b32 v0, v9
	s_trap 2
.LBB4_1806:                             ;   in Loop: Header=BB4_1791 Depth=1
	s_or_b32 exec_lo, exec_lo, s12
.LBB4_1807:                             ;   in Loop: Header=BB4_1791 Depth=1
	s_or_b32 exec_lo, exec_lo, s25
	v_and_b32_e32 v9, 0x100, v84
	v_and_b32_e32 v14, 7, v8
	s_mov_b32 s12, -1
	;;#ASMSTART
	s_wakeup
	;;#ASMEND
	v_cmp_ne_u32_e32 vcc_lo, 0, v9
                                        ; implicit-def: $vgpr8_vgpr9
	s_and_saveexec_b32 s25, vcc_lo
	s_cbranch_execz .LBB4_1811
; %bb.1808:                             ;   in Loop: Header=BB4_1791 Depth=1
	v_mad_u64_u32 v[12:13], null, v14, 24, v[6:7]
	flat_load_dword v8, v[12:13]
	s_waitcnt vmcnt(0) lgkmcnt(0)
	v_cmp_eq_u32_e64 s12, 1, v8
	v_cmp_ne_u32_e32 vcc_lo, 1, v8
                                        ; implicit-def: $vgpr8_vgpr9
	s_and_saveexec_b32 s26, s12
	s_cbranch_execz .LBB4_1810
; %bb.1809:                             ;   in Loop: Header=BB4_1791 Depth=1
	flat_load_dword v8, v[12:13] offset:4 glc dlc
	s_waitcnt vmcnt(0) lgkmcnt(0)
	v_ashrrev_i32_e32 v9, 31, v8
.LBB4_1810:                             ;   in Loop: Header=BB4_1791 Depth=1
	s_or_b32 exec_lo, exec_lo, s26
	s_orn2_b32 s12, vcc_lo, exec_lo
.LBB4_1811:                             ;   in Loop: Header=BB4_1791 Depth=1
	s_or_b32 exec_lo, exec_lo, s25
	s_and_saveexec_b32 s25, s12
; %bb.1812:                             ;   in Loop: Header=BB4_1791 Depth=1
	v_mad_i64_i32 v[8:9], null, v14, v85, 0
; %bb.1813:                             ;   in Loop: Header=BB4_1791 Depth=1
	s_or_b32 exec_lo, exec_lo, s25
	v_add_co_u32 v8, vcc_lo, v34, v8
	v_and_b32_e32 v12, 0x2000, v84
	v_add_co_ci_u32_e64 v9, null, v35, v9, vcc_lo
	s_mov_b32 s12, exec_lo
	ds_write_b64 v0, v[8:9] offset:728
	v_cmpx_ne_u32_e32 0, v12
	s_cbranch_execz .LBB4_1815
; %bb.1814:                             ;   in Loop: Header=BB4_1791 Depth=1
	ds_read_b64 v[8:9], v0 offset:872
	s_waitcnt lgkmcnt(0)
	v_add_co_u32 v8, vcc_lo, v8, 1
	v_add_co_ci_u32_e64 v9, null, 0, v9, vcc_lo
	ds_write_b64 v0, v[8:9] offset:872
.LBB4_1815:                             ;   in Loop: Header=BB4_1791 Depth=1
	s_or_b32 exec_lo, exec_lo, s12
	v_mov_b32_e32 v8, v10
	v_mov_b32_e32 v9, v11
.LBB4_1816:                             ;   in Loop: Header=BB4_1791 Depth=1
	s_or_b32 exec_lo, exec_lo, s13
	s_and_saveexec_b32 s12, s6
	s_cbranch_execz .LBB4_1835
; %bb.1817:                             ;   in Loop: Header=BB4_1791 Depth=1
	s_and_saveexec_b32 s13, s19
	s_xor_b32 s13, exec_lo, s13
	s_cbranch_execz .LBB4_1832
; %bb.1818:                             ;   in Loop: Header=BB4_1791 Depth=1
	s_and_saveexec_b32 s25, s7
	s_cbranch_execz .LBB4_1831
; %bb.1819:                             ;   in Loop: Header=BB4_1791 Depth=1
	s_mov_b32 s27, exec_lo
	s_mov_b32 s26, exec_lo
	v_mbcnt_lo_u32_b32 v10, s27, 0
	s_waitcnt vmcnt(0) lgkmcnt(0)
	s_waitcnt_vscnt null, 0x0
	buffer_gl1_inv
	buffer_gl0_inv
	v_cmpx_eq_u32_e32 0, v10
	s_cbranch_execz .LBB4_1821
; %bb.1820:                             ;   in Loop: Header=BB4_1791 Depth=1
	s_bcnt1_i32_b32 s27, s27
	v_mov_b32_e32 v50, s27
	ds_add_u64 v0, v[50:51]
	s_trap 2
.LBB4_1821:                             ;   in Loop: Header=BB4_1791 Depth=1
	s_or_b32 exec_lo, exec_lo, s26
	s_trap 2
	ds_read_b64 v[10:11], v0
	s_waitcnt lgkmcnt(0)
	buffer_gl0_inv
	v_add_co_u32 v38, vcc_lo, v38, v82
	v_add_co_ci_u32_e64 v39, null, 0, v39, vcc_lo
	s_mov_b32 s26, exec_lo
	v_cmpx_lt_u64_e64 v[10:11], v[38:39]
	s_cbranch_execz .LBB4_1830
; %bb.1822:                             ;   in Loop: Header=BB4_1791 Depth=1
	s_mov_b32 s27, 0
	s_mov_b32 s40, 0
                                        ; implicit-def: $sgpr28
                                        ; implicit-def: $sgpr29
	s_inst_prefetch 0x1
	s_branch .LBB4_1824
	.p2align	6
.LBB4_1823:                             ;   in Loop: Header=BB4_1824 Depth=2
	s_or_b32 exec_lo, exec_lo, s42
	s_and_b32 s41, exec_lo, s43
	s_or_b32 s27, s41, s27
	s_andn2_b32 s28, s28, exec_lo
	s_and_b32 s41, s29, exec_lo
	s_or_b32 s28, s28, s41
	s_andn2_b32 exec_lo, exec_lo, s27
	s_cbranch_execz .LBB4_1828
.LBB4_1824:                             ;   Parent Loop BB4_1791 Depth=1
                                        ; =>  This Inner Loop Header: Depth=2
	s_add_i32 s40, s40, 1
	s_cmpk_lg_i32 s40, 0x2710
	s_cselect_b32 s41, -1, 0
	s_and_b32 vcc_lo, exec_lo, s41
	s_cbranch_vccz .LBB4_1826
; %bb.1825:                             ;   in Loop: Header=BB4_1824 Depth=2
	s_mov_b32 s43, -1
	s_or_b32 s29, s29, exec_lo
	s_and_saveexec_b32 s42, s41
	s_cbranch_execz .LBB4_1823
	s_branch .LBB4_1827
	.p2align	6
.LBB4_1826:                             ;   in Loop: Header=BB4_1824 Depth=2
	s_trap 2
	ds_read_b64 v[10:11], v0
	s_andn2_b32 s41, s41, exec_lo
	s_mov_b32 s40, 0
	s_waitcnt lgkmcnt(0)
	flat_load_dword v10, v[10:11] glc dlc
	s_waitcnt vmcnt(0) lgkmcnt(0)
	buffer_gl1_inv
	buffer_gl0_inv
	v_cmp_eq_u32_e32 vcc_lo, 0, v10
	s_and_b32 s42, vcc_lo, exec_lo
	s_or_b32 s41, s41, s42
	s_mov_b32 s43, -1
	s_or_b32 s29, s29, exec_lo
	s_and_saveexec_b32 s42, s41
	s_cbranch_execz .LBB4_1823
.LBB4_1827:                             ;   in Loop: Header=BB4_1824 Depth=2
	s_sleep 1
	s_trap 2
	ds_read_b64 v[10:11], v0
	s_waitcnt lgkmcnt(0)
	buffer_gl0_inv
	s_andn2_b32 s29, s29, exec_lo
	v_cmp_ge_u64_e32 vcc_lo, v[10:11], v[38:39]
	s_orn2_b32 s43, vcc_lo, exec_lo
	s_branch .LBB4_1823
.LBB4_1828:                             ;   in Loop: Header=BB4_1791 Depth=1
	s_inst_prefetch 0x2
	s_or_b32 exec_lo, exec_lo, s27
	s_and_saveexec_b32 s27, s28
	s_xor_b32 s27, exec_lo, s27
	s_cbranch_execz .LBB4_1830
; %bb.1829:                             ;   in Loop: Header=BB4_1791 Depth=1
	ds_write_b32 v0, v86
	s_trap 2
.LBB4_1830:                             ;   in Loop: Header=BB4_1791 Depth=1
	s_or_b32 exec_lo, exec_lo, s26
	;;#ASMSTART
	s_wakeup
	;;#ASMEND
.LBB4_1831:                             ;   in Loop: Header=BB4_1791 Depth=1
	s_or_b32 exec_lo, exec_lo, s25
.LBB4_1832:                             ;   in Loop: Header=BB4_1791 Depth=1
	s_andn2_saveexec_b32 s13, s13
	s_cbranch_execz .LBB4_1834
; %bb.1833:                             ;   in Loop: Header=BB4_1791 Depth=1
	s_waitcnt vmcnt(0) lgkmcnt(0)
	s_waitcnt_vscnt null, 0x0
	buffer_gl1_inv
	buffer_gl0_inv
	s_barrier
.LBB4_1834:                             ;   in Loop: Header=BB4_1791 Depth=1
	s_or_b32 exec_lo, exec_lo, s13
.LBB4_1835:                             ;   in Loop: Header=BB4_1791 Depth=1
	s_or_b32 exec_lo, exec_lo, s12
	s_trap 2
	ds_read_b32 v10, v0
	v_and_b32_e32 v11, 0x4000, v84
	v_cmp_ne_u32_e32 vcc_lo, 0, v11
	s_and_b32 s13, s22, vcc_lo
	s_and_saveexec_b32 s12, s13
	s_cbranch_execz .LBB4_1854
; %bb.1836:                             ;   in Loop: Header=BB4_1791 Depth=1
	s_and_saveexec_b32 s13, s19
	s_xor_b32 s13, exec_lo, s13
	s_cbranch_execz .LBB4_1851
; %bb.1837:                             ;   in Loop: Header=BB4_1791 Depth=1
	s_and_saveexec_b32 s25, s7
	s_cbranch_execz .LBB4_1850
; %bb.1838:                             ;   in Loop: Header=BB4_1791 Depth=1
	s_mov_b32 s27, exec_lo
	s_mov_b32 s26, exec_lo
	v_mbcnt_lo_u32_b32 v11, s27, 0
	s_waitcnt vmcnt(0) lgkmcnt(0)
	s_waitcnt_vscnt null, 0x0
	buffer_gl1_inv
	buffer_gl0_inv
	v_cmpx_eq_u32_e32 0, v11
	s_cbranch_execz .LBB4_1840
; %bb.1839:                             ;   in Loop: Header=BB4_1791 Depth=1
	s_bcnt1_i32_b32 s27, s27
	v_mov_b32_e32 v50, s27
	ds_add_u64 v0, v[50:51]
	s_trap 2
.LBB4_1840:                             ;   in Loop: Header=BB4_1791 Depth=1
	s_or_b32 exec_lo, exec_lo, s26
	s_trap 2
	ds_read_b64 v[11:12], v0
	s_waitcnt lgkmcnt(0)
	buffer_gl0_inv
	v_add_co_u32 v38, vcc_lo, v38, v82
	v_add_co_ci_u32_e64 v39, null, 0, v39, vcc_lo
	s_mov_b32 s26, exec_lo
	v_cmpx_lt_u64_e64 v[11:12], v[38:39]
	s_cbranch_execz .LBB4_1849
; %bb.1841:                             ;   in Loop: Header=BB4_1791 Depth=1
	s_mov_b32 s27, 0
	s_mov_b32 s40, 0
                                        ; implicit-def: $sgpr28
                                        ; implicit-def: $sgpr29
	s_inst_prefetch 0x1
	s_branch .LBB4_1843
	.p2align	6
.LBB4_1842:                             ;   in Loop: Header=BB4_1843 Depth=2
	s_or_b32 exec_lo, exec_lo, s42
	s_and_b32 s41, exec_lo, s43
	s_or_b32 s27, s41, s27
	s_andn2_b32 s28, s28, exec_lo
	s_and_b32 s41, s29, exec_lo
	s_or_b32 s28, s28, s41
	s_andn2_b32 exec_lo, exec_lo, s27
	s_cbranch_execz .LBB4_1847
.LBB4_1843:                             ;   Parent Loop BB4_1791 Depth=1
                                        ; =>  This Inner Loop Header: Depth=2
	s_add_i32 s40, s40, 1
	s_cmpk_lg_i32 s40, 0x2710
	s_cselect_b32 s41, -1, 0
	s_and_b32 vcc_lo, exec_lo, s41
	s_cbranch_vccz .LBB4_1845
; %bb.1844:                             ;   in Loop: Header=BB4_1843 Depth=2
	s_mov_b32 s43, -1
	s_or_b32 s29, s29, exec_lo
	s_and_saveexec_b32 s42, s41
	s_cbranch_execz .LBB4_1842
	s_branch .LBB4_1846
	.p2align	6
.LBB4_1845:                             ;   in Loop: Header=BB4_1843 Depth=2
	s_trap 2
	ds_read_b64 v[11:12], v0
	s_andn2_b32 s41, s41, exec_lo
	s_mov_b32 s40, 0
	s_waitcnt lgkmcnt(0)
	flat_load_dword v11, v[11:12] glc dlc
	s_waitcnt vmcnt(0) lgkmcnt(0)
	buffer_gl1_inv
	buffer_gl0_inv
	v_cmp_eq_u32_e32 vcc_lo, 0, v11
	s_and_b32 s42, vcc_lo, exec_lo
	s_or_b32 s41, s41, s42
	s_mov_b32 s43, -1
	s_or_b32 s29, s29, exec_lo
	s_and_saveexec_b32 s42, s41
	s_cbranch_execz .LBB4_1842
.LBB4_1846:                             ;   in Loop: Header=BB4_1843 Depth=2
	s_sleep 1
	s_trap 2
	ds_read_b64 v[11:12], v0
	s_waitcnt lgkmcnt(0)
	buffer_gl0_inv
	s_andn2_b32 s29, s29, exec_lo
	v_cmp_ge_u64_e32 vcc_lo, v[11:12], v[38:39]
	s_orn2_b32 s43, vcc_lo, exec_lo
	s_branch .LBB4_1842
.LBB4_1847:                             ;   in Loop: Header=BB4_1791 Depth=1
	s_inst_prefetch 0x2
	s_or_b32 exec_lo, exec_lo, s27
	s_and_saveexec_b32 s27, s28
	s_xor_b32 s27, exec_lo, s27
	s_cbranch_execz .LBB4_1849
; %bb.1848:                             ;   in Loop: Header=BB4_1791 Depth=1
	ds_write_b32 v0, v86
	s_trap 2
.LBB4_1849:                             ;   in Loop: Header=BB4_1791 Depth=1
	s_or_b32 exec_lo, exec_lo, s26
	;;#ASMSTART
	s_wakeup
	;;#ASMEND
.LBB4_1850:                             ;   in Loop: Header=BB4_1791 Depth=1
	s_or_b32 exec_lo, exec_lo, s25
.LBB4_1851:                             ;   in Loop: Header=BB4_1791 Depth=1
	s_andn2_saveexec_b32 s13, s13
	s_cbranch_execz .LBB4_1853
; %bb.1852:                             ;   in Loop: Header=BB4_1791 Depth=1
	s_waitcnt vmcnt(0) lgkmcnt(0)
	s_waitcnt_vscnt null, 0x0
	buffer_gl1_inv
	buffer_gl0_inv
	s_barrier
.LBB4_1853:                             ;   in Loop: Header=BB4_1791 Depth=1
	s_or_b32 exec_lo, exec_lo, s13
.LBB4_1854:                             ;   in Loop: Header=BB4_1791 Depth=1
	s_or_b32 exec_lo, exec_lo, s12
	s_trap 2
	ds_read_b64 v[64:65], v0
	v_min_u32_e32 v55, v55, v54
	s_waitcnt lgkmcnt(0)
	v_cmp_eq_u64_e32 vcc_lo, 0, v[64:65]
	s_cbranch_vccnz .LBB4_1862
; %bb.1855:                             ;   in Loop: Header=BB4_1791 Depth=1
	s_trap 2
	ds_read_b64 v[66:67], v0
	s_waitcnt lgkmcnt(0)
	v_cmp_eq_u64_e32 vcc_lo, 0, v[66:67]
	s_cbranch_vccnz .LBB4_1862
; %bb.1856:                             ;   in Loop: Header=BB4_1791 Depth=1
	s_mov_b32 s12, -1
	s_and_saveexec_b32 s13, s10
	s_cbranch_execz .LBB4_1858
; %bb.1857:                             ;   in Loop: Header=BB4_1791 Depth=1
	ds_read_b32 v11, v0 offset:720
	s_waitcnt lgkmcnt(0)
	v_and_b32_e32 v11, 15, v11
	v_cmp_eq_u32_e32 vcc_lo, 0, v11
	s_orn2_b32 s12, vcc_lo, exec_lo
.LBB4_1858:                             ;   in Loop: Header=BB4_1791 Depth=1
	s_or_b32 exec_lo, exec_lo, s13
	s_and_saveexec_b32 s13, s11
	s_cbranch_execz .LBB4_1860
; %bb.1859:                             ;   in Loop: Header=BB4_1791 Depth=1
	ds_read_b32 v11, v0 offset:784
	s_waitcnt lgkmcnt(0)
	v_and_b32_e32 v11, 15, v11
	v_cmp_eq_u32_e32 vcc_lo, 0, v11
	s_and_b32 s25, s12, vcc_lo
	s_andn2_b32 s12, s12, exec_lo
	s_and_b32 s25, s25, exec_lo
	s_or_b32 s12, s12, s25
.LBB4_1860:                             ;   in Loop: Header=BB4_1791 Depth=1
	s_or_b32 exec_lo, exec_lo, s13
	v_cmp_eq_u32_e32 vcc_lo, 0, v10
	s_xor_b32 s12, s12, -1
	v_mov_b32_e32 v16, 0
	v_cndmask_b32_e64 v11, 0, 1, s12
	v_mov_b32_e32 v18, v0
	v_cndmask_b32_e32 v50, 0, v55, vcc_lo
	v_mov_b32_e32 v10, v87
	s_mov_b32 s12, -1
	v_cmp_ne_u32_e32 vcc_lo, 0, v11
	v_mov_b32_e32 v17, v50
	s_cbranch_vccz .LBB4_1863
; %bb.1861:                             ;   in Loop: Header=BB4_1791 Depth=1
	s_and_saveexec_b32 s13, s12
	s_cbranch_execnz .LBB4_3028
	s_branch .LBB4_3444
.LBB4_1862:                             ;   in Loop: Header=BB4_1791 Depth=1
	s_mov_b32 s12, 0
	s_and_saveexec_b32 s13, s6
	s_cbranch_execnz .LBB4_3445
	s_branch .LBB4_3463
.LBB4_1863:                             ;   in Loop: Header=BB4_1791 Depth=1
	v_lshrrev_b32_e32 v10, 10, v50
	s_mov_b32 s13, exec_lo
	v_sub_nc_u32_e32 v115, v10, v87
	v_cmpx_lt_i32_e32 0, v115
	s_cbranch_execz .LBB4_2635
; %bb.1864:                             ;   in Loop: Header=BB4_1791 Depth=1
	s_trap 2
	ds_read_b64 v[10:11], v0
	v_add_co_u32 v68, vcc_lo, v64, v101
	v_add_co_ci_u32_e64 v69, null, v65, v112, vcc_lo
	s_mov_b32 s25, 0
	s_waitcnt lgkmcnt(0)
	v_add_co_u32 v70, vcc_lo, v10, v101
	v_add_co_ci_u32_e64 v71, null, v11, v112, vcc_lo
	v_add_co_u32 v80, vcc_lo, v66, v101
	v_add_co_ci_u32_e64 v81, null, v67, v112, vcc_lo
	s_branch .LBB4_1868
.LBB4_1865:                             ;   in Loop: Header=BB4_1868 Depth=2
	s_or_b32 exec_lo, exec_lo, s12
	v_lshrrev_b32_e32 v61, 20, v61
	v_min_i32_e32 v62, 15, v17
	v_cmp_gt_i32_e32 vcc_lo, 16, v17
	v_and_b32_sdwa v13, v13, v97 dst_sel:DWORD dst_unused:UNUSED_PAD src0_sel:BYTE_3 src1_sel:DWORD
	v_lshlrev_b32_e32 v62, 3, v62
	v_cndmask_b32_e32 v61, 7, v61, vcc_lo
	v_and_b32_e32 v62, 0xf8, v62
	v_and_b32_e32 v63, 7, v61
	v_or_b32_e32 v17, v17, v61
	v_or3_b32 v13, v13, v62, v63
	v_cmp_ne_u32_e32 vcc_lo, 0, v17
	v_lshlrev_b32_e32 v13, 8, v13
	v_cndmask_b32_e32 v17, 0, v13, vcc_lo
.LBB4_1866:                             ;   in Loop: Header=BB4_1868 Depth=2
	s_or_b32 exec_lo, exec_lo, s27
.LBB4_1867:                             ;   in Loop: Header=BB4_1868 Depth=2
	s_or_b32 exec_lo, exec_lo, s26
	v_or_b32_sdwa v13, v19, v40 dst_sel:WORD_1 dst_unused:UNUSED_PAD src0_sel:DWORD src1_sel:DWORD
	v_or_b32_sdwa v18, v18, v118 dst_sel:WORD_1 dst_unused:UNUSED_PAD src0_sel:DWORD src1_sel:DWORD
	;; [unrolled: 1-line block ×5, first 2 shown]
	v_or3_b32 v19, v119, v22, v13
	v_or_b32_sdwa v13, v21, v44 dst_sel:WORD_1 dst_unused:UNUSED_PAD src0_sel:DWORD src1_sel:DWORD
	v_or_b32_sdwa v12, v12, v58 dst_sel:WORD_1 dst_unused:UNUSED_PAD src0_sel:DWORD src1_sel:DWORD
	;; [unrolled: 1-line block ×3, first 2 shown]
	v_or3_b32 v18, v117, v116, v18
	v_or3_b32 v20, v41, v23, v20
	;; [unrolled: 1-line block ×3, first 2 shown]
	v_sub_nc_u32_e32 v115, v115, v82
	v_or3_b32 v11, v47, v14, v11
	v_or3_b32 v10, v45, v25, v10
	;; [unrolled: 1-line block ×4, first 2 shown]
	v_add_co_u32 v68, vcc_lo, v68, v102
	v_add_co_ci_u32_e64 v69, null, 0, v69, vcc_lo
	v_add_co_u32 v70, vcc_lo, v70, v102
	global_store_dwordx4 v[80:81], v[18:21], off glc slc
	global_store_dwordx4 v[80:81], v[10:13], off offset:512 glc slc
	v_add_co_ci_u32_e64 v71, null, 0, v71, vcc_lo
	v_cmp_gt_i32_e32 vcc_lo, 1, v115
	v_add_co_u32 v80, s12, v80, v102
	v_add_co_ci_u32_e64 v81, null, 0, v81, s12
	s_or_b32 s25, vcc_lo, s25
	s_andn2_b32 exec_lo, exec_lo, s25
	s_cbranch_execz .LBB4_2634
.LBB4_1868:                             ;   Parent Loop BB4_1791 Depth=1
                                        ; =>  This Inner Loop Header: Depth=2
	s_clause 0x1
	global_load_dwordx4 v[22:25], v[68:69], off slc
	global_load_dwordx4 v[14:17], v[68:69], off offset:512 slc
	s_clause 0x1
	global_load_dwordx4 v[18:21], v[70:71], off slc
	global_load_dwordx4 v[10:13], v[70:71], off offset:512 slc
	s_mov_b32 s12, 0
	s_waitcnt vmcnt(3)
	v_cmp_gt_i16_sdwa s26, v22, v96 src0_sel:BYTE_0 src1_sel:DWORD
	s_and_saveexec_b32 s27, s26
	s_xor_b32 s26, exec_lo, s27
	s_cbranch_execz .LBB4_2506
; %bb.1869:                             ;   in Loop: Header=BB4_1868 Depth=2
	v_cmp_eq_u16_sdwa s28, v22, v97 src0_sel:BYTE_0 src1_sel:DWORD
	s_mov_b32 s12, -1
	s_and_saveexec_b32 s27, s28
; %bb.1870:                             ;   in Loop: Header=BB4_1868 Depth=2
	s_xor_b32 s12, exec_lo, -1
; %bb.1871:                             ;   in Loop: Header=BB4_1868 Depth=2
	s_or_b32 exec_lo, exec_lo, s27
	s_and_b32 s12, s12, exec_lo
	s_or_saveexec_b32 s26, s26
	v_mov_b32_e32 v116, 0x7f800001
	s_xor_b32 exec_lo, exec_lo, s26
	s_cbranch_execnz .LBB4_2507
.LBB4_1872:                             ;   in Loop: Header=BB4_1868 Depth=2
	s_or_b32 exec_lo, exec_lo, s26
	s_and_saveexec_b32 s26, s12
	s_cbranch_execz .LBB4_1874
.LBB4_1873:                             ;   in Loop: Header=BB4_1868 Depth=2
	v_and_b32_e32 v116, 7, v22
	v_bfe_u32 v119, v22, 3, 4
	v_lshlrev_b32_e32 v40, 24, v22
	v_ffbh_u32_e32 v117, v116
	v_cmp_eq_u32_e32 vcc_lo, 0, v119
	v_min_u32_e32 v117, 32, v117
	v_subrev_nc_u32_e32 v118, 28, v117
	v_sub_nc_u32_e32 v117, 29, v117
	v_lshlrev_b32_e32 v118, v118, v22
	v_cndmask_b32_e32 v117, v119, v117, vcc_lo
	v_and_b32_e32 v118, 7, v118
	v_lshl_add_u32 v117, v117, 23, 0x3b800000
	v_cndmask_b32_e32 v116, v116, v118, vcc_lo
	v_and_b32_e32 v118, 0x80000000, v40
	v_lshlrev_b32_e32 v116, 20, v116
	v_or3_b32 v116, v118, v117, v116
.LBB4_1874:                             ;   in Loop: Header=BB4_1868 Depth=2
	s_or_b32 exec_lo, exec_lo, s26
	s_waitcnt vmcnt(1)
	v_cmp_gt_i16_sdwa s26, v18, v96 src0_sel:BYTE_0 src1_sel:DWORD
	s_mov_b32 s12, 0
	s_and_saveexec_b32 s27, s26
	s_xor_b32 s26, exec_lo, s27
	s_cbranch_execz .LBB4_2508
; %bb.1875:                             ;   in Loop: Header=BB4_1868 Depth=2
	v_cmp_eq_u16_sdwa s28, v18, v97 src0_sel:BYTE_0 src1_sel:DWORD
	s_mov_b32 s12, -1
	s_and_saveexec_b32 s27, s28
; %bb.1876:                             ;   in Loop: Header=BB4_1868 Depth=2
	s_xor_b32 s12, exec_lo, -1
; %bb.1877:                             ;   in Loop: Header=BB4_1868 Depth=2
	s_or_b32 exec_lo, exec_lo, s27
	s_and_b32 s12, s12, exec_lo
	s_or_saveexec_b32 s26, s26
	v_mov_b32_e32 v117, 0x7f800001
	s_xor_b32 exec_lo, exec_lo, s26
	s_cbranch_execnz .LBB4_2509
.LBB4_1878:                             ;   in Loop: Header=BB4_1868 Depth=2
	s_or_b32 exec_lo, exec_lo, s26
	s_and_saveexec_b32 s26, s12
	s_cbranch_execz .LBB4_1880
.LBB4_1879:                             ;   in Loop: Header=BB4_1868 Depth=2
	v_and_b32_e32 v117, 7, v18
	v_bfe_u32 v40, v18, 3, 4
	v_lshlrev_b32_e32 v41, 24, v18
	v_ffbh_u32_e32 v118, v117
	v_cmp_eq_u32_e32 vcc_lo, 0, v40
	v_min_u32_e32 v118, 32, v118
	v_subrev_nc_u32_e32 v119, 28, v118
	v_sub_nc_u32_e32 v118, 29, v118
	v_lshlrev_b32_e32 v119, v119, v18
	v_cndmask_b32_e32 v118, v40, v118, vcc_lo
	v_and_b32_e32 v119, 7, v119
	v_lshl_add_u32 v118, v118, 23, 0x3b800000
	v_cndmask_b32_e32 v117, v117, v119, vcc_lo
	v_and_b32_e32 v119, 0x80000000, v41
	v_lshlrev_b32_e32 v117, 20, v117
	v_or3_b32 v117, v119, v118, v117
.LBB4_1880:                             ;   in Loop: Header=BB4_1868 Depth=2
	s_or_b32 exec_lo, exec_lo, s26
	v_add_f32_e32 v117, v116, v117
	v_and_b32_e32 v116, 0x7f800000, v117
	v_cmp_ne_u32_e32 vcc_lo, 0x7f800000, v116
	v_mov_b32_e32 v116, 0x80
	s_and_saveexec_b32 s26, vcc_lo
	s_cbranch_execz .LBB4_1888
; %bb.1881:                             ;   in Loop: Header=BB4_1868 Depth=2
	v_mov_b32_e32 v116, 0
	s_mov_b32 s27, exec_lo
	v_cmpx_ne_u32_e32 0, v117
	s_cbranch_execz .LBB4_1887
; %bb.1882:                             ;   in Loop: Header=BB4_1868 Depth=2
	v_bfe_u32 v116, v117, 23, 8
	v_and_b32_e32 v118, 0x7fffff, v117
	v_sub_nc_u32_e32 v119, 0x78, v116
	v_cmp_gt_u32_e32 vcc_lo, 0x79, v116
	v_or_b32_e32 v40, 0x800000, v118
	v_cndmask_b32_e32 v119, 0, v119, vcc_lo
	v_cmp_eq_u32_e32 vcc_lo, 0, v116
	v_add_nc_u32_e32 v116, 0xffffff89, v116
	v_cndmask_b32_e64 v119, v119, 0x77, vcc_lo
	v_cndmask_b32_e32 v118, v40, v118, vcc_lo
	v_cndmask_b32_e64 v116, v116, 0xffffff8a, vcc_lo
	v_lshl_add_u32 v40, 0x100000, v119, -1
	v_lshrrev_b32_e32 v41, v119, v118
	v_lshlrev_b32_e64 v43, v119, 0x80000
	v_add_nc_u32_e32 v119, v119, v116
	v_and_b32_e32 v118, v40, v118
	v_bfe_u32 v42, v41, 20, 1
	v_cmp_eq_u32_e64 s12, v118, v43
	v_add_nc_u32_e32 v40, -1, v42
	v_cndmask_b32_e64 v118, 0, v40, s12
	v_lshrrev_b32_e32 v40, 23, v41
	s_mov_b32 s12, exec_lo
	v_add_nc_u32_e32 v118, v118, v41
	v_xor_b32_e32 v40, 1, v40
	v_and_b32_e32 v116, 0xfffff, v118
	v_add_nc_u32_e32 v118, v116, v41
                                        ; implicit-def: $vgpr116
	v_cmpx_ne_u32_e64 v119, v40
	s_xor_b32 s12, exec_lo, s12
; %bb.1883:                             ;   in Loop: Header=BB4_1868 Depth=2
	v_cmp_lt_u32_e32 vcc_lo, 0xffffff, v118
	v_sub_nc_u32_e32 v116, v119, v40
	v_cndmask_b32_e64 v119, 0, 1, vcc_lo
	v_add_co_ci_u32_e64 v116, null, 0, v116, vcc_lo
	v_lshrrev_b32_e32 v118, v119, v118
; %bb.1884:                             ;   in Loop: Header=BB4_1868 Depth=2
	s_andn2_saveexec_b32 s12, s12
; %bb.1885:                             ;   in Loop: Header=BB4_1868 Depth=2
	v_bfe_u32 v116, v118, 23, 1
; %bb.1886:                             ;   in Loop: Header=BB4_1868 Depth=2
	s_or_b32 exec_lo, exec_lo, s12
	v_lshrrev_b32_e32 v118, 20, v118
	v_min_i32_e32 v119, 15, v116
	v_cmp_gt_i32_e32 vcc_lo, 16, v116
	v_and_b32_sdwa v117, v117, v97 dst_sel:DWORD dst_unused:UNUSED_PAD src0_sel:BYTE_3 src1_sel:DWORD
	v_lshlrev_b32_e32 v119, 3, v119
	v_cndmask_b32_e32 v118, 7, v118, vcc_lo
	v_and_b32_e32 v119, 0xf8, v119
	v_and_b32_e32 v40, 7, v118
	v_or_b32_e32 v116, v116, v118
	v_or3_b32 v117, v119, v117, v40
	v_cmp_ne_u32_e32 vcc_lo, 0, v116
	v_cndmask_b32_e32 v116, 0, v117, vcc_lo
.LBB4_1887:                             ;   in Loop: Header=BB4_1868 Depth=2
	s_or_b32 exec_lo, exec_lo, s27
.LBB4_1888:                             ;   in Loop: Header=BB4_1868 Depth=2
	s_or_b32 exec_lo, exec_lo, s26
	v_cmp_gt_i16_sdwa s26, v22, v96 src0_sel:BYTE_1 src1_sel:DWORD
	s_mov_b32 s12, 0
	s_and_saveexec_b32 s27, s26
	s_xor_b32 s26, exec_lo, s27
	s_cbranch_execz .LBB4_2510
; %bb.1889:                             ;   in Loop: Header=BB4_1868 Depth=2
	v_cmp_eq_u16_sdwa s28, v22, v97 src0_sel:BYTE_1 src1_sel:DWORD
	s_mov_b32 s12, -1
	s_and_saveexec_b32 s27, s28
; %bb.1890:                             ;   in Loop: Header=BB4_1868 Depth=2
	s_xor_b32 s12, exec_lo, -1
; %bb.1891:                             ;   in Loop: Header=BB4_1868 Depth=2
	s_or_b32 exec_lo, exec_lo, s27
	s_and_b32 s12, s12, exec_lo
	s_or_saveexec_b32 s26, s26
	v_mov_b32_e32 v117, 0x7f800001
	s_xor_b32 exec_lo, exec_lo, s26
	s_cbranch_execnz .LBB4_2511
.LBB4_1892:                             ;   in Loop: Header=BB4_1868 Depth=2
	s_or_b32 exec_lo, exec_lo, s26
	s_and_saveexec_b32 s26, s12
	s_cbranch_execz .LBB4_1894
.LBB4_1893:                             ;   in Loop: Header=BB4_1868 Depth=2
	v_and_b32_sdwa v117, v98, v22 dst_sel:DWORD dst_unused:UNUSED_PAD src0_sel:DWORD src1_sel:BYTE_1
	v_and_b32_e32 v118, 7, v117
	v_bfe_u32 v41, v117, 3, 4
	v_ffbh_u32_e32 v119, v118
	v_cmp_eq_u32_e32 vcc_lo, 0, v41
	v_min_u32_e32 v119, 32, v119
	v_subrev_nc_u32_e32 v40, 28, v119
	v_sub_nc_u32_e32 v119, 29, v119
	v_lshlrev_b32_e32 v117, v40, v117
	v_lshlrev_b32_sdwa v40, v100, v22 dst_sel:DWORD dst_unused:UNUSED_PAD src0_sel:DWORD src1_sel:BYTE_1
	v_cndmask_b32_e32 v119, v41, v119, vcc_lo
	v_and_b32_e32 v117, 7, v117
	v_lshl_add_u32 v119, v119, 23, 0x3b800000
	v_cndmask_b32_e32 v117, v118, v117, vcc_lo
	v_and_b32_e32 v118, 0x80000000, v40
	v_lshlrev_b32_e32 v117, 20, v117
	v_or3_b32 v117, v118, v119, v117
.LBB4_1894:                             ;   in Loop: Header=BB4_1868 Depth=2
	s_or_b32 exec_lo, exec_lo, s26
	v_cmp_gt_i16_sdwa s26, v18, v96 src0_sel:BYTE_1 src1_sel:DWORD
	s_mov_b32 s12, 0
	s_and_saveexec_b32 s27, s26
	s_xor_b32 s26, exec_lo, s27
	s_cbranch_execz .LBB4_2512
; %bb.1895:                             ;   in Loop: Header=BB4_1868 Depth=2
	v_cmp_eq_u16_sdwa s28, v18, v97 src0_sel:BYTE_1 src1_sel:DWORD
	s_mov_b32 s12, -1
	s_and_saveexec_b32 s27, s28
; %bb.1896:                             ;   in Loop: Header=BB4_1868 Depth=2
	s_xor_b32 s12, exec_lo, -1
; %bb.1897:                             ;   in Loop: Header=BB4_1868 Depth=2
	s_or_b32 exec_lo, exec_lo, s27
	s_and_b32 s12, s12, exec_lo
	s_or_saveexec_b32 s26, s26
	v_mov_b32_e32 v118, 0x7f800001
	s_xor_b32 exec_lo, exec_lo, s26
	s_cbranch_execnz .LBB4_2513
.LBB4_1898:                             ;   in Loop: Header=BB4_1868 Depth=2
	s_or_b32 exec_lo, exec_lo, s26
	s_and_saveexec_b32 s26, s12
	s_cbranch_execz .LBB4_1900
.LBB4_1899:                             ;   in Loop: Header=BB4_1868 Depth=2
	v_and_b32_sdwa v118, v98, v18 dst_sel:DWORD dst_unused:UNUSED_PAD src0_sel:DWORD src1_sel:BYTE_1
	v_and_b32_e32 v119, 7, v118
	v_bfe_u32 v42, v118, 3, 4
	v_ffbh_u32_e32 v40, v119
	v_cmp_eq_u32_e32 vcc_lo, 0, v42
	v_min_u32_e32 v40, 32, v40
	v_subrev_nc_u32_e32 v41, 28, v40
	v_sub_nc_u32_e32 v40, 29, v40
	v_lshlrev_b32_e32 v118, v41, v118
	v_lshlrev_b32_sdwa v41, v100, v18 dst_sel:DWORD dst_unused:UNUSED_PAD src0_sel:DWORD src1_sel:BYTE_1
	v_cndmask_b32_e32 v40, v42, v40, vcc_lo
	v_and_b32_e32 v118, 7, v118
	v_lshl_add_u32 v40, v40, 23, 0x3b800000
	v_cndmask_b32_e32 v118, v119, v118, vcc_lo
	v_and_b32_e32 v119, 0x80000000, v41
	v_lshlrev_b32_e32 v118, 20, v118
	v_or3_b32 v118, v119, v40, v118
.LBB4_1900:                             ;   in Loop: Header=BB4_1868 Depth=2
	s_or_b32 exec_lo, exec_lo, s26
	v_add_f32_e32 v118, v117, v118
	v_and_b32_e32 v117, 0x7f800000, v118
	v_cmp_ne_u32_e32 vcc_lo, 0x7f800000, v117
	v_mov_b32_e32 v117, 0x8000
	s_and_saveexec_b32 s26, vcc_lo
	s_cbranch_execz .LBB4_1908
; %bb.1901:                             ;   in Loop: Header=BB4_1868 Depth=2
	v_mov_b32_e32 v117, 0
	s_mov_b32 s27, exec_lo
	v_cmpx_ne_u32_e32 0, v118
	s_cbranch_execz .LBB4_1907
; %bb.1902:                             ;   in Loop: Header=BB4_1868 Depth=2
	v_bfe_u32 v117, v118, 23, 8
	v_and_b32_e32 v119, 0x7fffff, v118
	v_sub_nc_u32_e32 v40, 0x78, v117
	v_cmp_gt_u32_e32 vcc_lo, 0x79, v117
	v_or_b32_e32 v41, 0x800000, v119
	v_cndmask_b32_e32 v40, 0, v40, vcc_lo
	v_cmp_eq_u32_e32 vcc_lo, 0, v117
	v_add_nc_u32_e32 v117, 0xffffff89, v117
	v_cndmask_b32_e64 v40, v40, 0x77, vcc_lo
	v_cndmask_b32_e32 v119, v41, v119, vcc_lo
	v_cndmask_b32_e64 v117, v117, 0xffffff8a, vcc_lo
	v_lshl_add_u32 v41, 0x100000, v40, -1
	v_lshrrev_b32_e32 v42, v40, v119
	v_lshlrev_b32_e64 v44, v40, 0x80000
	v_add_nc_u32_e32 v40, v40, v117
	v_and_b32_e32 v119, v41, v119
	v_bfe_u32 v43, v42, 20, 1
	v_cmp_eq_u32_e64 s12, v119, v44
	v_add_nc_u32_e32 v41, -1, v43
	v_cndmask_b32_e64 v119, 0, v41, s12
	v_lshrrev_b32_e32 v41, 23, v42
	s_mov_b32 s12, exec_lo
	v_add_nc_u32_e32 v119, v119, v42
	v_xor_b32_e32 v41, 1, v41
	v_and_b32_e32 v117, 0xfffff, v119
	v_add_nc_u32_e32 v119, v117, v42
                                        ; implicit-def: $vgpr117
	v_cmpx_ne_u32_e64 v40, v41
	s_xor_b32 s12, exec_lo, s12
; %bb.1903:                             ;   in Loop: Header=BB4_1868 Depth=2
	v_cmp_lt_u32_e32 vcc_lo, 0xffffff, v119
	v_sub_nc_u32_e32 v117, v40, v41
	v_cndmask_b32_e64 v40, 0, 1, vcc_lo
	v_add_co_ci_u32_e64 v117, null, 0, v117, vcc_lo
	v_lshrrev_b32_e32 v119, v40, v119
; %bb.1904:                             ;   in Loop: Header=BB4_1868 Depth=2
	s_andn2_saveexec_b32 s12, s12
; %bb.1905:                             ;   in Loop: Header=BB4_1868 Depth=2
	v_bfe_u32 v117, v119, 23, 1
; %bb.1906:                             ;   in Loop: Header=BB4_1868 Depth=2
	s_or_b32 exec_lo, exec_lo, s12
	v_lshrrev_b32_e32 v119, 20, v119
	v_min_i32_e32 v40, 15, v117
	v_cmp_gt_i32_e32 vcc_lo, 16, v117
	v_and_b32_sdwa v118, v118, v97 dst_sel:DWORD dst_unused:UNUSED_PAD src0_sel:BYTE_3 src1_sel:DWORD
	v_lshlrev_b32_e32 v40, 3, v40
	v_cndmask_b32_e32 v119, 7, v119, vcc_lo
	v_and_b32_e32 v40, 0xf8, v40
	v_and_b32_e32 v41, 7, v119
	v_or_b32_e32 v117, v117, v119
	v_or3_b32 v118, v118, v40, v41
	v_cmp_ne_u32_e32 vcc_lo, 0, v117
	v_lshlrev_b32_e32 v118, 8, v118
	v_cndmask_b32_e32 v117, 0, v118, vcc_lo
.LBB4_1907:                             ;   in Loop: Header=BB4_1868 Depth=2
	s_or_b32 exec_lo, exec_lo, s27
.LBB4_1908:                             ;   in Loop: Header=BB4_1868 Depth=2
	s_or_b32 exec_lo, exec_lo, s26
	v_and_b32_sdwa v119, v22, v113 dst_sel:DWORD dst_unused:UNUSED_PAD src0_sel:WORD_1 src1_sel:DWORD
	s_mov_b32 s12, 0
	s_mov_b32 s26, exec_lo
	v_cmpx_lt_i16_e32 0x7f, v119
	s_xor_b32 s26, exec_lo, s26
	s_cbranch_execz .LBB4_2514
; %bb.1909:                             ;   in Loop: Header=BB4_1868 Depth=2
	s_mov_b32 s12, -1
	s_mov_b32 s27, exec_lo
	v_cmpx_eq_u16_e32 0x80, v119
; %bb.1910:                             ;   in Loop: Header=BB4_1868 Depth=2
	s_xor_b32 s12, exec_lo, -1
; %bb.1911:                             ;   in Loop: Header=BB4_1868 Depth=2
	s_or_b32 exec_lo, exec_lo, s27
	s_and_b32 s12, s12, exec_lo
                                        ; implicit-def: $vgpr119
	s_or_saveexec_b32 s26, s26
	v_mov_b32_e32 v118, 0x7f800001
	s_xor_b32 exec_lo, exec_lo, s26
	s_cbranch_execnz .LBB4_2515
.LBB4_1912:                             ;   in Loop: Header=BB4_1868 Depth=2
	s_or_b32 exec_lo, exec_lo, s26
	s_and_saveexec_b32 s26, s12
	s_cbranch_execz .LBB4_1914
.LBB4_1913:                             ;   in Loop: Header=BB4_1868 Depth=2
	v_bfe_u32 v118, v22, 16, 3
	v_bfe_u32 v41, v22, 19, 4
	v_lshlrev_b32_e32 v42, 8, v22
	v_ffbh_u32_e32 v119, v118
	v_cmp_eq_u32_e32 vcc_lo, 0, v41
	v_min_u32_e32 v119, 32, v119
	v_subrev_nc_u32_e32 v40, 28, v119
	v_sub_nc_u32_e32 v119, 29, v119
	v_lshlrev_b32_sdwa v40, v40, v22 dst_sel:DWORD dst_unused:UNUSED_PAD src0_sel:DWORD src1_sel:WORD_1
	v_cndmask_b32_e32 v119, v41, v119, vcc_lo
	v_and_b32_e32 v40, 7, v40
	v_lshl_add_u32 v119, v119, 23, 0x3b800000
	v_cndmask_b32_e32 v118, v118, v40, vcc_lo
	v_and_b32_e32 v40, 0x80000000, v42
	v_lshlrev_b32_e32 v118, 20, v118
	v_or3_b32 v118, v40, v119, v118
.LBB4_1914:                             ;   in Loop: Header=BB4_1868 Depth=2
	s_or_b32 exec_lo, exec_lo, s26
	v_and_b32_sdwa v40, v18, v113 dst_sel:DWORD dst_unused:UNUSED_PAD src0_sel:WORD_1 src1_sel:DWORD
	s_mov_b32 s12, 0
	s_mov_b32 s26, exec_lo
	v_cmpx_lt_i16_e32 0x7f, v40
	s_xor_b32 s26, exec_lo, s26
	s_cbranch_execz .LBB4_2516
; %bb.1915:                             ;   in Loop: Header=BB4_1868 Depth=2
	s_mov_b32 s12, -1
	s_mov_b32 s27, exec_lo
	v_cmpx_eq_u16_e32 0x80, v40
; %bb.1916:                             ;   in Loop: Header=BB4_1868 Depth=2
	s_xor_b32 s12, exec_lo, -1
; %bb.1917:                             ;   in Loop: Header=BB4_1868 Depth=2
	s_or_b32 exec_lo, exec_lo, s27
	s_and_b32 s12, s12, exec_lo
                                        ; implicit-def: $vgpr40
	s_or_saveexec_b32 s26, s26
	v_mov_b32_e32 v119, 0x7f800001
	s_xor_b32 exec_lo, exec_lo, s26
	s_cbranch_execnz .LBB4_2517
.LBB4_1918:                             ;   in Loop: Header=BB4_1868 Depth=2
	s_or_b32 exec_lo, exec_lo, s26
	s_and_saveexec_b32 s26, s12
	s_cbranch_execz .LBB4_1920
.LBB4_1919:                             ;   in Loop: Header=BB4_1868 Depth=2
	v_bfe_u32 v119, v18, 16, 3
	v_bfe_u32 v42, v18, 19, 4
	v_lshlrev_b32_e32 v43, 8, v18
	v_ffbh_u32_e32 v40, v119
	v_cmp_eq_u32_e32 vcc_lo, 0, v42
	v_min_u32_e32 v40, 32, v40
	v_subrev_nc_u32_e32 v41, 28, v40
	v_sub_nc_u32_e32 v40, 29, v40
	v_lshlrev_b32_sdwa v41, v41, v18 dst_sel:DWORD dst_unused:UNUSED_PAD src0_sel:DWORD src1_sel:WORD_1
	v_cndmask_b32_e32 v40, v42, v40, vcc_lo
	v_and_b32_e32 v41, 7, v41
	v_lshl_add_u32 v40, v40, 23, 0x3b800000
	v_cndmask_b32_e32 v119, v119, v41, vcc_lo
	v_and_b32_e32 v41, 0x80000000, v43
	v_lshlrev_b32_e32 v119, 20, v119
	v_or3_b32 v119, v41, v40, v119
.LBB4_1920:                             ;   in Loop: Header=BB4_1868 Depth=2
	s_or_b32 exec_lo, exec_lo, s26
	v_add_f32_e32 v119, v118, v119
	v_and_b32_e32 v118, 0x7f800000, v119
	v_cmp_ne_u32_e32 vcc_lo, 0x7f800000, v118
	v_mov_b32_e32 v118, 0x80
	s_and_saveexec_b32 s26, vcc_lo
	s_cbranch_execz .LBB4_1928
; %bb.1921:                             ;   in Loop: Header=BB4_1868 Depth=2
	v_mov_b32_e32 v118, 0
	s_mov_b32 s27, exec_lo
	v_cmpx_ne_u32_e32 0, v119
	s_cbranch_execz .LBB4_1927
; %bb.1922:                             ;   in Loop: Header=BB4_1868 Depth=2
	v_bfe_u32 v118, v119, 23, 8
	v_and_b32_e32 v40, 0x7fffff, v119
	v_sub_nc_u32_e32 v41, 0x78, v118
	v_cmp_gt_u32_e32 vcc_lo, 0x79, v118
	v_or_b32_e32 v42, 0x800000, v40
	v_cndmask_b32_e32 v41, 0, v41, vcc_lo
	v_cmp_eq_u32_e32 vcc_lo, 0, v118
	v_add_nc_u32_e32 v118, 0xffffff89, v118
	v_cndmask_b32_e64 v41, v41, 0x77, vcc_lo
	v_cndmask_b32_e32 v40, v42, v40, vcc_lo
	v_cndmask_b32_e64 v118, v118, 0xffffff8a, vcc_lo
	v_lshl_add_u32 v42, 0x100000, v41, -1
	v_lshrrev_b32_e32 v43, v41, v40
	v_lshlrev_b32_e64 v45, v41, 0x80000
	v_add_nc_u32_e32 v41, v41, v118
	v_and_b32_e32 v40, v42, v40
	v_bfe_u32 v44, v43, 20, 1
	v_cmp_eq_u32_e64 s12, v40, v45
	v_add_nc_u32_e32 v42, -1, v44
	v_cndmask_b32_e64 v40, 0, v42, s12
	v_lshrrev_b32_e32 v42, 23, v43
	s_mov_b32 s12, exec_lo
	v_add_nc_u32_e32 v40, v40, v43
	v_xor_b32_e32 v42, 1, v42
	v_and_b32_e32 v118, 0xfffff, v40
	v_add_nc_u32_e32 v40, v118, v43
                                        ; implicit-def: $vgpr118
	v_cmpx_ne_u32_e64 v41, v42
	s_xor_b32 s12, exec_lo, s12
; %bb.1923:                             ;   in Loop: Header=BB4_1868 Depth=2
	v_cmp_lt_u32_e32 vcc_lo, 0xffffff, v40
	v_sub_nc_u32_e32 v118, v41, v42
	v_cndmask_b32_e64 v41, 0, 1, vcc_lo
	v_add_co_ci_u32_e64 v118, null, 0, v118, vcc_lo
	v_lshrrev_b32_e32 v40, v41, v40
; %bb.1924:                             ;   in Loop: Header=BB4_1868 Depth=2
	s_andn2_saveexec_b32 s12, s12
; %bb.1925:                             ;   in Loop: Header=BB4_1868 Depth=2
	v_bfe_u32 v118, v40, 23, 1
; %bb.1926:                             ;   in Loop: Header=BB4_1868 Depth=2
	s_or_b32 exec_lo, exec_lo, s12
	v_lshrrev_b32_e32 v40, 20, v40
	v_min_i32_e32 v41, 15, v118
	v_cmp_gt_i32_e32 vcc_lo, 16, v118
	v_and_b32_sdwa v119, v119, v97 dst_sel:DWORD dst_unused:UNUSED_PAD src0_sel:BYTE_3 src1_sel:DWORD
	v_lshlrev_b32_e32 v41, 3, v41
	v_cndmask_b32_e32 v40, 7, v40, vcc_lo
	v_and_b32_e32 v41, 0xf8, v41
	v_and_b32_e32 v42, 7, v40
	v_or_b32_e32 v118, v118, v40
	v_or3_b32 v119, v41, v119, v42
	v_cmp_ne_u32_e32 vcc_lo, 0, v118
	v_cndmask_b32_e32 v118, 0, v119, vcc_lo
.LBB4_1927:                             ;   in Loop: Header=BB4_1868 Depth=2
	s_or_b32 exec_lo, exec_lo, s27
.LBB4_1928:                             ;   in Loop: Header=BB4_1868 Depth=2
	s_or_b32 exec_lo, exec_lo, s26
	v_cmp_gt_i16_sdwa s26, v22, v96 src0_sel:BYTE_3 src1_sel:DWORD
	s_mov_b32 s12, 0
	s_and_saveexec_b32 s27, s26
	s_xor_b32 s26, exec_lo, s27
	s_cbranch_execz .LBB4_2518
; %bb.1929:                             ;   in Loop: Header=BB4_1868 Depth=2
	v_cmp_eq_u16_sdwa s28, v22, v97 src0_sel:BYTE_3 src1_sel:DWORD
	s_mov_b32 s12, -1
	s_and_saveexec_b32 s27, s28
; %bb.1930:                             ;   in Loop: Header=BB4_1868 Depth=2
	s_xor_b32 s12, exec_lo, -1
; %bb.1931:                             ;   in Loop: Header=BB4_1868 Depth=2
	s_or_b32 exec_lo, exec_lo, s27
	s_and_b32 s12, s12, exec_lo
	s_or_saveexec_b32 s26, s26
	v_mov_b32_e32 v119, 0x7f800001
	s_xor_b32 exec_lo, exec_lo, s26
	s_cbranch_execnz .LBB4_2519
.LBB4_1932:                             ;   in Loop: Header=BB4_1868 Depth=2
	s_or_b32 exec_lo, exec_lo, s26
	s_and_saveexec_b32 s26, s12
	s_cbranch_execz .LBB4_1934
.LBB4_1933:                             ;   in Loop: Header=BB4_1868 Depth=2
	v_bfe_u32 v119, v22, 24, 3
	v_bfe_u32 v42, v22, 27, 4
	v_ffbh_u32_e32 v40, v119
	v_cmp_eq_u32_e32 vcc_lo, 0, v42
	v_min_u32_e32 v40, 32, v40
	v_subrev_nc_u32_e32 v41, 28, v40
	v_sub_nc_u32_e32 v40, 29, v40
	v_lshlrev_b32_sdwa v41, v41, v22 dst_sel:DWORD dst_unused:UNUSED_PAD src0_sel:DWORD src1_sel:BYTE_3
	v_cndmask_b32_e32 v40, v42, v40, vcc_lo
	v_and_b32_e32 v22, 0x80000000, v22
	v_and_b32_e32 v41, 7, v41
	v_lshl_add_u32 v40, v40, 23, 0x3b800000
	v_cndmask_b32_e32 v119, v119, v41, vcc_lo
	v_lshlrev_b32_e32 v119, 20, v119
	v_or3_b32 v119, v22, v40, v119
.LBB4_1934:                             ;   in Loop: Header=BB4_1868 Depth=2
	s_or_b32 exec_lo, exec_lo, s26
	v_cmp_gt_i16_sdwa s26, v18, v96 src0_sel:BYTE_3 src1_sel:DWORD
	s_mov_b32 s12, 0
	s_and_saveexec_b32 s27, s26
	s_xor_b32 s26, exec_lo, s27
	s_cbranch_execz .LBB4_2520
; %bb.1935:                             ;   in Loop: Header=BB4_1868 Depth=2
	v_cmp_eq_u16_sdwa s28, v18, v97 src0_sel:BYTE_3 src1_sel:DWORD
	s_mov_b32 s12, -1
	s_and_saveexec_b32 s27, s28
; %bb.1936:                             ;   in Loop: Header=BB4_1868 Depth=2
	s_xor_b32 s12, exec_lo, -1
; %bb.1937:                             ;   in Loop: Header=BB4_1868 Depth=2
	s_or_b32 exec_lo, exec_lo, s27
	s_and_b32 s12, s12, exec_lo
	s_or_saveexec_b32 s26, s26
	v_mov_b32_e32 v22, 0x7f800001
	s_xor_b32 exec_lo, exec_lo, s26
	s_cbranch_execnz .LBB4_2521
.LBB4_1938:                             ;   in Loop: Header=BB4_1868 Depth=2
	s_or_b32 exec_lo, exec_lo, s26
	s_and_saveexec_b32 s26, s12
	s_cbranch_execz .LBB4_1940
.LBB4_1939:                             ;   in Loop: Header=BB4_1868 Depth=2
	v_bfe_u32 v22, v18, 24, 3
	v_bfe_u32 v42, v18, 27, 4
	v_ffbh_u32_e32 v40, v22
	v_cmp_eq_u32_e32 vcc_lo, 0, v42
	v_min_u32_e32 v40, 32, v40
	v_subrev_nc_u32_e32 v41, 28, v40
	v_sub_nc_u32_e32 v40, 29, v40
	v_lshlrev_b32_sdwa v41, v41, v18 dst_sel:DWORD dst_unused:UNUSED_PAD src0_sel:DWORD src1_sel:BYTE_3
	v_cndmask_b32_e32 v40, v42, v40, vcc_lo
	v_and_b32_e32 v18, 0x80000000, v18
	v_and_b32_e32 v41, 7, v41
	v_lshl_add_u32 v40, v40, 23, 0x3b800000
	v_cndmask_b32_e32 v22, v22, v41, vcc_lo
	v_lshlrev_b32_e32 v22, 20, v22
	v_or3_b32 v22, v18, v40, v22
.LBB4_1940:                             ;   in Loop: Header=BB4_1868 Depth=2
	s_or_b32 exec_lo, exec_lo, s26
	v_add_f32_e32 v22, v119, v22
	v_and_b32_e32 v18, 0x7f800000, v22
	v_cmp_ne_u32_e32 vcc_lo, 0x7f800000, v18
	v_mov_b32_e32 v18, 0x8000
	s_and_saveexec_b32 s26, vcc_lo
	s_cbranch_execz .LBB4_1948
; %bb.1941:                             ;   in Loop: Header=BB4_1868 Depth=2
	v_mov_b32_e32 v18, 0
	s_mov_b32 s27, exec_lo
	v_cmpx_ne_u32_e32 0, v22
	s_cbranch_execz .LBB4_1947
; %bb.1942:                             ;   in Loop: Header=BB4_1868 Depth=2
	v_bfe_u32 v18, v22, 23, 8
	v_and_b32_e32 v119, 0x7fffff, v22
	v_sub_nc_u32_e32 v40, 0x78, v18
	v_cmp_gt_u32_e32 vcc_lo, 0x79, v18
	v_or_b32_e32 v41, 0x800000, v119
	v_cndmask_b32_e32 v40, 0, v40, vcc_lo
	v_cmp_eq_u32_e32 vcc_lo, 0, v18
	v_add_nc_u32_e32 v18, 0xffffff89, v18
	v_cndmask_b32_e64 v40, v40, 0x77, vcc_lo
	v_cndmask_b32_e32 v119, v41, v119, vcc_lo
	v_cndmask_b32_e64 v18, v18, 0xffffff8a, vcc_lo
	v_lshl_add_u32 v41, 0x100000, v40, -1
	v_lshrrev_b32_e32 v42, v40, v119
	v_lshlrev_b32_e64 v44, v40, 0x80000
	v_add_nc_u32_e32 v40, v40, v18
	v_and_b32_e32 v119, v41, v119
	v_bfe_u32 v43, v42, 20, 1
	v_cmp_eq_u32_e64 s12, v119, v44
	v_add_nc_u32_e32 v41, -1, v43
	v_cndmask_b32_e64 v119, 0, v41, s12
	v_lshrrev_b32_e32 v41, 23, v42
	s_mov_b32 s12, exec_lo
	v_add_nc_u32_e32 v119, v119, v42
	v_xor_b32_e32 v41, 1, v41
	v_and_b32_e32 v18, 0xfffff, v119
	v_add_nc_u32_e32 v119, v18, v42
                                        ; implicit-def: $vgpr18
	v_cmpx_ne_u32_e64 v40, v41
	s_xor_b32 s12, exec_lo, s12
; %bb.1943:                             ;   in Loop: Header=BB4_1868 Depth=2
	v_cmp_lt_u32_e32 vcc_lo, 0xffffff, v119
	v_sub_nc_u32_e32 v18, v40, v41
	v_cndmask_b32_e64 v40, 0, 1, vcc_lo
	v_add_co_ci_u32_e64 v18, null, 0, v18, vcc_lo
	v_lshrrev_b32_e32 v119, v40, v119
; %bb.1944:                             ;   in Loop: Header=BB4_1868 Depth=2
	s_andn2_saveexec_b32 s12, s12
; %bb.1945:                             ;   in Loop: Header=BB4_1868 Depth=2
	v_bfe_u32 v18, v119, 23, 1
; %bb.1946:                             ;   in Loop: Header=BB4_1868 Depth=2
	s_or_b32 exec_lo, exec_lo, s12
	v_lshrrev_b32_e32 v119, 20, v119
	v_min_i32_e32 v40, 15, v18
	v_cmp_gt_i32_e32 vcc_lo, 16, v18
	v_and_b32_sdwa v22, v22, v97 dst_sel:DWORD dst_unused:UNUSED_PAD src0_sel:BYTE_3 src1_sel:DWORD
	v_lshlrev_b32_e32 v40, 3, v40
	v_cndmask_b32_e32 v119, 7, v119, vcc_lo
	v_and_b32_e32 v40, 0xf8, v40
	v_and_b32_e32 v41, 7, v119
	v_or_b32_e32 v18, v18, v119
	v_or3_b32 v22, v22, v40, v41
	v_cmp_ne_u32_e32 vcc_lo, 0, v18
	v_lshlrev_b32_e32 v22, 8, v22
	v_cndmask_b32_e32 v18, 0, v22, vcc_lo
.LBB4_1947:                             ;   in Loop: Header=BB4_1868 Depth=2
	s_or_b32 exec_lo, exec_lo, s27
.LBB4_1948:                             ;   in Loop: Header=BB4_1868 Depth=2
	s_or_b32 exec_lo, exec_lo, s26
	v_cmp_gt_i16_sdwa s26, v23, v96 src0_sel:BYTE_0 src1_sel:DWORD
	s_mov_b32 s12, 0
	s_and_saveexec_b32 s27, s26
	s_xor_b32 s26, exec_lo, s27
	s_cbranch_execz .LBB4_2522
; %bb.1949:                             ;   in Loop: Header=BB4_1868 Depth=2
	v_cmp_eq_u16_sdwa s28, v23, v97 src0_sel:BYTE_0 src1_sel:DWORD
	s_mov_b32 s12, -1
	s_and_saveexec_b32 s27, s28
; %bb.1950:                             ;   in Loop: Header=BB4_1868 Depth=2
	s_xor_b32 s12, exec_lo, -1
; %bb.1951:                             ;   in Loop: Header=BB4_1868 Depth=2
	s_or_b32 exec_lo, exec_lo, s27
	s_and_b32 s12, s12, exec_lo
	s_or_saveexec_b32 s26, s26
	v_mov_b32_e32 v22, 0x7f800001
	s_xor_b32 exec_lo, exec_lo, s26
	s_cbranch_execnz .LBB4_2523
.LBB4_1952:                             ;   in Loop: Header=BB4_1868 Depth=2
	s_or_b32 exec_lo, exec_lo, s26
	s_and_saveexec_b32 s26, s12
	s_cbranch_execz .LBB4_1954
.LBB4_1953:                             ;   in Loop: Header=BB4_1868 Depth=2
	v_and_b32_e32 v22, 7, v23
	v_bfe_u32 v41, v23, 3, 4
	v_lshlrev_b32_e32 v42, 24, v23
	v_ffbh_u32_e32 v119, v22
	v_cmp_eq_u32_e32 vcc_lo, 0, v41
	v_min_u32_e32 v119, 32, v119
	v_subrev_nc_u32_e32 v40, 28, v119
	v_sub_nc_u32_e32 v119, 29, v119
	v_lshlrev_b32_e32 v40, v40, v23
	v_cndmask_b32_e32 v119, v41, v119, vcc_lo
	v_and_b32_e32 v40, 7, v40
	v_lshl_add_u32 v119, v119, 23, 0x3b800000
	v_cndmask_b32_e32 v22, v22, v40, vcc_lo
	v_and_b32_e32 v40, 0x80000000, v42
	v_lshlrev_b32_e32 v22, 20, v22
	v_or3_b32 v22, v40, v119, v22
.LBB4_1954:                             ;   in Loop: Header=BB4_1868 Depth=2
	s_or_b32 exec_lo, exec_lo, s26
	v_cmp_gt_i16_sdwa s26, v19, v96 src0_sel:BYTE_0 src1_sel:DWORD
	s_mov_b32 s12, 0
	s_and_saveexec_b32 s27, s26
	s_xor_b32 s26, exec_lo, s27
	s_cbranch_execz .LBB4_2524
; %bb.1955:                             ;   in Loop: Header=BB4_1868 Depth=2
	v_cmp_eq_u16_sdwa s28, v19, v97 src0_sel:BYTE_0 src1_sel:DWORD
	s_mov_b32 s12, -1
	s_and_saveexec_b32 s27, s28
; %bb.1956:                             ;   in Loop: Header=BB4_1868 Depth=2
	s_xor_b32 s12, exec_lo, -1
; %bb.1957:                             ;   in Loop: Header=BB4_1868 Depth=2
	s_or_b32 exec_lo, exec_lo, s27
	s_and_b32 s12, s12, exec_lo
	s_or_saveexec_b32 s26, s26
	v_mov_b32_e32 v119, 0x7f800001
	s_xor_b32 exec_lo, exec_lo, s26
	s_cbranch_execnz .LBB4_2525
.LBB4_1958:                             ;   in Loop: Header=BB4_1868 Depth=2
	s_or_b32 exec_lo, exec_lo, s26
	s_and_saveexec_b32 s26, s12
	s_cbranch_execz .LBB4_1960
.LBB4_1959:                             ;   in Loop: Header=BB4_1868 Depth=2
	v_and_b32_e32 v119, 7, v19
	v_bfe_u32 v42, v19, 3, 4
	v_lshlrev_b32_e32 v43, 24, v19
	v_ffbh_u32_e32 v40, v119
	v_cmp_eq_u32_e32 vcc_lo, 0, v42
	v_min_u32_e32 v40, 32, v40
	v_subrev_nc_u32_e32 v41, 28, v40
	v_sub_nc_u32_e32 v40, 29, v40
	v_lshlrev_b32_e32 v41, v41, v19
	v_cndmask_b32_e32 v40, v42, v40, vcc_lo
	v_and_b32_e32 v41, 7, v41
	v_lshl_add_u32 v40, v40, 23, 0x3b800000
	v_cndmask_b32_e32 v119, v119, v41, vcc_lo
	v_and_b32_e32 v41, 0x80000000, v43
	v_lshlrev_b32_e32 v119, 20, v119
	v_or3_b32 v119, v41, v40, v119
.LBB4_1960:                             ;   in Loop: Header=BB4_1868 Depth=2
	s_or_b32 exec_lo, exec_lo, s26
	v_add_f32_e32 v119, v22, v119
	v_and_b32_e32 v22, 0x7f800000, v119
	v_cmp_ne_u32_e32 vcc_lo, 0x7f800000, v22
	v_mov_b32_e32 v22, 0x80
	s_and_saveexec_b32 s26, vcc_lo
	s_cbranch_execz .LBB4_1968
; %bb.1961:                             ;   in Loop: Header=BB4_1868 Depth=2
	v_mov_b32_e32 v22, 0
	s_mov_b32 s27, exec_lo
	v_cmpx_ne_u32_e32 0, v119
	s_cbranch_execz .LBB4_1967
; %bb.1962:                             ;   in Loop: Header=BB4_1868 Depth=2
	v_bfe_u32 v22, v119, 23, 8
	v_and_b32_e32 v40, 0x7fffff, v119
	v_sub_nc_u32_e32 v41, 0x78, v22
	v_cmp_gt_u32_e32 vcc_lo, 0x79, v22
	v_or_b32_e32 v42, 0x800000, v40
	v_cndmask_b32_e32 v41, 0, v41, vcc_lo
	v_cmp_eq_u32_e32 vcc_lo, 0, v22
	v_add_nc_u32_e32 v22, 0xffffff89, v22
	v_cndmask_b32_e64 v41, v41, 0x77, vcc_lo
	v_cndmask_b32_e32 v40, v42, v40, vcc_lo
	v_cndmask_b32_e64 v22, v22, 0xffffff8a, vcc_lo
	v_lshl_add_u32 v42, 0x100000, v41, -1
	v_lshrrev_b32_e32 v43, v41, v40
	v_lshlrev_b32_e64 v45, v41, 0x80000
	v_add_nc_u32_e32 v41, v41, v22
	v_and_b32_e32 v40, v42, v40
	v_bfe_u32 v44, v43, 20, 1
	v_cmp_eq_u32_e64 s12, v40, v45
	v_add_nc_u32_e32 v42, -1, v44
	v_cndmask_b32_e64 v40, 0, v42, s12
	v_lshrrev_b32_e32 v42, 23, v43
	s_mov_b32 s12, exec_lo
	v_add_nc_u32_e32 v40, v40, v43
	v_xor_b32_e32 v42, 1, v42
	v_and_b32_e32 v22, 0xfffff, v40
	v_add_nc_u32_e32 v40, v22, v43
                                        ; implicit-def: $vgpr22
	v_cmpx_ne_u32_e64 v41, v42
	s_xor_b32 s12, exec_lo, s12
; %bb.1963:                             ;   in Loop: Header=BB4_1868 Depth=2
	v_cmp_lt_u32_e32 vcc_lo, 0xffffff, v40
	v_sub_nc_u32_e32 v22, v41, v42
	v_cndmask_b32_e64 v41, 0, 1, vcc_lo
	v_add_co_ci_u32_e64 v22, null, 0, v22, vcc_lo
	v_lshrrev_b32_e32 v40, v41, v40
; %bb.1964:                             ;   in Loop: Header=BB4_1868 Depth=2
	s_andn2_saveexec_b32 s12, s12
; %bb.1965:                             ;   in Loop: Header=BB4_1868 Depth=2
	v_bfe_u32 v22, v40, 23, 1
; %bb.1966:                             ;   in Loop: Header=BB4_1868 Depth=2
	s_or_b32 exec_lo, exec_lo, s12
	v_lshrrev_b32_e32 v40, 20, v40
	v_min_i32_e32 v41, 15, v22
	v_cmp_gt_i32_e32 vcc_lo, 16, v22
	v_and_b32_sdwa v119, v119, v97 dst_sel:DWORD dst_unused:UNUSED_PAD src0_sel:BYTE_3 src1_sel:DWORD
	v_lshlrev_b32_e32 v41, 3, v41
	v_cndmask_b32_e32 v40, 7, v40, vcc_lo
	v_and_b32_e32 v41, 0xf8, v41
	v_and_b32_e32 v42, 7, v40
	v_or_b32_e32 v22, v22, v40
	v_or3_b32 v119, v41, v119, v42
	v_cmp_ne_u32_e32 vcc_lo, 0, v22
	v_cndmask_b32_e32 v22, 0, v119, vcc_lo
.LBB4_1967:                             ;   in Loop: Header=BB4_1868 Depth=2
	s_or_b32 exec_lo, exec_lo, s27
.LBB4_1968:                             ;   in Loop: Header=BB4_1868 Depth=2
	s_or_b32 exec_lo, exec_lo, s26
	v_cmp_gt_i16_sdwa s26, v23, v96 src0_sel:BYTE_1 src1_sel:DWORD
	s_mov_b32 s12, 0
	s_and_saveexec_b32 s27, s26
	s_xor_b32 s26, exec_lo, s27
	s_cbranch_execz .LBB4_2526
; %bb.1969:                             ;   in Loop: Header=BB4_1868 Depth=2
	v_cmp_eq_u16_sdwa s28, v23, v97 src0_sel:BYTE_1 src1_sel:DWORD
	s_mov_b32 s12, -1
	s_and_saveexec_b32 s27, s28
; %bb.1970:                             ;   in Loop: Header=BB4_1868 Depth=2
	s_xor_b32 s12, exec_lo, -1
; %bb.1971:                             ;   in Loop: Header=BB4_1868 Depth=2
	s_or_b32 exec_lo, exec_lo, s27
	s_and_b32 s12, s12, exec_lo
	s_or_saveexec_b32 s26, s26
	v_mov_b32_e32 v119, 0x7f800001
	s_xor_b32 exec_lo, exec_lo, s26
	s_cbranch_execnz .LBB4_2527
.LBB4_1972:                             ;   in Loop: Header=BB4_1868 Depth=2
	s_or_b32 exec_lo, exec_lo, s26
	s_and_saveexec_b32 s26, s12
	s_cbranch_execz .LBB4_1974
.LBB4_1973:                             ;   in Loop: Header=BB4_1868 Depth=2
	v_and_b32_sdwa v119, v98, v23 dst_sel:DWORD dst_unused:UNUSED_PAD src0_sel:DWORD src1_sel:BYTE_1
	v_and_b32_e32 v40, 7, v119
	v_bfe_u32 v43, v119, 3, 4
	v_ffbh_u32_e32 v41, v40
	v_cmp_eq_u32_e32 vcc_lo, 0, v43
	v_min_u32_e32 v41, 32, v41
	v_subrev_nc_u32_e32 v42, 28, v41
	v_sub_nc_u32_e32 v41, 29, v41
	v_lshlrev_b32_e32 v119, v42, v119
	v_lshlrev_b32_sdwa v42, v100, v23 dst_sel:DWORD dst_unused:UNUSED_PAD src0_sel:DWORD src1_sel:BYTE_1
	v_cndmask_b32_e32 v41, v43, v41, vcc_lo
	v_and_b32_e32 v119, 7, v119
	v_lshl_add_u32 v41, v41, 23, 0x3b800000
	v_cndmask_b32_e32 v119, v40, v119, vcc_lo
	v_and_b32_e32 v40, 0x80000000, v42
	v_lshlrev_b32_e32 v119, 20, v119
	v_or3_b32 v119, v40, v41, v119
.LBB4_1974:                             ;   in Loop: Header=BB4_1868 Depth=2
	s_or_b32 exec_lo, exec_lo, s26
	v_cmp_gt_i16_sdwa s26, v19, v96 src0_sel:BYTE_1 src1_sel:DWORD
	s_mov_b32 s12, 0
	s_and_saveexec_b32 s27, s26
	s_xor_b32 s26, exec_lo, s27
	s_cbranch_execz .LBB4_2528
; %bb.1975:                             ;   in Loop: Header=BB4_1868 Depth=2
	v_cmp_eq_u16_sdwa s28, v19, v97 src0_sel:BYTE_1 src1_sel:DWORD
	s_mov_b32 s12, -1
	s_and_saveexec_b32 s27, s28
; %bb.1976:                             ;   in Loop: Header=BB4_1868 Depth=2
	s_xor_b32 s12, exec_lo, -1
; %bb.1977:                             ;   in Loop: Header=BB4_1868 Depth=2
	s_or_b32 exec_lo, exec_lo, s27
	s_and_b32 s12, s12, exec_lo
	s_or_saveexec_b32 s26, s26
	v_mov_b32_e32 v40, 0x7f800001
	s_xor_b32 exec_lo, exec_lo, s26
	s_cbranch_execnz .LBB4_2529
.LBB4_1978:                             ;   in Loop: Header=BB4_1868 Depth=2
	s_or_b32 exec_lo, exec_lo, s26
	s_and_saveexec_b32 s26, s12
	s_cbranch_execz .LBB4_1980
.LBB4_1979:                             ;   in Loop: Header=BB4_1868 Depth=2
	v_and_b32_sdwa v40, v98, v19 dst_sel:DWORD dst_unused:UNUSED_PAD src0_sel:DWORD src1_sel:BYTE_1
	v_and_b32_e32 v41, 7, v40
	v_bfe_u32 v44, v40, 3, 4
	v_ffbh_u32_e32 v42, v41
	v_cmp_eq_u32_e32 vcc_lo, 0, v44
	v_min_u32_e32 v42, 32, v42
	v_subrev_nc_u32_e32 v43, 28, v42
	v_sub_nc_u32_e32 v42, 29, v42
	v_lshlrev_b32_e32 v40, v43, v40
	v_lshlrev_b32_sdwa v43, v100, v19 dst_sel:DWORD dst_unused:UNUSED_PAD src0_sel:DWORD src1_sel:BYTE_1
	v_cndmask_b32_e32 v42, v44, v42, vcc_lo
	v_and_b32_e32 v40, 7, v40
	v_lshl_add_u32 v42, v42, 23, 0x3b800000
	v_cndmask_b32_e32 v40, v41, v40, vcc_lo
	v_and_b32_e32 v41, 0x80000000, v43
	v_lshlrev_b32_e32 v40, 20, v40
	v_or3_b32 v40, v41, v42, v40
.LBB4_1980:                             ;   in Loop: Header=BB4_1868 Depth=2
	s_or_b32 exec_lo, exec_lo, s26
	v_add_f32_e32 v40, v119, v40
	v_and_b32_e32 v119, 0x7f800000, v40
	v_cmp_ne_u32_e32 vcc_lo, 0x7f800000, v119
	v_mov_b32_e32 v119, 0x8000
	s_and_saveexec_b32 s26, vcc_lo
	s_cbranch_execz .LBB4_1988
; %bb.1981:                             ;   in Loop: Header=BB4_1868 Depth=2
	v_mov_b32_e32 v119, 0
	s_mov_b32 s27, exec_lo
	v_cmpx_ne_u32_e32 0, v40
	s_cbranch_execz .LBB4_1987
; %bb.1982:                             ;   in Loop: Header=BB4_1868 Depth=2
	v_bfe_u32 v119, v40, 23, 8
	v_and_b32_e32 v41, 0x7fffff, v40
	v_sub_nc_u32_e32 v42, 0x78, v119
	v_cmp_gt_u32_e32 vcc_lo, 0x79, v119
	v_or_b32_e32 v43, 0x800000, v41
	v_cndmask_b32_e32 v42, 0, v42, vcc_lo
	v_cmp_eq_u32_e32 vcc_lo, 0, v119
	v_add_nc_u32_e32 v119, 0xffffff89, v119
	v_cndmask_b32_e64 v42, v42, 0x77, vcc_lo
	v_cndmask_b32_e32 v41, v43, v41, vcc_lo
	v_cndmask_b32_e64 v119, v119, 0xffffff8a, vcc_lo
	v_lshl_add_u32 v43, 0x100000, v42, -1
	v_lshrrev_b32_e32 v44, v42, v41
	v_lshlrev_b32_e64 v46, v42, 0x80000
	v_add_nc_u32_e32 v42, v42, v119
	v_and_b32_e32 v41, v43, v41
	v_bfe_u32 v45, v44, 20, 1
	v_cmp_eq_u32_e64 s12, v41, v46
	v_add_nc_u32_e32 v43, -1, v45
	v_cndmask_b32_e64 v41, 0, v43, s12
	v_lshrrev_b32_e32 v43, 23, v44
	s_mov_b32 s12, exec_lo
	v_add_nc_u32_e32 v41, v41, v44
	v_xor_b32_e32 v43, 1, v43
	v_and_b32_e32 v119, 0xfffff, v41
	v_add_nc_u32_e32 v41, v119, v44
                                        ; implicit-def: $vgpr119
	v_cmpx_ne_u32_e64 v42, v43
	s_xor_b32 s12, exec_lo, s12
; %bb.1983:                             ;   in Loop: Header=BB4_1868 Depth=2
	v_cmp_lt_u32_e32 vcc_lo, 0xffffff, v41
	v_sub_nc_u32_e32 v119, v42, v43
	v_cndmask_b32_e64 v42, 0, 1, vcc_lo
	v_add_co_ci_u32_e64 v119, null, 0, v119, vcc_lo
	v_lshrrev_b32_e32 v41, v42, v41
; %bb.1984:                             ;   in Loop: Header=BB4_1868 Depth=2
	s_andn2_saveexec_b32 s12, s12
; %bb.1985:                             ;   in Loop: Header=BB4_1868 Depth=2
	v_bfe_u32 v119, v41, 23, 1
; %bb.1986:                             ;   in Loop: Header=BB4_1868 Depth=2
	s_or_b32 exec_lo, exec_lo, s12
	v_lshrrev_b32_e32 v41, 20, v41
	v_min_i32_e32 v42, 15, v119
	v_cmp_gt_i32_e32 vcc_lo, 16, v119
	v_and_b32_sdwa v40, v40, v97 dst_sel:DWORD dst_unused:UNUSED_PAD src0_sel:BYTE_3 src1_sel:DWORD
	v_lshlrev_b32_e32 v42, 3, v42
	v_cndmask_b32_e32 v41, 7, v41, vcc_lo
	v_and_b32_e32 v42, 0xf8, v42
	v_and_b32_e32 v43, 7, v41
	v_or_b32_e32 v119, v119, v41
	v_or3_b32 v40, v40, v42, v43
	v_cmp_ne_u32_e32 vcc_lo, 0, v119
	v_lshlrev_b32_e32 v40, 8, v40
	v_cndmask_b32_e32 v119, 0, v40, vcc_lo
.LBB4_1987:                             ;   in Loop: Header=BB4_1868 Depth=2
	s_or_b32 exec_lo, exec_lo, s27
.LBB4_1988:                             ;   in Loop: Header=BB4_1868 Depth=2
	s_or_b32 exec_lo, exec_lo, s26
	v_and_b32_sdwa v41, v23, v113 dst_sel:DWORD dst_unused:UNUSED_PAD src0_sel:WORD_1 src1_sel:DWORD
	s_mov_b32 s12, 0
	s_mov_b32 s26, exec_lo
	v_cmpx_lt_i16_e32 0x7f, v41
	s_xor_b32 s26, exec_lo, s26
	s_cbranch_execz .LBB4_2530
; %bb.1989:                             ;   in Loop: Header=BB4_1868 Depth=2
	s_mov_b32 s12, -1
	s_mov_b32 s27, exec_lo
	v_cmpx_eq_u16_e32 0x80, v41
; %bb.1990:                             ;   in Loop: Header=BB4_1868 Depth=2
	s_xor_b32 s12, exec_lo, -1
; %bb.1991:                             ;   in Loop: Header=BB4_1868 Depth=2
	s_or_b32 exec_lo, exec_lo, s27
	s_and_b32 s12, s12, exec_lo
                                        ; implicit-def: $vgpr41
	s_or_saveexec_b32 s26, s26
	v_mov_b32_e32 v40, 0x7f800001
	s_xor_b32 exec_lo, exec_lo, s26
	s_cbranch_execnz .LBB4_2531
.LBB4_1992:                             ;   in Loop: Header=BB4_1868 Depth=2
	s_or_b32 exec_lo, exec_lo, s26
	s_and_saveexec_b32 s26, s12
	s_cbranch_execz .LBB4_1994
.LBB4_1993:                             ;   in Loop: Header=BB4_1868 Depth=2
	v_bfe_u32 v40, v23, 16, 3
	v_bfe_u32 v43, v23, 19, 4
	v_lshlrev_b32_e32 v44, 8, v23
	v_ffbh_u32_e32 v41, v40
	v_cmp_eq_u32_e32 vcc_lo, 0, v43
	v_min_u32_e32 v41, 32, v41
	v_subrev_nc_u32_e32 v42, 28, v41
	v_sub_nc_u32_e32 v41, 29, v41
	v_lshlrev_b32_sdwa v42, v42, v23 dst_sel:DWORD dst_unused:UNUSED_PAD src0_sel:DWORD src1_sel:WORD_1
	v_cndmask_b32_e32 v41, v43, v41, vcc_lo
	v_and_b32_e32 v42, 7, v42
	v_lshl_add_u32 v41, v41, 23, 0x3b800000
	v_cndmask_b32_e32 v40, v40, v42, vcc_lo
	v_and_b32_e32 v42, 0x80000000, v44
	v_lshlrev_b32_e32 v40, 20, v40
	v_or3_b32 v40, v42, v41, v40
.LBB4_1994:                             ;   in Loop: Header=BB4_1868 Depth=2
	s_or_b32 exec_lo, exec_lo, s26
	v_and_b32_sdwa v42, v19, v113 dst_sel:DWORD dst_unused:UNUSED_PAD src0_sel:WORD_1 src1_sel:DWORD
	s_mov_b32 s12, 0
	s_mov_b32 s26, exec_lo
	v_cmpx_lt_i16_e32 0x7f, v42
	s_xor_b32 s26, exec_lo, s26
	s_cbranch_execz .LBB4_2532
; %bb.1995:                             ;   in Loop: Header=BB4_1868 Depth=2
	s_mov_b32 s12, -1
	s_mov_b32 s27, exec_lo
	v_cmpx_eq_u16_e32 0x80, v42
; %bb.1996:                             ;   in Loop: Header=BB4_1868 Depth=2
	s_xor_b32 s12, exec_lo, -1
; %bb.1997:                             ;   in Loop: Header=BB4_1868 Depth=2
	s_or_b32 exec_lo, exec_lo, s27
	s_and_b32 s12, s12, exec_lo
                                        ; implicit-def: $vgpr42
	s_or_saveexec_b32 s26, s26
	v_mov_b32_e32 v41, 0x7f800001
	s_xor_b32 exec_lo, exec_lo, s26
	s_cbranch_execnz .LBB4_2533
.LBB4_1998:                             ;   in Loop: Header=BB4_1868 Depth=2
	s_or_b32 exec_lo, exec_lo, s26
	s_and_saveexec_b32 s26, s12
	s_cbranch_execz .LBB4_2000
.LBB4_1999:                             ;   in Loop: Header=BB4_1868 Depth=2
	v_bfe_u32 v41, v19, 16, 3
	v_bfe_u32 v44, v19, 19, 4
	v_lshlrev_b32_e32 v45, 8, v19
	v_ffbh_u32_e32 v42, v41
	v_cmp_eq_u32_e32 vcc_lo, 0, v44
	v_min_u32_e32 v42, 32, v42
	v_subrev_nc_u32_e32 v43, 28, v42
	v_sub_nc_u32_e32 v42, 29, v42
	v_lshlrev_b32_sdwa v43, v43, v19 dst_sel:DWORD dst_unused:UNUSED_PAD src0_sel:DWORD src1_sel:WORD_1
	v_cndmask_b32_e32 v42, v44, v42, vcc_lo
	v_and_b32_e32 v43, 7, v43
	v_lshl_add_u32 v42, v42, 23, 0x3b800000
	v_cndmask_b32_e32 v41, v41, v43, vcc_lo
	v_and_b32_e32 v43, 0x80000000, v45
	v_lshlrev_b32_e32 v41, 20, v41
	v_or3_b32 v41, v43, v42, v41
.LBB4_2000:                             ;   in Loop: Header=BB4_1868 Depth=2
	s_or_b32 exec_lo, exec_lo, s26
	v_add_f32_e32 v41, v40, v41
	v_and_b32_e32 v40, 0x7f800000, v41
	v_cmp_ne_u32_e32 vcc_lo, 0x7f800000, v40
	v_mov_b32_e32 v40, 0x80
	s_and_saveexec_b32 s26, vcc_lo
	s_cbranch_execz .LBB4_2008
; %bb.2001:                             ;   in Loop: Header=BB4_1868 Depth=2
	v_mov_b32_e32 v40, 0
	s_mov_b32 s27, exec_lo
	v_cmpx_ne_u32_e32 0, v41
	s_cbranch_execz .LBB4_2007
; %bb.2002:                             ;   in Loop: Header=BB4_1868 Depth=2
	v_bfe_u32 v40, v41, 23, 8
	v_and_b32_e32 v42, 0x7fffff, v41
	v_sub_nc_u32_e32 v43, 0x78, v40
	v_cmp_gt_u32_e32 vcc_lo, 0x79, v40
	v_or_b32_e32 v44, 0x800000, v42
	v_cndmask_b32_e32 v43, 0, v43, vcc_lo
	v_cmp_eq_u32_e32 vcc_lo, 0, v40
	v_add_nc_u32_e32 v40, 0xffffff89, v40
	v_cndmask_b32_e64 v43, v43, 0x77, vcc_lo
	v_cndmask_b32_e32 v42, v44, v42, vcc_lo
	v_cndmask_b32_e64 v40, v40, 0xffffff8a, vcc_lo
	v_lshl_add_u32 v44, 0x100000, v43, -1
	v_lshrrev_b32_e32 v45, v43, v42
	v_lshlrev_b32_e64 v47, v43, 0x80000
	v_add_nc_u32_e32 v43, v43, v40
	v_and_b32_e32 v42, v44, v42
	v_bfe_u32 v46, v45, 20, 1
	v_cmp_eq_u32_e64 s12, v42, v47
	v_add_nc_u32_e32 v44, -1, v46
	v_cndmask_b32_e64 v42, 0, v44, s12
	v_lshrrev_b32_e32 v44, 23, v45
	s_mov_b32 s12, exec_lo
	v_add_nc_u32_e32 v42, v42, v45
	v_xor_b32_e32 v44, 1, v44
	v_and_b32_e32 v40, 0xfffff, v42
	v_add_nc_u32_e32 v42, v40, v45
                                        ; implicit-def: $vgpr40
	v_cmpx_ne_u32_e64 v43, v44
	s_xor_b32 s12, exec_lo, s12
; %bb.2003:                             ;   in Loop: Header=BB4_1868 Depth=2
	v_cmp_lt_u32_e32 vcc_lo, 0xffffff, v42
	v_sub_nc_u32_e32 v40, v43, v44
	v_cndmask_b32_e64 v43, 0, 1, vcc_lo
	v_add_co_ci_u32_e64 v40, null, 0, v40, vcc_lo
	v_lshrrev_b32_e32 v42, v43, v42
; %bb.2004:                             ;   in Loop: Header=BB4_1868 Depth=2
	s_andn2_saveexec_b32 s12, s12
; %bb.2005:                             ;   in Loop: Header=BB4_1868 Depth=2
	v_bfe_u32 v40, v42, 23, 1
; %bb.2006:                             ;   in Loop: Header=BB4_1868 Depth=2
	s_or_b32 exec_lo, exec_lo, s12
	v_lshrrev_b32_e32 v42, 20, v42
	v_min_i32_e32 v43, 15, v40
	v_cmp_gt_i32_e32 vcc_lo, 16, v40
	v_and_b32_sdwa v41, v41, v97 dst_sel:DWORD dst_unused:UNUSED_PAD src0_sel:BYTE_3 src1_sel:DWORD
	v_lshlrev_b32_e32 v43, 3, v43
	v_cndmask_b32_e32 v42, 7, v42, vcc_lo
	v_and_b32_e32 v43, 0xf8, v43
	v_and_b32_e32 v44, 7, v42
	v_or_b32_e32 v40, v40, v42
	v_or3_b32 v41, v43, v41, v44
	v_cmp_ne_u32_e32 vcc_lo, 0, v40
	v_cndmask_b32_e32 v40, 0, v41, vcc_lo
.LBB4_2007:                             ;   in Loop: Header=BB4_1868 Depth=2
	s_or_b32 exec_lo, exec_lo, s27
.LBB4_2008:                             ;   in Loop: Header=BB4_1868 Depth=2
	s_or_b32 exec_lo, exec_lo, s26
	v_cmp_gt_i16_sdwa s26, v23, v96 src0_sel:BYTE_3 src1_sel:DWORD
	s_mov_b32 s12, 0
	s_and_saveexec_b32 s27, s26
	s_xor_b32 s26, exec_lo, s27
	s_cbranch_execz .LBB4_2534
; %bb.2009:                             ;   in Loop: Header=BB4_1868 Depth=2
	v_cmp_eq_u16_sdwa s28, v23, v97 src0_sel:BYTE_3 src1_sel:DWORD
	s_mov_b32 s12, -1
	s_and_saveexec_b32 s27, s28
; %bb.2010:                             ;   in Loop: Header=BB4_1868 Depth=2
	s_xor_b32 s12, exec_lo, -1
; %bb.2011:                             ;   in Loop: Header=BB4_1868 Depth=2
	s_or_b32 exec_lo, exec_lo, s27
	s_and_b32 s12, s12, exec_lo
	s_or_saveexec_b32 s26, s26
	v_mov_b32_e32 v41, 0x7f800001
	s_xor_b32 exec_lo, exec_lo, s26
	s_cbranch_execnz .LBB4_2535
.LBB4_2012:                             ;   in Loop: Header=BB4_1868 Depth=2
	s_or_b32 exec_lo, exec_lo, s26
	s_and_saveexec_b32 s26, s12
	s_cbranch_execz .LBB4_2014
.LBB4_2013:                             ;   in Loop: Header=BB4_1868 Depth=2
	v_bfe_u32 v41, v23, 24, 3
	v_bfe_u32 v44, v23, 27, 4
	v_ffbh_u32_e32 v42, v41
	v_cmp_eq_u32_e32 vcc_lo, 0, v44
	v_min_u32_e32 v42, 32, v42
	v_subrev_nc_u32_e32 v43, 28, v42
	v_sub_nc_u32_e32 v42, 29, v42
	v_lshlrev_b32_sdwa v43, v43, v23 dst_sel:DWORD dst_unused:UNUSED_PAD src0_sel:DWORD src1_sel:BYTE_3
	v_cndmask_b32_e32 v42, v44, v42, vcc_lo
	v_and_b32_e32 v23, 0x80000000, v23
	v_and_b32_e32 v43, 7, v43
	v_lshl_add_u32 v42, v42, 23, 0x3b800000
	v_cndmask_b32_e32 v41, v41, v43, vcc_lo
	v_lshlrev_b32_e32 v41, 20, v41
	v_or3_b32 v41, v23, v42, v41
.LBB4_2014:                             ;   in Loop: Header=BB4_1868 Depth=2
	s_or_b32 exec_lo, exec_lo, s26
	v_cmp_gt_i16_sdwa s26, v19, v96 src0_sel:BYTE_3 src1_sel:DWORD
	s_mov_b32 s12, 0
	s_and_saveexec_b32 s27, s26
	s_xor_b32 s26, exec_lo, s27
	s_cbranch_execz .LBB4_2536
; %bb.2015:                             ;   in Loop: Header=BB4_1868 Depth=2
	v_cmp_eq_u16_sdwa s28, v19, v97 src0_sel:BYTE_3 src1_sel:DWORD
	s_mov_b32 s12, -1
	s_and_saveexec_b32 s27, s28
; %bb.2016:                             ;   in Loop: Header=BB4_1868 Depth=2
	s_xor_b32 s12, exec_lo, -1
; %bb.2017:                             ;   in Loop: Header=BB4_1868 Depth=2
	s_or_b32 exec_lo, exec_lo, s27
	s_and_b32 s12, s12, exec_lo
	s_or_saveexec_b32 s26, s26
	v_mov_b32_e32 v23, 0x7f800001
	s_xor_b32 exec_lo, exec_lo, s26
	s_cbranch_execnz .LBB4_2537
.LBB4_2018:                             ;   in Loop: Header=BB4_1868 Depth=2
	s_or_b32 exec_lo, exec_lo, s26
	s_and_saveexec_b32 s26, s12
	s_cbranch_execz .LBB4_2020
.LBB4_2019:                             ;   in Loop: Header=BB4_1868 Depth=2
	v_bfe_u32 v23, v19, 24, 3
	v_bfe_u32 v44, v19, 27, 4
	v_ffbh_u32_e32 v42, v23
	v_cmp_eq_u32_e32 vcc_lo, 0, v44
	v_min_u32_e32 v42, 32, v42
	v_subrev_nc_u32_e32 v43, 28, v42
	v_sub_nc_u32_e32 v42, 29, v42
	v_lshlrev_b32_sdwa v43, v43, v19 dst_sel:DWORD dst_unused:UNUSED_PAD src0_sel:DWORD src1_sel:BYTE_3
	v_cndmask_b32_e32 v42, v44, v42, vcc_lo
	v_and_b32_e32 v19, 0x80000000, v19
	v_and_b32_e32 v43, 7, v43
	v_lshl_add_u32 v42, v42, 23, 0x3b800000
	v_cndmask_b32_e32 v23, v23, v43, vcc_lo
	v_lshlrev_b32_e32 v23, 20, v23
	v_or3_b32 v23, v19, v42, v23
.LBB4_2020:                             ;   in Loop: Header=BB4_1868 Depth=2
	s_or_b32 exec_lo, exec_lo, s26
	v_add_f32_e32 v23, v41, v23
	v_and_b32_e32 v19, 0x7f800000, v23
	v_cmp_ne_u32_e32 vcc_lo, 0x7f800000, v19
	v_mov_b32_e32 v19, 0x8000
	s_and_saveexec_b32 s26, vcc_lo
	s_cbranch_execz .LBB4_2028
; %bb.2021:                             ;   in Loop: Header=BB4_1868 Depth=2
	v_mov_b32_e32 v19, 0
	s_mov_b32 s27, exec_lo
	v_cmpx_ne_u32_e32 0, v23
	s_cbranch_execz .LBB4_2027
; %bb.2022:                             ;   in Loop: Header=BB4_1868 Depth=2
	v_bfe_u32 v19, v23, 23, 8
	v_and_b32_e32 v41, 0x7fffff, v23
	v_sub_nc_u32_e32 v42, 0x78, v19
	v_cmp_gt_u32_e32 vcc_lo, 0x79, v19
	v_or_b32_e32 v43, 0x800000, v41
	v_cndmask_b32_e32 v42, 0, v42, vcc_lo
	v_cmp_eq_u32_e32 vcc_lo, 0, v19
	v_add_nc_u32_e32 v19, 0xffffff89, v19
	v_cndmask_b32_e64 v42, v42, 0x77, vcc_lo
	v_cndmask_b32_e32 v41, v43, v41, vcc_lo
	v_cndmask_b32_e64 v19, v19, 0xffffff8a, vcc_lo
	v_lshl_add_u32 v43, 0x100000, v42, -1
	v_lshrrev_b32_e32 v44, v42, v41
	v_lshlrev_b32_e64 v46, v42, 0x80000
	v_add_nc_u32_e32 v42, v42, v19
	v_and_b32_e32 v41, v43, v41
	v_bfe_u32 v45, v44, 20, 1
	v_cmp_eq_u32_e64 s12, v41, v46
	v_add_nc_u32_e32 v43, -1, v45
	v_cndmask_b32_e64 v41, 0, v43, s12
	v_lshrrev_b32_e32 v43, 23, v44
	s_mov_b32 s12, exec_lo
	v_add_nc_u32_e32 v41, v41, v44
	v_xor_b32_e32 v43, 1, v43
	v_and_b32_e32 v19, 0xfffff, v41
	v_add_nc_u32_e32 v41, v19, v44
                                        ; implicit-def: $vgpr19
	v_cmpx_ne_u32_e64 v42, v43
	s_xor_b32 s12, exec_lo, s12
; %bb.2023:                             ;   in Loop: Header=BB4_1868 Depth=2
	v_cmp_lt_u32_e32 vcc_lo, 0xffffff, v41
	v_sub_nc_u32_e32 v19, v42, v43
	v_cndmask_b32_e64 v42, 0, 1, vcc_lo
	v_add_co_ci_u32_e64 v19, null, 0, v19, vcc_lo
	v_lshrrev_b32_e32 v41, v42, v41
; %bb.2024:                             ;   in Loop: Header=BB4_1868 Depth=2
	s_andn2_saveexec_b32 s12, s12
; %bb.2025:                             ;   in Loop: Header=BB4_1868 Depth=2
	v_bfe_u32 v19, v41, 23, 1
; %bb.2026:                             ;   in Loop: Header=BB4_1868 Depth=2
	s_or_b32 exec_lo, exec_lo, s12
	v_lshrrev_b32_e32 v41, 20, v41
	v_min_i32_e32 v42, 15, v19
	v_cmp_gt_i32_e32 vcc_lo, 16, v19
	v_and_b32_sdwa v23, v23, v97 dst_sel:DWORD dst_unused:UNUSED_PAD src0_sel:BYTE_3 src1_sel:DWORD
	v_lshlrev_b32_e32 v42, 3, v42
	v_cndmask_b32_e32 v41, 7, v41, vcc_lo
	v_and_b32_e32 v42, 0xf8, v42
	v_and_b32_e32 v43, 7, v41
	v_or_b32_e32 v19, v19, v41
	v_or3_b32 v23, v23, v42, v43
	v_cmp_ne_u32_e32 vcc_lo, 0, v19
	v_lshlrev_b32_e32 v23, 8, v23
	v_cndmask_b32_e32 v19, 0, v23, vcc_lo
.LBB4_2027:                             ;   in Loop: Header=BB4_1868 Depth=2
	s_or_b32 exec_lo, exec_lo, s27
.LBB4_2028:                             ;   in Loop: Header=BB4_1868 Depth=2
	s_or_b32 exec_lo, exec_lo, s26
	v_cmp_gt_i16_sdwa s26, v24, v96 src0_sel:BYTE_0 src1_sel:DWORD
	s_mov_b32 s12, 0
	s_and_saveexec_b32 s27, s26
	s_xor_b32 s26, exec_lo, s27
	s_cbranch_execz .LBB4_2538
; %bb.2029:                             ;   in Loop: Header=BB4_1868 Depth=2
	v_cmp_eq_u16_sdwa s28, v24, v97 src0_sel:BYTE_0 src1_sel:DWORD
	s_mov_b32 s12, -1
	s_and_saveexec_b32 s27, s28
; %bb.2030:                             ;   in Loop: Header=BB4_1868 Depth=2
	s_xor_b32 s12, exec_lo, -1
; %bb.2031:                             ;   in Loop: Header=BB4_1868 Depth=2
	s_or_b32 exec_lo, exec_lo, s27
	s_and_b32 s12, s12, exec_lo
	s_or_saveexec_b32 s26, s26
	v_mov_b32_e32 v23, 0x7f800001
	s_xor_b32 exec_lo, exec_lo, s26
	s_cbranch_execnz .LBB4_2539
.LBB4_2032:                             ;   in Loop: Header=BB4_1868 Depth=2
	s_or_b32 exec_lo, exec_lo, s26
	s_and_saveexec_b32 s26, s12
	s_cbranch_execz .LBB4_2034
.LBB4_2033:                             ;   in Loop: Header=BB4_1868 Depth=2
	v_and_b32_e32 v23, 7, v24
	v_bfe_u32 v43, v24, 3, 4
	v_lshlrev_b32_e32 v44, 24, v24
	v_ffbh_u32_e32 v41, v23
	v_cmp_eq_u32_e32 vcc_lo, 0, v43
	v_min_u32_e32 v41, 32, v41
	v_subrev_nc_u32_e32 v42, 28, v41
	v_sub_nc_u32_e32 v41, 29, v41
	v_lshlrev_b32_e32 v42, v42, v24
	v_cndmask_b32_e32 v41, v43, v41, vcc_lo
	v_and_b32_e32 v42, 7, v42
	v_lshl_add_u32 v41, v41, 23, 0x3b800000
	v_cndmask_b32_e32 v23, v23, v42, vcc_lo
	v_and_b32_e32 v42, 0x80000000, v44
	v_lshlrev_b32_e32 v23, 20, v23
	v_or3_b32 v23, v42, v41, v23
.LBB4_2034:                             ;   in Loop: Header=BB4_1868 Depth=2
	s_or_b32 exec_lo, exec_lo, s26
	v_cmp_gt_i16_sdwa s26, v20, v96 src0_sel:BYTE_0 src1_sel:DWORD
	s_mov_b32 s12, 0
	s_and_saveexec_b32 s27, s26
	s_xor_b32 s26, exec_lo, s27
	s_cbranch_execz .LBB4_2540
; %bb.2035:                             ;   in Loop: Header=BB4_1868 Depth=2
	v_cmp_eq_u16_sdwa s28, v20, v97 src0_sel:BYTE_0 src1_sel:DWORD
	s_mov_b32 s12, -1
	s_and_saveexec_b32 s27, s28
; %bb.2036:                             ;   in Loop: Header=BB4_1868 Depth=2
	s_xor_b32 s12, exec_lo, -1
; %bb.2037:                             ;   in Loop: Header=BB4_1868 Depth=2
	s_or_b32 exec_lo, exec_lo, s27
	s_and_b32 s12, s12, exec_lo
	s_or_saveexec_b32 s26, s26
	v_mov_b32_e32 v41, 0x7f800001
	s_xor_b32 exec_lo, exec_lo, s26
	s_cbranch_execnz .LBB4_2541
.LBB4_2038:                             ;   in Loop: Header=BB4_1868 Depth=2
	s_or_b32 exec_lo, exec_lo, s26
	s_and_saveexec_b32 s26, s12
	s_cbranch_execz .LBB4_2040
.LBB4_2039:                             ;   in Loop: Header=BB4_1868 Depth=2
	v_and_b32_e32 v41, 7, v20
	v_bfe_u32 v44, v20, 3, 4
	v_lshlrev_b32_e32 v45, 24, v20
	v_ffbh_u32_e32 v42, v41
	v_cmp_eq_u32_e32 vcc_lo, 0, v44
	v_min_u32_e32 v42, 32, v42
	v_subrev_nc_u32_e32 v43, 28, v42
	v_sub_nc_u32_e32 v42, 29, v42
	v_lshlrev_b32_e32 v43, v43, v20
	v_cndmask_b32_e32 v42, v44, v42, vcc_lo
	v_and_b32_e32 v43, 7, v43
	v_lshl_add_u32 v42, v42, 23, 0x3b800000
	v_cndmask_b32_e32 v41, v41, v43, vcc_lo
	v_and_b32_e32 v43, 0x80000000, v45
	v_lshlrev_b32_e32 v41, 20, v41
	v_or3_b32 v41, v43, v42, v41
.LBB4_2040:                             ;   in Loop: Header=BB4_1868 Depth=2
	s_or_b32 exec_lo, exec_lo, s26
	v_add_f32_e32 v41, v23, v41
	v_and_b32_e32 v23, 0x7f800000, v41
	v_cmp_ne_u32_e32 vcc_lo, 0x7f800000, v23
	v_mov_b32_e32 v23, 0x80
	s_and_saveexec_b32 s26, vcc_lo
	s_cbranch_execz .LBB4_2048
; %bb.2041:                             ;   in Loop: Header=BB4_1868 Depth=2
	v_mov_b32_e32 v23, 0
	s_mov_b32 s27, exec_lo
	v_cmpx_ne_u32_e32 0, v41
	s_cbranch_execz .LBB4_2047
; %bb.2042:                             ;   in Loop: Header=BB4_1868 Depth=2
	v_bfe_u32 v23, v41, 23, 8
	v_and_b32_e32 v42, 0x7fffff, v41
	v_sub_nc_u32_e32 v43, 0x78, v23
	v_cmp_gt_u32_e32 vcc_lo, 0x79, v23
	v_or_b32_e32 v44, 0x800000, v42
	v_cndmask_b32_e32 v43, 0, v43, vcc_lo
	v_cmp_eq_u32_e32 vcc_lo, 0, v23
	v_add_nc_u32_e32 v23, 0xffffff89, v23
	v_cndmask_b32_e64 v43, v43, 0x77, vcc_lo
	v_cndmask_b32_e32 v42, v44, v42, vcc_lo
	v_cndmask_b32_e64 v23, v23, 0xffffff8a, vcc_lo
	v_lshl_add_u32 v44, 0x100000, v43, -1
	v_lshrrev_b32_e32 v45, v43, v42
	v_lshlrev_b32_e64 v47, v43, 0x80000
	v_add_nc_u32_e32 v43, v43, v23
	v_and_b32_e32 v42, v44, v42
	v_bfe_u32 v46, v45, 20, 1
	v_cmp_eq_u32_e64 s12, v42, v47
	v_add_nc_u32_e32 v44, -1, v46
	v_cndmask_b32_e64 v42, 0, v44, s12
	v_lshrrev_b32_e32 v44, 23, v45
	s_mov_b32 s12, exec_lo
	v_add_nc_u32_e32 v42, v42, v45
	v_xor_b32_e32 v44, 1, v44
	v_and_b32_e32 v23, 0xfffff, v42
	v_add_nc_u32_e32 v42, v23, v45
                                        ; implicit-def: $vgpr23
	v_cmpx_ne_u32_e64 v43, v44
	s_xor_b32 s12, exec_lo, s12
; %bb.2043:                             ;   in Loop: Header=BB4_1868 Depth=2
	v_cmp_lt_u32_e32 vcc_lo, 0xffffff, v42
	v_sub_nc_u32_e32 v23, v43, v44
	v_cndmask_b32_e64 v43, 0, 1, vcc_lo
	v_add_co_ci_u32_e64 v23, null, 0, v23, vcc_lo
	v_lshrrev_b32_e32 v42, v43, v42
; %bb.2044:                             ;   in Loop: Header=BB4_1868 Depth=2
	s_andn2_saveexec_b32 s12, s12
; %bb.2045:                             ;   in Loop: Header=BB4_1868 Depth=2
	v_bfe_u32 v23, v42, 23, 1
; %bb.2046:                             ;   in Loop: Header=BB4_1868 Depth=2
	s_or_b32 exec_lo, exec_lo, s12
	v_lshrrev_b32_e32 v42, 20, v42
	v_min_i32_e32 v43, 15, v23
	v_cmp_gt_i32_e32 vcc_lo, 16, v23
	v_and_b32_sdwa v41, v41, v97 dst_sel:DWORD dst_unused:UNUSED_PAD src0_sel:BYTE_3 src1_sel:DWORD
	v_lshlrev_b32_e32 v43, 3, v43
	v_cndmask_b32_e32 v42, 7, v42, vcc_lo
	v_and_b32_e32 v43, 0xf8, v43
	v_and_b32_e32 v44, 7, v42
	v_or_b32_e32 v23, v23, v42
	v_or3_b32 v41, v43, v41, v44
	v_cmp_ne_u32_e32 vcc_lo, 0, v23
	v_cndmask_b32_e32 v23, 0, v41, vcc_lo
.LBB4_2047:                             ;   in Loop: Header=BB4_1868 Depth=2
	s_or_b32 exec_lo, exec_lo, s27
.LBB4_2048:                             ;   in Loop: Header=BB4_1868 Depth=2
	s_or_b32 exec_lo, exec_lo, s26
	v_cmp_gt_i16_sdwa s26, v24, v96 src0_sel:BYTE_1 src1_sel:DWORD
	s_mov_b32 s12, 0
	s_and_saveexec_b32 s27, s26
	s_xor_b32 s26, exec_lo, s27
	s_cbranch_execz .LBB4_2542
; %bb.2049:                             ;   in Loop: Header=BB4_1868 Depth=2
	v_cmp_eq_u16_sdwa s28, v24, v97 src0_sel:BYTE_1 src1_sel:DWORD
	s_mov_b32 s12, -1
	s_and_saveexec_b32 s27, s28
; %bb.2050:                             ;   in Loop: Header=BB4_1868 Depth=2
	s_xor_b32 s12, exec_lo, -1
; %bb.2051:                             ;   in Loop: Header=BB4_1868 Depth=2
	s_or_b32 exec_lo, exec_lo, s27
	s_and_b32 s12, s12, exec_lo
	s_or_saveexec_b32 s26, s26
	v_mov_b32_e32 v41, 0x7f800001
	s_xor_b32 exec_lo, exec_lo, s26
	s_cbranch_execnz .LBB4_2543
.LBB4_2052:                             ;   in Loop: Header=BB4_1868 Depth=2
	s_or_b32 exec_lo, exec_lo, s26
	s_and_saveexec_b32 s26, s12
	s_cbranch_execz .LBB4_2054
.LBB4_2053:                             ;   in Loop: Header=BB4_1868 Depth=2
	v_and_b32_sdwa v41, v98, v24 dst_sel:DWORD dst_unused:UNUSED_PAD src0_sel:DWORD src1_sel:BYTE_1
	v_and_b32_e32 v42, 7, v41
	v_bfe_u32 v45, v41, 3, 4
	v_ffbh_u32_e32 v43, v42
	v_cmp_eq_u32_e32 vcc_lo, 0, v45
	v_min_u32_e32 v43, 32, v43
	v_subrev_nc_u32_e32 v44, 28, v43
	v_sub_nc_u32_e32 v43, 29, v43
	v_lshlrev_b32_e32 v41, v44, v41
	v_lshlrev_b32_sdwa v44, v100, v24 dst_sel:DWORD dst_unused:UNUSED_PAD src0_sel:DWORD src1_sel:BYTE_1
	v_cndmask_b32_e32 v43, v45, v43, vcc_lo
	v_and_b32_e32 v41, 7, v41
	v_lshl_add_u32 v43, v43, 23, 0x3b800000
	v_cndmask_b32_e32 v41, v42, v41, vcc_lo
	v_and_b32_e32 v42, 0x80000000, v44
	v_lshlrev_b32_e32 v41, 20, v41
	v_or3_b32 v41, v42, v43, v41
.LBB4_2054:                             ;   in Loop: Header=BB4_1868 Depth=2
	s_or_b32 exec_lo, exec_lo, s26
	v_cmp_gt_i16_sdwa s26, v20, v96 src0_sel:BYTE_1 src1_sel:DWORD
	s_mov_b32 s12, 0
	s_and_saveexec_b32 s27, s26
	s_xor_b32 s26, exec_lo, s27
	s_cbranch_execz .LBB4_2544
; %bb.2055:                             ;   in Loop: Header=BB4_1868 Depth=2
	v_cmp_eq_u16_sdwa s28, v20, v97 src0_sel:BYTE_1 src1_sel:DWORD
	s_mov_b32 s12, -1
	s_and_saveexec_b32 s27, s28
; %bb.2056:                             ;   in Loop: Header=BB4_1868 Depth=2
	s_xor_b32 s12, exec_lo, -1
; %bb.2057:                             ;   in Loop: Header=BB4_1868 Depth=2
	s_or_b32 exec_lo, exec_lo, s27
	s_and_b32 s12, s12, exec_lo
	s_or_saveexec_b32 s26, s26
	v_mov_b32_e32 v42, 0x7f800001
	s_xor_b32 exec_lo, exec_lo, s26
	s_cbranch_execnz .LBB4_2545
.LBB4_2058:                             ;   in Loop: Header=BB4_1868 Depth=2
	s_or_b32 exec_lo, exec_lo, s26
	s_and_saveexec_b32 s26, s12
	s_cbranch_execz .LBB4_2060
.LBB4_2059:                             ;   in Loop: Header=BB4_1868 Depth=2
	v_and_b32_sdwa v42, v98, v20 dst_sel:DWORD dst_unused:UNUSED_PAD src0_sel:DWORD src1_sel:BYTE_1
	v_and_b32_e32 v43, 7, v42
	v_bfe_u32 v46, v42, 3, 4
	v_ffbh_u32_e32 v44, v43
	v_cmp_eq_u32_e32 vcc_lo, 0, v46
	v_min_u32_e32 v44, 32, v44
	v_subrev_nc_u32_e32 v45, 28, v44
	v_sub_nc_u32_e32 v44, 29, v44
	v_lshlrev_b32_e32 v42, v45, v42
	v_lshlrev_b32_sdwa v45, v100, v20 dst_sel:DWORD dst_unused:UNUSED_PAD src0_sel:DWORD src1_sel:BYTE_1
	v_cndmask_b32_e32 v44, v46, v44, vcc_lo
	v_and_b32_e32 v42, 7, v42
	v_lshl_add_u32 v44, v44, 23, 0x3b800000
	v_cndmask_b32_e32 v42, v43, v42, vcc_lo
	v_and_b32_e32 v43, 0x80000000, v45
	v_lshlrev_b32_e32 v42, 20, v42
	v_or3_b32 v42, v43, v44, v42
.LBB4_2060:                             ;   in Loop: Header=BB4_1868 Depth=2
	s_or_b32 exec_lo, exec_lo, s26
	v_add_f32_e32 v42, v41, v42
	v_and_b32_e32 v41, 0x7f800000, v42
	v_cmp_ne_u32_e32 vcc_lo, 0x7f800000, v41
	v_mov_b32_e32 v41, 0x8000
	s_and_saveexec_b32 s26, vcc_lo
	s_cbranch_execz .LBB4_2068
; %bb.2061:                             ;   in Loop: Header=BB4_1868 Depth=2
	v_mov_b32_e32 v41, 0
	s_mov_b32 s27, exec_lo
	v_cmpx_ne_u32_e32 0, v42
	s_cbranch_execz .LBB4_2067
; %bb.2062:                             ;   in Loop: Header=BB4_1868 Depth=2
	v_bfe_u32 v41, v42, 23, 8
	v_and_b32_e32 v43, 0x7fffff, v42
	v_sub_nc_u32_e32 v44, 0x78, v41
	v_cmp_gt_u32_e32 vcc_lo, 0x79, v41
	v_or_b32_e32 v45, 0x800000, v43
	v_cndmask_b32_e32 v44, 0, v44, vcc_lo
	v_cmp_eq_u32_e32 vcc_lo, 0, v41
	v_add_nc_u32_e32 v41, 0xffffff89, v41
	v_cndmask_b32_e64 v44, v44, 0x77, vcc_lo
	v_cndmask_b32_e32 v43, v45, v43, vcc_lo
	v_cndmask_b32_e64 v41, v41, 0xffffff8a, vcc_lo
	v_lshl_add_u32 v45, 0x100000, v44, -1
	v_lshrrev_b32_e32 v46, v44, v43
	v_lshlrev_b32_e64 v56, v44, 0x80000
	v_add_nc_u32_e32 v44, v44, v41
	v_and_b32_e32 v43, v45, v43
	v_bfe_u32 v47, v46, 20, 1
	v_cmp_eq_u32_e64 s12, v43, v56
	v_add_nc_u32_e32 v45, -1, v47
	v_cndmask_b32_e64 v43, 0, v45, s12
	v_lshrrev_b32_e32 v45, 23, v46
	s_mov_b32 s12, exec_lo
	v_add_nc_u32_e32 v43, v43, v46
	v_xor_b32_e32 v45, 1, v45
	v_and_b32_e32 v41, 0xfffff, v43
	v_add_nc_u32_e32 v43, v41, v46
                                        ; implicit-def: $vgpr41
	v_cmpx_ne_u32_e64 v44, v45
	s_xor_b32 s12, exec_lo, s12
; %bb.2063:                             ;   in Loop: Header=BB4_1868 Depth=2
	v_cmp_lt_u32_e32 vcc_lo, 0xffffff, v43
	v_sub_nc_u32_e32 v41, v44, v45
	v_cndmask_b32_e64 v44, 0, 1, vcc_lo
	v_add_co_ci_u32_e64 v41, null, 0, v41, vcc_lo
	v_lshrrev_b32_e32 v43, v44, v43
; %bb.2064:                             ;   in Loop: Header=BB4_1868 Depth=2
	s_andn2_saveexec_b32 s12, s12
; %bb.2065:                             ;   in Loop: Header=BB4_1868 Depth=2
	v_bfe_u32 v41, v43, 23, 1
; %bb.2066:                             ;   in Loop: Header=BB4_1868 Depth=2
	s_or_b32 exec_lo, exec_lo, s12
	v_lshrrev_b32_e32 v43, 20, v43
	v_min_i32_e32 v44, 15, v41
	v_cmp_gt_i32_e32 vcc_lo, 16, v41
	v_and_b32_sdwa v42, v42, v97 dst_sel:DWORD dst_unused:UNUSED_PAD src0_sel:BYTE_3 src1_sel:DWORD
	v_lshlrev_b32_e32 v44, 3, v44
	v_cndmask_b32_e32 v43, 7, v43, vcc_lo
	v_and_b32_e32 v44, 0xf8, v44
	v_and_b32_e32 v45, 7, v43
	v_or_b32_e32 v41, v41, v43
	v_or3_b32 v42, v42, v44, v45
	v_cmp_ne_u32_e32 vcc_lo, 0, v41
	v_lshlrev_b32_e32 v42, 8, v42
	v_cndmask_b32_e32 v41, 0, v42, vcc_lo
.LBB4_2067:                             ;   in Loop: Header=BB4_1868 Depth=2
	s_or_b32 exec_lo, exec_lo, s27
.LBB4_2068:                             ;   in Loop: Header=BB4_1868 Depth=2
	s_or_b32 exec_lo, exec_lo, s26
	v_and_b32_sdwa v43, v24, v113 dst_sel:DWORD dst_unused:UNUSED_PAD src0_sel:WORD_1 src1_sel:DWORD
	s_mov_b32 s12, 0
	s_mov_b32 s26, exec_lo
	v_cmpx_lt_i16_e32 0x7f, v43
	s_xor_b32 s26, exec_lo, s26
	s_cbranch_execz .LBB4_2546
; %bb.2069:                             ;   in Loop: Header=BB4_1868 Depth=2
	s_mov_b32 s12, -1
	s_mov_b32 s27, exec_lo
	v_cmpx_eq_u16_e32 0x80, v43
; %bb.2070:                             ;   in Loop: Header=BB4_1868 Depth=2
	s_xor_b32 s12, exec_lo, -1
; %bb.2071:                             ;   in Loop: Header=BB4_1868 Depth=2
	s_or_b32 exec_lo, exec_lo, s27
	s_and_b32 s12, s12, exec_lo
                                        ; implicit-def: $vgpr43
	s_or_saveexec_b32 s26, s26
	v_mov_b32_e32 v42, 0x7f800001
	s_xor_b32 exec_lo, exec_lo, s26
	s_cbranch_execnz .LBB4_2547
.LBB4_2072:                             ;   in Loop: Header=BB4_1868 Depth=2
	s_or_b32 exec_lo, exec_lo, s26
	s_and_saveexec_b32 s26, s12
	s_cbranch_execz .LBB4_2074
.LBB4_2073:                             ;   in Loop: Header=BB4_1868 Depth=2
	v_bfe_u32 v42, v24, 16, 3
	v_bfe_u32 v45, v24, 19, 4
	v_lshlrev_b32_e32 v46, 8, v24
	v_ffbh_u32_e32 v43, v42
	v_cmp_eq_u32_e32 vcc_lo, 0, v45
	v_min_u32_e32 v43, 32, v43
	v_subrev_nc_u32_e32 v44, 28, v43
	v_sub_nc_u32_e32 v43, 29, v43
	v_lshlrev_b32_sdwa v44, v44, v24 dst_sel:DWORD dst_unused:UNUSED_PAD src0_sel:DWORD src1_sel:WORD_1
	v_cndmask_b32_e32 v43, v45, v43, vcc_lo
	v_and_b32_e32 v44, 7, v44
	v_lshl_add_u32 v43, v43, 23, 0x3b800000
	v_cndmask_b32_e32 v42, v42, v44, vcc_lo
	v_and_b32_e32 v44, 0x80000000, v46
	v_lshlrev_b32_e32 v42, 20, v42
	v_or3_b32 v42, v44, v43, v42
.LBB4_2074:                             ;   in Loop: Header=BB4_1868 Depth=2
	s_or_b32 exec_lo, exec_lo, s26
	v_and_b32_sdwa v44, v20, v113 dst_sel:DWORD dst_unused:UNUSED_PAD src0_sel:WORD_1 src1_sel:DWORD
	s_mov_b32 s12, 0
	s_mov_b32 s26, exec_lo
	v_cmpx_lt_i16_e32 0x7f, v44
	s_xor_b32 s26, exec_lo, s26
	s_cbranch_execz .LBB4_2548
; %bb.2075:                             ;   in Loop: Header=BB4_1868 Depth=2
	s_mov_b32 s12, -1
	s_mov_b32 s27, exec_lo
	v_cmpx_eq_u16_e32 0x80, v44
; %bb.2076:                             ;   in Loop: Header=BB4_1868 Depth=2
	s_xor_b32 s12, exec_lo, -1
; %bb.2077:                             ;   in Loop: Header=BB4_1868 Depth=2
	s_or_b32 exec_lo, exec_lo, s27
	s_and_b32 s12, s12, exec_lo
                                        ; implicit-def: $vgpr44
	s_or_saveexec_b32 s26, s26
	v_mov_b32_e32 v43, 0x7f800001
	s_xor_b32 exec_lo, exec_lo, s26
	s_cbranch_execnz .LBB4_2549
.LBB4_2078:                             ;   in Loop: Header=BB4_1868 Depth=2
	s_or_b32 exec_lo, exec_lo, s26
	s_and_saveexec_b32 s26, s12
	s_cbranch_execz .LBB4_2080
.LBB4_2079:                             ;   in Loop: Header=BB4_1868 Depth=2
	v_bfe_u32 v43, v20, 16, 3
	v_bfe_u32 v46, v20, 19, 4
	v_lshlrev_b32_e32 v47, 8, v20
	v_ffbh_u32_e32 v44, v43
	v_cmp_eq_u32_e32 vcc_lo, 0, v46
	v_min_u32_e32 v44, 32, v44
	v_subrev_nc_u32_e32 v45, 28, v44
	v_sub_nc_u32_e32 v44, 29, v44
	v_lshlrev_b32_sdwa v45, v45, v20 dst_sel:DWORD dst_unused:UNUSED_PAD src0_sel:DWORD src1_sel:WORD_1
	v_cndmask_b32_e32 v44, v46, v44, vcc_lo
	v_and_b32_e32 v45, 7, v45
	v_lshl_add_u32 v44, v44, 23, 0x3b800000
	v_cndmask_b32_e32 v43, v43, v45, vcc_lo
	v_and_b32_e32 v45, 0x80000000, v47
	v_lshlrev_b32_e32 v43, 20, v43
	v_or3_b32 v43, v45, v44, v43
.LBB4_2080:                             ;   in Loop: Header=BB4_1868 Depth=2
	s_or_b32 exec_lo, exec_lo, s26
	v_add_f32_e32 v43, v42, v43
	v_and_b32_e32 v42, 0x7f800000, v43
	v_cmp_ne_u32_e32 vcc_lo, 0x7f800000, v42
	v_mov_b32_e32 v42, 0x80
	s_and_saveexec_b32 s26, vcc_lo
	s_cbranch_execz .LBB4_2088
; %bb.2081:                             ;   in Loop: Header=BB4_1868 Depth=2
	v_mov_b32_e32 v42, 0
	s_mov_b32 s27, exec_lo
	v_cmpx_ne_u32_e32 0, v43
	s_cbranch_execz .LBB4_2087
; %bb.2082:                             ;   in Loop: Header=BB4_1868 Depth=2
	v_bfe_u32 v42, v43, 23, 8
	v_and_b32_e32 v44, 0x7fffff, v43
	v_sub_nc_u32_e32 v45, 0x78, v42
	v_cmp_gt_u32_e32 vcc_lo, 0x79, v42
	v_or_b32_e32 v46, 0x800000, v44
	v_cndmask_b32_e32 v45, 0, v45, vcc_lo
	v_cmp_eq_u32_e32 vcc_lo, 0, v42
	v_add_nc_u32_e32 v42, 0xffffff89, v42
	v_cndmask_b32_e64 v45, v45, 0x77, vcc_lo
	v_cndmask_b32_e32 v44, v46, v44, vcc_lo
	v_cndmask_b32_e64 v42, v42, 0xffffff8a, vcc_lo
	v_lshl_add_u32 v46, 0x100000, v45, -1
	v_lshrrev_b32_e32 v47, v45, v44
	v_lshlrev_b32_e64 v57, v45, 0x80000
	v_add_nc_u32_e32 v45, v45, v42
	v_and_b32_e32 v44, v46, v44
	v_bfe_u32 v56, v47, 20, 1
	v_cmp_eq_u32_e64 s12, v44, v57
	v_add_nc_u32_e32 v46, -1, v56
	v_cndmask_b32_e64 v44, 0, v46, s12
	v_lshrrev_b32_e32 v46, 23, v47
	s_mov_b32 s12, exec_lo
	v_add_nc_u32_e32 v44, v44, v47
	v_xor_b32_e32 v46, 1, v46
	v_and_b32_e32 v42, 0xfffff, v44
	v_add_nc_u32_e32 v44, v42, v47
                                        ; implicit-def: $vgpr42
	v_cmpx_ne_u32_e64 v45, v46
	s_xor_b32 s12, exec_lo, s12
; %bb.2083:                             ;   in Loop: Header=BB4_1868 Depth=2
	v_cmp_lt_u32_e32 vcc_lo, 0xffffff, v44
	v_sub_nc_u32_e32 v42, v45, v46
	v_cndmask_b32_e64 v45, 0, 1, vcc_lo
	v_add_co_ci_u32_e64 v42, null, 0, v42, vcc_lo
	v_lshrrev_b32_e32 v44, v45, v44
; %bb.2084:                             ;   in Loop: Header=BB4_1868 Depth=2
	s_andn2_saveexec_b32 s12, s12
; %bb.2085:                             ;   in Loop: Header=BB4_1868 Depth=2
	v_bfe_u32 v42, v44, 23, 1
; %bb.2086:                             ;   in Loop: Header=BB4_1868 Depth=2
	s_or_b32 exec_lo, exec_lo, s12
	v_lshrrev_b32_e32 v44, 20, v44
	v_min_i32_e32 v45, 15, v42
	v_cmp_gt_i32_e32 vcc_lo, 16, v42
	v_and_b32_sdwa v43, v43, v97 dst_sel:DWORD dst_unused:UNUSED_PAD src0_sel:BYTE_3 src1_sel:DWORD
	v_lshlrev_b32_e32 v45, 3, v45
	v_cndmask_b32_e32 v44, 7, v44, vcc_lo
	v_and_b32_e32 v45, 0xf8, v45
	v_and_b32_e32 v46, 7, v44
	v_or_b32_e32 v42, v42, v44
	v_or3_b32 v43, v45, v43, v46
	v_cmp_ne_u32_e32 vcc_lo, 0, v42
	v_cndmask_b32_e32 v42, 0, v43, vcc_lo
.LBB4_2087:                             ;   in Loop: Header=BB4_1868 Depth=2
	s_or_b32 exec_lo, exec_lo, s27
.LBB4_2088:                             ;   in Loop: Header=BB4_1868 Depth=2
	s_or_b32 exec_lo, exec_lo, s26
	v_cmp_gt_i16_sdwa s26, v24, v96 src0_sel:BYTE_3 src1_sel:DWORD
	s_mov_b32 s12, 0
	s_and_saveexec_b32 s27, s26
	s_xor_b32 s26, exec_lo, s27
	s_cbranch_execz .LBB4_2550
; %bb.2089:                             ;   in Loop: Header=BB4_1868 Depth=2
	v_cmp_eq_u16_sdwa s28, v24, v97 src0_sel:BYTE_3 src1_sel:DWORD
	s_mov_b32 s12, -1
	s_and_saveexec_b32 s27, s28
; %bb.2090:                             ;   in Loop: Header=BB4_1868 Depth=2
	s_xor_b32 s12, exec_lo, -1
; %bb.2091:                             ;   in Loop: Header=BB4_1868 Depth=2
	s_or_b32 exec_lo, exec_lo, s27
	s_and_b32 s12, s12, exec_lo
	s_or_saveexec_b32 s26, s26
	v_mov_b32_e32 v43, 0x7f800001
	s_xor_b32 exec_lo, exec_lo, s26
	s_cbranch_execnz .LBB4_2551
.LBB4_2092:                             ;   in Loop: Header=BB4_1868 Depth=2
	s_or_b32 exec_lo, exec_lo, s26
	s_and_saveexec_b32 s26, s12
	s_cbranch_execz .LBB4_2094
.LBB4_2093:                             ;   in Loop: Header=BB4_1868 Depth=2
	v_bfe_u32 v43, v24, 24, 3
	v_bfe_u32 v46, v24, 27, 4
	v_ffbh_u32_e32 v44, v43
	v_cmp_eq_u32_e32 vcc_lo, 0, v46
	v_min_u32_e32 v44, 32, v44
	v_subrev_nc_u32_e32 v45, 28, v44
	v_sub_nc_u32_e32 v44, 29, v44
	v_lshlrev_b32_sdwa v45, v45, v24 dst_sel:DWORD dst_unused:UNUSED_PAD src0_sel:DWORD src1_sel:BYTE_3
	v_cndmask_b32_e32 v44, v46, v44, vcc_lo
	v_and_b32_e32 v24, 0x80000000, v24
	v_and_b32_e32 v45, 7, v45
	v_lshl_add_u32 v44, v44, 23, 0x3b800000
	v_cndmask_b32_e32 v43, v43, v45, vcc_lo
	v_lshlrev_b32_e32 v43, 20, v43
	v_or3_b32 v43, v24, v44, v43
.LBB4_2094:                             ;   in Loop: Header=BB4_1868 Depth=2
	s_or_b32 exec_lo, exec_lo, s26
	v_cmp_gt_i16_sdwa s26, v20, v96 src0_sel:BYTE_3 src1_sel:DWORD
	s_mov_b32 s12, 0
	s_and_saveexec_b32 s27, s26
	s_xor_b32 s26, exec_lo, s27
	s_cbranch_execz .LBB4_2552
; %bb.2095:                             ;   in Loop: Header=BB4_1868 Depth=2
	v_cmp_eq_u16_sdwa s28, v20, v97 src0_sel:BYTE_3 src1_sel:DWORD
	s_mov_b32 s12, -1
	s_and_saveexec_b32 s27, s28
; %bb.2096:                             ;   in Loop: Header=BB4_1868 Depth=2
	s_xor_b32 s12, exec_lo, -1
; %bb.2097:                             ;   in Loop: Header=BB4_1868 Depth=2
	s_or_b32 exec_lo, exec_lo, s27
	s_and_b32 s12, s12, exec_lo
	s_or_saveexec_b32 s26, s26
	v_mov_b32_e32 v24, 0x7f800001
	s_xor_b32 exec_lo, exec_lo, s26
	s_cbranch_execnz .LBB4_2553
.LBB4_2098:                             ;   in Loop: Header=BB4_1868 Depth=2
	s_or_b32 exec_lo, exec_lo, s26
	s_and_saveexec_b32 s26, s12
	s_cbranch_execz .LBB4_2100
.LBB4_2099:                             ;   in Loop: Header=BB4_1868 Depth=2
	v_bfe_u32 v24, v20, 24, 3
	v_bfe_u32 v46, v20, 27, 4
	v_ffbh_u32_e32 v44, v24
	v_cmp_eq_u32_e32 vcc_lo, 0, v46
	v_min_u32_e32 v44, 32, v44
	v_subrev_nc_u32_e32 v45, 28, v44
	v_sub_nc_u32_e32 v44, 29, v44
	v_lshlrev_b32_sdwa v45, v45, v20 dst_sel:DWORD dst_unused:UNUSED_PAD src0_sel:DWORD src1_sel:BYTE_3
	v_cndmask_b32_e32 v44, v46, v44, vcc_lo
	v_and_b32_e32 v20, 0x80000000, v20
	v_and_b32_e32 v45, 7, v45
	v_lshl_add_u32 v44, v44, 23, 0x3b800000
	v_cndmask_b32_e32 v24, v24, v45, vcc_lo
	v_lshlrev_b32_e32 v24, 20, v24
	v_or3_b32 v24, v20, v44, v24
.LBB4_2100:                             ;   in Loop: Header=BB4_1868 Depth=2
	s_or_b32 exec_lo, exec_lo, s26
	v_add_f32_e32 v24, v43, v24
	v_and_b32_e32 v20, 0x7f800000, v24
	v_cmp_ne_u32_e32 vcc_lo, 0x7f800000, v20
	v_mov_b32_e32 v20, 0x8000
	s_and_saveexec_b32 s26, vcc_lo
	s_cbranch_execz .LBB4_2108
; %bb.2101:                             ;   in Loop: Header=BB4_1868 Depth=2
	v_mov_b32_e32 v20, 0
	s_mov_b32 s27, exec_lo
	v_cmpx_ne_u32_e32 0, v24
	s_cbranch_execz .LBB4_2107
; %bb.2102:                             ;   in Loop: Header=BB4_1868 Depth=2
	v_bfe_u32 v20, v24, 23, 8
	v_and_b32_e32 v43, 0x7fffff, v24
	v_sub_nc_u32_e32 v44, 0x78, v20
	v_cmp_gt_u32_e32 vcc_lo, 0x79, v20
	v_or_b32_e32 v45, 0x800000, v43
	v_cndmask_b32_e32 v44, 0, v44, vcc_lo
	v_cmp_eq_u32_e32 vcc_lo, 0, v20
	v_add_nc_u32_e32 v20, 0xffffff89, v20
	v_cndmask_b32_e64 v44, v44, 0x77, vcc_lo
	v_cndmask_b32_e32 v43, v45, v43, vcc_lo
	v_cndmask_b32_e64 v20, v20, 0xffffff8a, vcc_lo
	v_lshl_add_u32 v45, 0x100000, v44, -1
	v_lshrrev_b32_e32 v46, v44, v43
	v_lshlrev_b32_e64 v56, v44, 0x80000
	v_add_nc_u32_e32 v44, v44, v20
	v_and_b32_e32 v43, v45, v43
	v_bfe_u32 v47, v46, 20, 1
	v_cmp_eq_u32_e64 s12, v43, v56
	v_add_nc_u32_e32 v45, -1, v47
	v_cndmask_b32_e64 v43, 0, v45, s12
	v_lshrrev_b32_e32 v45, 23, v46
	s_mov_b32 s12, exec_lo
	v_add_nc_u32_e32 v43, v43, v46
	v_xor_b32_e32 v45, 1, v45
	v_and_b32_e32 v20, 0xfffff, v43
	v_add_nc_u32_e32 v43, v20, v46
                                        ; implicit-def: $vgpr20
	v_cmpx_ne_u32_e64 v44, v45
	s_xor_b32 s12, exec_lo, s12
; %bb.2103:                             ;   in Loop: Header=BB4_1868 Depth=2
	v_cmp_lt_u32_e32 vcc_lo, 0xffffff, v43
	v_sub_nc_u32_e32 v20, v44, v45
	v_cndmask_b32_e64 v44, 0, 1, vcc_lo
	v_add_co_ci_u32_e64 v20, null, 0, v20, vcc_lo
	v_lshrrev_b32_e32 v43, v44, v43
; %bb.2104:                             ;   in Loop: Header=BB4_1868 Depth=2
	s_andn2_saveexec_b32 s12, s12
; %bb.2105:                             ;   in Loop: Header=BB4_1868 Depth=2
	v_bfe_u32 v20, v43, 23, 1
; %bb.2106:                             ;   in Loop: Header=BB4_1868 Depth=2
	s_or_b32 exec_lo, exec_lo, s12
	v_lshrrev_b32_e32 v43, 20, v43
	v_min_i32_e32 v44, 15, v20
	v_cmp_gt_i32_e32 vcc_lo, 16, v20
	v_and_b32_sdwa v24, v24, v97 dst_sel:DWORD dst_unused:UNUSED_PAD src0_sel:BYTE_3 src1_sel:DWORD
	v_lshlrev_b32_e32 v44, 3, v44
	v_cndmask_b32_e32 v43, 7, v43, vcc_lo
	v_and_b32_e32 v44, 0xf8, v44
	v_and_b32_e32 v45, 7, v43
	v_or_b32_e32 v20, v20, v43
	v_or3_b32 v24, v24, v44, v45
	v_cmp_ne_u32_e32 vcc_lo, 0, v20
	v_lshlrev_b32_e32 v24, 8, v24
	v_cndmask_b32_e32 v20, 0, v24, vcc_lo
.LBB4_2107:                             ;   in Loop: Header=BB4_1868 Depth=2
	s_or_b32 exec_lo, exec_lo, s27
.LBB4_2108:                             ;   in Loop: Header=BB4_1868 Depth=2
	s_or_b32 exec_lo, exec_lo, s26
	v_cmp_gt_i16_sdwa s26, v25, v96 src0_sel:BYTE_0 src1_sel:DWORD
	s_mov_b32 s12, 0
	s_and_saveexec_b32 s27, s26
	s_xor_b32 s26, exec_lo, s27
	s_cbranch_execz .LBB4_2554
; %bb.2109:                             ;   in Loop: Header=BB4_1868 Depth=2
	v_cmp_eq_u16_sdwa s28, v25, v97 src0_sel:BYTE_0 src1_sel:DWORD
	s_mov_b32 s12, -1
	s_and_saveexec_b32 s27, s28
; %bb.2110:                             ;   in Loop: Header=BB4_1868 Depth=2
	s_xor_b32 s12, exec_lo, -1
; %bb.2111:                             ;   in Loop: Header=BB4_1868 Depth=2
	s_or_b32 exec_lo, exec_lo, s27
	s_and_b32 s12, s12, exec_lo
	s_or_saveexec_b32 s26, s26
	v_mov_b32_e32 v24, 0x7f800001
	s_xor_b32 exec_lo, exec_lo, s26
	s_cbranch_execnz .LBB4_2555
.LBB4_2112:                             ;   in Loop: Header=BB4_1868 Depth=2
	s_or_b32 exec_lo, exec_lo, s26
	s_and_saveexec_b32 s26, s12
	s_cbranch_execz .LBB4_2114
.LBB4_2113:                             ;   in Loop: Header=BB4_1868 Depth=2
	v_and_b32_e32 v24, 7, v25
	v_bfe_u32 v45, v25, 3, 4
	v_lshlrev_b32_e32 v46, 24, v25
	v_ffbh_u32_e32 v43, v24
	v_cmp_eq_u32_e32 vcc_lo, 0, v45
	v_min_u32_e32 v43, 32, v43
	v_subrev_nc_u32_e32 v44, 28, v43
	v_sub_nc_u32_e32 v43, 29, v43
	v_lshlrev_b32_e32 v44, v44, v25
	v_cndmask_b32_e32 v43, v45, v43, vcc_lo
	v_and_b32_e32 v44, 7, v44
	v_lshl_add_u32 v43, v43, 23, 0x3b800000
	v_cndmask_b32_e32 v24, v24, v44, vcc_lo
	v_and_b32_e32 v44, 0x80000000, v46
	v_lshlrev_b32_e32 v24, 20, v24
	v_or3_b32 v24, v44, v43, v24
.LBB4_2114:                             ;   in Loop: Header=BB4_1868 Depth=2
	s_or_b32 exec_lo, exec_lo, s26
	v_cmp_gt_i16_sdwa s26, v21, v96 src0_sel:BYTE_0 src1_sel:DWORD
	s_mov_b32 s12, 0
	s_and_saveexec_b32 s27, s26
	s_xor_b32 s26, exec_lo, s27
	s_cbranch_execz .LBB4_2556
; %bb.2115:                             ;   in Loop: Header=BB4_1868 Depth=2
	v_cmp_eq_u16_sdwa s28, v21, v97 src0_sel:BYTE_0 src1_sel:DWORD
	s_mov_b32 s12, -1
	s_and_saveexec_b32 s27, s28
; %bb.2116:                             ;   in Loop: Header=BB4_1868 Depth=2
	s_xor_b32 s12, exec_lo, -1
; %bb.2117:                             ;   in Loop: Header=BB4_1868 Depth=2
	s_or_b32 exec_lo, exec_lo, s27
	s_and_b32 s12, s12, exec_lo
	s_or_saveexec_b32 s26, s26
	v_mov_b32_e32 v43, 0x7f800001
	s_xor_b32 exec_lo, exec_lo, s26
	s_cbranch_execnz .LBB4_2557
.LBB4_2118:                             ;   in Loop: Header=BB4_1868 Depth=2
	s_or_b32 exec_lo, exec_lo, s26
	s_and_saveexec_b32 s26, s12
	s_cbranch_execz .LBB4_2120
.LBB4_2119:                             ;   in Loop: Header=BB4_1868 Depth=2
	v_and_b32_e32 v43, 7, v21
	v_bfe_u32 v46, v21, 3, 4
	v_lshlrev_b32_e32 v47, 24, v21
	v_ffbh_u32_e32 v44, v43
	v_cmp_eq_u32_e32 vcc_lo, 0, v46
	v_min_u32_e32 v44, 32, v44
	v_subrev_nc_u32_e32 v45, 28, v44
	v_sub_nc_u32_e32 v44, 29, v44
	v_lshlrev_b32_e32 v45, v45, v21
	v_cndmask_b32_e32 v44, v46, v44, vcc_lo
	v_and_b32_e32 v45, 7, v45
	v_lshl_add_u32 v44, v44, 23, 0x3b800000
	v_cndmask_b32_e32 v43, v43, v45, vcc_lo
	v_and_b32_e32 v45, 0x80000000, v47
	v_lshlrev_b32_e32 v43, 20, v43
	v_or3_b32 v43, v45, v44, v43
.LBB4_2120:                             ;   in Loop: Header=BB4_1868 Depth=2
	s_or_b32 exec_lo, exec_lo, s26
	v_add_f32_e32 v43, v24, v43
	v_and_b32_e32 v24, 0x7f800000, v43
	v_cmp_ne_u32_e32 vcc_lo, 0x7f800000, v24
	v_mov_b32_e32 v24, 0x80
	s_and_saveexec_b32 s26, vcc_lo
	s_cbranch_execz .LBB4_2128
; %bb.2121:                             ;   in Loop: Header=BB4_1868 Depth=2
	v_mov_b32_e32 v24, 0
	s_mov_b32 s27, exec_lo
	v_cmpx_ne_u32_e32 0, v43
	s_cbranch_execz .LBB4_2127
; %bb.2122:                             ;   in Loop: Header=BB4_1868 Depth=2
	v_bfe_u32 v24, v43, 23, 8
	v_and_b32_e32 v44, 0x7fffff, v43
	v_sub_nc_u32_e32 v45, 0x78, v24
	v_cmp_gt_u32_e32 vcc_lo, 0x79, v24
	v_or_b32_e32 v46, 0x800000, v44
	v_cndmask_b32_e32 v45, 0, v45, vcc_lo
	v_cmp_eq_u32_e32 vcc_lo, 0, v24
	v_add_nc_u32_e32 v24, 0xffffff89, v24
	v_cndmask_b32_e64 v45, v45, 0x77, vcc_lo
	v_cndmask_b32_e32 v44, v46, v44, vcc_lo
	v_cndmask_b32_e64 v24, v24, 0xffffff8a, vcc_lo
	v_lshl_add_u32 v46, 0x100000, v45, -1
	v_lshrrev_b32_e32 v47, v45, v44
	v_lshlrev_b32_e64 v57, v45, 0x80000
	v_add_nc_u32_e32 v45, v45, v24
	v_and_b32_e32 v44, v46, v44
	v_bfe_u32 v56, v47, 20, 1
	v_cmp_eq_u32_e64 s12, v44, v57
	v_add_nc_u32_e32 v46, -1, v56
	v_cndmask_b32_e64 v44, 0, v46, s12
	v_lshrrev_b32_e32 v46, 23, v47
	s_mov_b32 s12, exec_lo
	v_add_nc_u32_e32 v44, v44, v47
	v_xor_b32_e32 v46, 1, v46
	v_and_b32_e32 v24, 0xfffff, v44
	v_add_nc_u32_e32 v44, v24, v47
                                        ; implicit-def: $vgpr24
	v_cmpx_ne_u32_e64 v45, v46
	s_xor_b32 s12, exec_lo, s12
; %bb.2123:                             ;   in Loop: Header=BB4_1868 Depth=2
	v_cmp_lt_u32_e32 vcc_lo, 0xffffff, v44
	v_sub_nc_u32_e32 v24, v45, v46
	v_cndmask_b32_e64 v45, 0, 1, vcc_lo
	v_add_co_ci_u32_e64 v24, null, 0, v24, vcc_lo
	v_lshrrev_b32_e32 v44, v45, v44
; %bb.2124:                             ;   in Loop: Header=BB4_1868 Depth=2
	s_andn2_saveexec_b32 s12, s12
; %bb.2125:                             ;   in Loop: Header=BB4_1868 Depth=2
	v_bfe_u32 v24, v44, 23, 1
; %bb.2126:                             ;   in Loop: Header=BB4_1868 Depth=2
	s_or_b32 exec_lo, exec_lo, s12
	v_lshrrev_b32_e32 v44, 20, v44
	v_min_i32_e32 v45, 15, v24
	v_cmp_gt_i32_e32 vcc_lo, 16, v24
	v_and_b32_sdwa v43, v43, v97 dst_sel:DWORD dst_unused:UNUSED_PAD src0_sel:BYTE_3 src1_sel:DWORD
	v_lshlrev_b32_e32 v45, 3, v45
	v_cndmask_b32_e32 v44, 7, v44, vcc_lo
	v_and_b32_e32 v45, 0xf8, v45
	v_and_b32_e32 v46, 7, v44
	v_or_b32_e32 v24, v24, v44
	v_or3_b32 v43, v45, v43, v46
	v_cmp_ne_u32_e32 vcc_lo, 0, v24
	v_cndmask_b32_e32 v24, 0, v43, vcc_lo
.LBB4_2127:                             ;   in Loop: Header=BB4_1868 Depth=2
	s_or_b32 exec_lo, exec_lo, s27
.LBB4_2128:                             ;   in Loop: Header=BB4_1868 Depth=2
	s_or_b32 exec_lo, exec_lo, s26
	v_cmp_gt_i16_sdwa s26, v25, v96 src0_sel:BYTE_1 src1_sel:DWORD
	s_mov_b32 s12, 0
	s_and_saveexec_b32 s27, s26
	s_xor_b32 s26, exec_lo, s27
	s_cbranch_execz .LBB4_2558
; %bb.2129:                             ;   in Loop: Header=BB4_1868 Depth=2
	v_cmp_eq_u16_sdwa s28, v25, v97 src0_sel:BYTE_1 src1_sel:DWORD
	s_mov_b32 s12, -1
	s_and_saveexec_b32 s27, s28
; %bb.2130:                             ;   in Loop: Header=BB4_1868 Depth=2
	s_xor_b32 s12, exec_lo, -1
; %bb.2131:                             ;   in Loop: Header=BB4_1868 Depth=2
	s_or_b32 exec_lo, exec_lo, s27
	s_and_b32 s12, s12, exec_lo
	s_or_saveexec_b32 s26, s26
	v_mov_b32_e32 v43, 0x7f800001
	s_xor_b32 exec_lo, exec_lo, s26
	s_cbranch_execnz .LBB4_2559
.LBB4_2132:                             ;   in Loop: Header=BB4_1868 Depth=2
	s_or_b32 exec_lo, exec_lo, s26
	s_and_saveexec_b32 s26, s12
	s_cbranch_execz .LBB4_2134
.LBB4_2133:                             ;   in Loop: Header=BB4_1868 Depth=2
	v_and_b32_sdwa v43, v98, v25 dst_sel:DWORD dst_unused:UNUSED_PAD src0_sel:DWORD src1_sel:BYTE_1
	v_and_b32_e32 v44, 7, v43
	v_bfe_u32 v47, v43, 3, 4
	v_ffbh_u32_e32 v45, v44
	v_cmp_eq_u32_e32 vcc_lo, 0, v47
	v_min_u32_e32 v45, 32, v45
	v_subrev_nc_u32_e32 v46, 28, v45
	v_sub_nc_u32_e32 v45, 29, v45
	v_lshlrev_b32_e32 v43, v46, v43
	v_lshlrev_b32_sdwa v46, v100, v25 dst_sel:DWORD dst_unused:UNUSED_PAD src0_sel:DWORD src1_sel:BYTE_1
	v_cndmask_b32_e32 v45, v47, v45, vcc_lo
	v_and_b32_e32 v43, 7, v43
	v_lshl_add_u32 v45, v45, 23, 0x3b800000
	v_cndmask_b32_e32 v43, v44, v43, vcc_lo
	v_and_b32_e32 v44, 0x80000000, v46
	v_lshlrev_b32_e32 v43, 20, v43
	v_or3_b32 v43, v44, v45, v43
.LBB4_2134:                             ;   in Loop: Header=BB4_1868 Depth=2
	s_or_b32 exec_lo, exec_lo, s26
	v_cmp_gt_i16_sdwa s26, v21, v96 src0_sel:BYTE_1 src1_sel:DWORD
	s_mov_b32 s12, 0
	s_and_saveexec_b32 s27, s26
	s_xor_b32 s26, exec_lo, s27
	s_cbranch_execz .LBB4_2560
; %bb.2135:                             ;   in Loop: Header=BB4_1868 Depth=2
	v_cmp_eq_u16_sdwa s28, v21, v97 src0_sel:BYTE_1 src1_sel:DWORD
	s_mov_b32 s12, -1
	s_and_saveexec_b32 s27, s28
; %bb.2136:                             ;   in Loop: Header=BB4_1868 Depth=2
	s_xor_b32 s12, exec_lo, -1
; %bb.2137:                             ;   in Loop: Header=BB4_1868 Depth=2
	s_or_b32 exec_lo, exec_lo, s27
	s_and_b32 s12, s12, exec_lo
	s_or_saveexec_b32 s26, s26
	v_mov_b32_e32 v44, 0x7f800001
	s_xor_b32 exec_lo, exec_lo, s26
	s_cbranch_execnz .LBB4_2561
.LBB4_2138:                             ;   in Loop: Header=BB4_1868 Depth=2
	s_or_b32 exec_lo, exec_lo, s26
	s_and_saveexec_b32 s26, s12
	s_cbranch_execz .LBB4_2140
.LBB4_2139:                             ;   in Loop: Header=BB4_1868 Depth=2
	v_and_b32_sdwa v44, v98, v21 dst_sel:DWORD dst_unused:UNUSED_PAD src0_sel:DWORD src1_sel:BYTE_1
	v_and_b32_e32 v45, 7, v44
	v_bfe_u32 v56, v44, 3, 4
	v_ffbh_u32_e32 v46, v45
	v_cmp_eq_u32_e32 vcc_lo, 0, v56
	v_min_u32_e32 v46, 32, v46
	v_subrev_nc_u32_e32 v47, 28, v46
	v_sub_nc_u32_e32 v46, 29, v46
	v_lshlrev_b32_e32 v44, v47, v44
	v_lshlrev_b32_sdwa v47, v100, v21 dst_sel:DWORD dst_unused:UNUSED_PAD src0_sel:DWORD src1_sel:BYTE_1
	v_cndmask_b32_e32 v46, v56, v46, vcc_lo
	v_and_b32_e32 v44, 7, v44
	v_lshl_add_u32 v46, v46, 23, 0x3b800000
	v_cndmask_b32_e32 v44, v45, v44, vcc_lo
	v_and_b32_e32 v45, 0x80000000, v47
	v_lshlrev_b32_e32 v44, 20, v44
	v_or3_b32 v44, v45, v46, v44
.LBB4_2140:                             ;   in Loop: Header=BB4_1868 Depth=2
	s_or_b32 exec_lo, exec_lo, s26
	v_add_f32_e32 v44, v43, v44
	v_and_b32_e32 v43, 0x7f800000, v44
	v_cmp_ne_u32_e32 vcc_lo, 0x7f800000, v43
	v_mov_b32_e32 v43, 0x8000
	s_and_saveexec_b32 s26, vcc_lo
	s_cbranch_execz .LBB4_2148
; %bb.2141:                             ;   in Loop: Header=BB4_1868 Depth=2
	v_mov_b32_e32 v43, 0
	s_mov_b32 s27, exec_lo
	v_cmpx_ne_u32_e32 0, v44
	s_cbranch_execz .LBB4_2147
; %bb.2142:                             ;   in Loop: Header=BB4_1868 Depth=2
	v_bfe_u32 v43, v44, 23, 8
	v_and_b32_e32 v45, 0x7fffff, v44
	v_sub_nc_u32_e32 v46, 0x78, v43
	v_cmp_gt_u32_e32 vcc_lo, 0x79, v43
	v_or_b32_e32 v47, 0x800000, v45
	v_cndmask_b32_e32 v46, 0, v46, vcc_lo
	v_cmp_eq_u32_e32 vcc_lo, 0, v43
	v_add_nc_u32_e32 v43, 0xffffff89, v43
	v_cndmask_b32_e64 v46, v46, 0x77, vcc_lo
	v_cndmask_b32_e32 v45, v47, v45, vcc_lo
	v_cndmask_b32_e64 v43, v43, 0xffffff8a, vcc_lo
	v_lshl_add_u32 v47, 0x100000, v46, -1
	v_lshrrev_b32_e32 v56, v46, v45
	v_lshlrev_b32_e64 v58, v46, 0x80000
	v_add_nc_u32_e32 v46, v46, v43
	v_and_b32_e32 v45, v47, v45
	v_bfe_u32 v57, v56, 20, 1
	v_cmp_eq_u32_e64 s12, v45, v58
	v_add_nc_u32_e32 v47, -1, v57
	v_cndmask_b32_e64 v45, 0, v47, s12
	v_lshrrev_b32_e32 v47, 23, v56
	s_mov_b32 s12, exec_lo
	v_add_nc_u32_e32 v45, v45, v56
	v_xor_b32_e32 v47, 1, v47
	v_and_b32_e32 v43, 0xfffff, v45
	v_add_nc_u32_e32 v45, v43, v56
                                        ; implicit-def: $vgpr43
	v_cmpx_ne_u32_e64 v46, v47
	s_xor_b32 s12, exec_lo, s12
; %bb.2143:                             ;   in Loop: Header=BB4_1868 Depth=2
	v_cmp_lt_u32_e32 vcc_lo, 0xffffff, v45
	v_sub_nc_u32_e32 v43, v46, v47
	v_cndmask_b32_e64 v46, 0, 1, vcc_lo
	v_add_co_ci_u32_e64 v43, null, 0, v43, vcc_lo
	v_lshrrev_b32_e32 v45, v46, v45
; %bb.2144:                             ;   in Loop: Header=BB4_1868 Depth=2
	s_andn2_saveexec_b32 s12, s12
; %bb.2145:                             ;   in Loop: Header=BB4_1868 Depth=2
	v_bfe_u32 v43, v45, 23, 1
; %bb.2146:                             ;   in Loop: Header=BB4_1868 Depth=2
	s_or_b32 exec_lo, exec_lo, s12
	v_lshrrev_b32_e32 v45, 20, v45
	v_min_i32_e32 v46, 15, v43
	v_cmp_gt_i32_e32 vcc_lo, 16, v43
	v_and_b32_sdwa v44, v44, v97 dst_sel:DWORD dst_unused:UNUSED_PAD src0_sel:BYTE_3 src1_sel:DWORD
	v_lshlrev_b32_e32 v46, 3, v46
	v_cndmask_b32_e32 v45, 7, v45, vcc_lo
	v_and_b32_e32 v46, 0xf8, v46
	v_and_b32_e32 v47, 7, v45
	v_or_b32_e32 v43, v43, v45
	v_or3_b32 v44, v44, v46, v47
	v_cmp_ne_u32_e32 vcc_lo, 0, v43
	v_lshlrev_b32_e32 v44, 8, v44
	v_cndmask_b32_e32 v43, 0, v44, vcc_lo
.LBB4_2147:                             ;   in Loop: Header=BB4_1868 Depth=2
	s_or_b32 exec_lo, exec_lo, s27
.LBB4_2148:                             ;   in Loop: Header=BB4_1868 Depth=2
	s_or_b32 exec_lo, exec_lo, s26
	v_and_b32_sdwa v45, v25, v113 dst_sel:DWORD dst_unused:UNUSED_PAD src0_sel:WORD_1 src1_sel:DWORD
	s_mov_b32 s12, 0
	s_mov_b32 s26, exec_lo
	v_cmpx_lt_i16_e32 0x7f, v45
	s_xor_b32 s26, exec_lo, s26
	s_cbranch_execz .LBB4_2562
; %bb.2149:                             ;   in Loop: Header=BB4_1868 Depth=2
	s_mov_b32 s12, -1
	s_mov_b32 s27, exec_lo
	v_cmpx_eq_u16_e32 0x80, v45
; %bb.2150:                             ;   in Loop: Header=BB4_1868 Depth=2
	s_xor_b32 s12, exec_lo, -1
; %bb.2151:                             ;   in Loop: Header=BB4_1868 Depth=2
	s_or_b32 exec_lo, exec_lo, s27
	s_and_b32 s12, s12, exec_lo
                                        ; implicit-def: $vgpr45
	s_or_saveexec_b32 s26, s26
	v_mov_b32_e32 v44, 0x7f800001
	s_xor_b32 exec_lo, exec_lo, s26
	s_cbranch_execnz .LBB4_2563
.LBB4_2152:                             ;   in Loop: Header=BB4_1868 Depth=2
	s_or_b32 exec_lo, exec_lo, s26
	s_and_saveexec_b32 s26, s12
	s_cbranch_execz .LBB4_2154
.LBB4_2153:                             ;   in Loop: Header=BB4_1868 Depth=2
	v_bfe_u32 v44, v25, 16, 3
	v_bfe_u32 v47, v25, 19, 4
	v_lshlrev_b32_e32 v56, 8, v25
	v_ffbh_u32_e32 v45, v44
	v_cmp_eq_u32_e32 vcc_lo, 0, v47
	v_min_u32_e32 v45, 32, v45
	v_subrev_nc_u32_e32 v46, 28, v45
	v_sub_nc_u32_e32 v45, 29, v45
	v_lshlrev_b32_sdwa v46, v46, v25 dst_sel:DWORD dst_unused:UNUSED_PAD src0_sel:DWORD src1_sel:WORD_1
	v_cndmask_b32_e32 v45, v47, v45, vcc_lo
	v_and_b32_e32 v46, 7, v46
	v_lshl_add_u32 v45, v45, 23, 0x3b800000
	v_cndmask_b32_e32 v44, v44, v46, vcc_lo
	v_and_b32_e32 v46, 0x80000000, v56
	v_lshlrev_b32_e32 v44, 20, v44
	v_or3_b32 v44, v46, v45, v44
.LBB4_2154:                             ;   in Loop: Header=BB4_1868 Depth=2
	s_or_b32 exec_lo, exec_lo, s26
	v_and_b32_sdwa v46, v21, v113 dst_sel:DWORD dst_unused:UNUSED_PAD src0_sel:WORD_1 src1_sel:DWORD
	s_mov_b32 s12, 0
	s_mov_b32 s26, exec_lo
	v_cmpx_lt_i16_e32 0x7f, v46
	s_xor_b32 s26, exec_lo, s26
	s_cbranch_execz .LBB4_2564
; %bb.2155:                             ;   in Loop: Header=BB4_1868 Depth=2
	s_mov_b32 s12, -1
	s_mov_b32 s27, exec_lo
	v_cmpx_eq_u16_e32 0x80, v46
; %bb.2156:                             ;   in Loop: Header=BB4_1868 Depth=2
	s_xor_b32 s12, exec_lo, -1
; %bb.2157:                             ;   in Loop: Header=BB4_1868 Depth=2
	s_or_b32 exec_lo, exec_lo, s27
	s_and_b32 s12, s12, exec_lo
                                        ; implicit-def: $vgpr46
	s_or_saveexec_b32 s26, s26
	v_mov_b32_e32 v45, 0x7f800001
	s_xor_b32 exec_lo, exec_lo, s26
	s_cbranch_execnz .LBB4_2565
.LBB4_2158:                             ;   in Loop: Header=BB4_1868 Depth=2
	s_or_b32 exec_lo, exec_lo, s26
	s_and_saveexec_b32 s26, s12
	s_cbranch_execz .LBB4_2160
.LBB4_2159:                             ;   in Loop: Header=BB4_1868 Depth=2
	v_bfe_u32 v45, v21, 16, 3
	v_bfe_u32 v56, v21, 19, 4
	v_lshlrev_b32_e32 v57, 8, v21
	v_ffbh_u32_e32 v46, v45
	v_cmp_eq_u32_e32 vcc_lo, 0, v56
	v_min_u32_e32 v46, 32, v46
	v_subrev_nc_u32_e32 v47, 28, v46
	v_sub_nc_u32_e32 v46, 29, v46
	v_lshlrev_b32_sdwa v47, v47, v21 dst_sel:DWORD dst_unused:UNUSED_PAD src0_sel:DWORD src1_sel:WORD_1
	v_cndmask_b32_e32 v46, v56, v46, vcc_lo
	v_and_b32_e32 v47, 7, v47
	v_lshl_add_u32 v46, v46, 23, 0x3b800000
	v_cndmask_b32_e32 v45, v45, v47, vcc_lo
	v_and_b32_e32 v47, 0x80000000, v57
	v_lshlrev_b32_e32 v45, 20, v45
	v_or3_b32 v45, v47, v46, v45
.LBB4_2160:                             ;   in Loop: Header=BB4_1868 Depth=2
	s_or_b32 exec_lo, exec_lo, s26
	v_add_f32_e32 v45, v44, v45
	v_and_b32_e32 v44, 0x7f800000, v45
	v_cmp_ne_u32_e32 vcc_lo, 0x7f800000, v44
	v_mov_b32_e32 v44, 0x80
	s_and_saveexec_b32 s26, vcc_lo
	s_cbranch_execz .LBB4_2168
; %bb.2161:                             ;   in Loop: Header=BB4_1868 Depth=2
	v_mov_b32_e32 v44, 0
	s_mov_b32 s27, exec_lo
	v_cmpx_ne_u32_e32 0, v45
	s_cbranch_execz .LBB4_2167
; %bb.2162:                             ;   in Loop: Header=BB4_1868 Depth=2
	v_bfe_u32 v44, v45, 23, 8
	v_and_b32_e32 v46, 0x7fffff, v45
	v_sub_nc_u32_e32 v47, 0x78, v44
	v_cmp_gt_u32_e32 vcc_lo, 0x79, v44
	v_or_b32_e32 v56, 0x800000, v46
	v_cndmask_b32_e32 v47, 0, v47, vcc_lo
	v_cmp_eq_u32_e32 vcc_lo, 0, v44
	v_add_nc_u32_e32 v44, 0xffffff89, v44
	v_cndmask_b32_e64 v47, v47, 0x77, vcc_lo
	v_cndmask_b32_e32 v46, v56, v46, vcc_lo
	v_cndmask_b32_e64 v44, v44, 0xffffff8a, vcc_lo
	v_lshl_add_u32 v56, 0x100000, v47, -1
	v_lshrrev_b32_e32 v57, v47, v46
	v_lshlrev_b32_e64 v59, v47, 0x80000
	v_add_nc_u32_e32 v47, v47, v44
	v_and_b32_e32 v46, v56, v46
	v_bfe_u32 v58, v57, 20, 1
	v_cmp_eq_u32_e64 s12, v46, v59
	v_add_nc_u32_e32 v56, -1, v58
	v_cndmask_b32_e64 v46, 0, v56, s12
	v_lshrrev_b32_e32 v56, 23, v57
	s_mov_b32 s12, exec_lo
	v_add_nc_u32_e32 v46, v46, v57
	v_xor_b32_e32 v56, 1, v56
	v_and_b32_e32 v44, 0xfffff, v46
	v_add_nc_u32_e32 v46, v44, v57
                                        ; implicit-def: $vgpr44
	v_cmpx_ne_u32_e64 v47, v56
	s_xor_b32 s12, exec_lo, s12
; %bb.2163:                             ;   in Loop: Header=BB4_1868 Depth=2
	v_cmp_lt_u32_e32 vcc_lo, 0xffffff, v46
	v_sub_nc_u32_e32 v44, v47, v56
	v_cndmask_b32_e64 v47, 0, 1, vcc_lo
	v_add_co_ci_u32_e64 v44, null, 0, v44, vcc_lo
	v_lshrrev_b32_e32 v46, v47, v46
; %bb.2164:                             ;   in Loop: Header=BB4_1868 Depth=2
	s_andn2_saveexec_b32 s12, s12
; %bb.2165:                             ;   in Loop: Header=BB4_1868 Depth=2
	v_bfe_u32 v44, v46, 23, 1
; %bb.2166:                             ;   in Loop: Header=BB4_1868 Depth=2
	s_or_b32 exec_lo, exec_lo, s12
	v_lshrrev_b32_e32 v46, 20, v46
	v_min_i32_e32 v47, 15, v44
	v_cmp_gt_i32_e32 vcc_lo, 16, v44
	v_and_b32_sdwa v45, v45, v97 dst_sel:DWORD dst_unused:UNUSED_PAD src0_sel:BYTE_3 src1_sel:DWORD
	v_lshlrev_b32_e32 v47, 3, v47
	v_cndmask_b32_e32 v46, 7, v46, vcc_lo
	v_and_b32_e32 v47, 0xf8, v47
	v_and_b32_e32 v56, 7, v46
	v_or_b32_e32 v44, v44, v46
	v_or3_b32 v45, v47, v45, v56
	v_cmp_ne_u32_e32 vcc_lo, 0, v44
	v_cndmask_b32_e32 v44, 0, v45, vcc_lo
.LBB4_2167:                             ;   in Loop: Header=BB4_1868 Depth=2
	s_or_b32 exec_lo, exec_lo, s27
.LBB4_2168:                             ;   in Loop: Header=BB4_1868 Depth=2
	s_or_b32 exec_lo, exec_lo, s26
	v_cmp_gt_i16_sdwa s26, v25, v96 src0_sel:BYTE_3 src1_sel:DWORD
	s_mov_b32 s12, 0
	s_and_saveexec_b32 s27, s26
	s_xor_b32 s26, exec_lo, s27
	s_cbranch_execz .LBB4_2566
; %bb.2169:                             ;   in Loop: Header=BB4_1868 Depth=2
	v_cmp_eq_u16_sdwa s28, v25, v97 src0_sel:BYTE_3 src1_sel:DWORD
	s_mov_b32 s12, -1
	s_and_saveexec_b32 s27, s28
; %bb.2170:                             ;   in Loop: Header=BB4_1868 Depth=2
	s_xor_b32 s12, exec_lo, -1
; %bb.2171:                             ;   in Loop: Header=BB4_1868 Depth=2
	s_or_b32 exec_lo, exec_lo, s27
	s_and_b32 s12, s12, exec_lo
	s_or_saveexec_b32 s26, s26
	v_mov_b32_e32 v45, 0x7f800001
	s_xor_b32 exec_lo, exec_lo, s26
	s_cbranch_execnz .LBB4_2567
.LBB4_2172:                             ;   in Loop: Header=BB4_1868 Depth=2
	s_or_b32 exec_lo, exec_lo, s26
	s_and_saveexec_b32 s26, s12
	s_cbranch_execz .LBB4_2174
.LBB4_2173:                             ;   in Loop: Header=BB4_1868 Depth=2
	v_bfe_u32 v45, v25, 24, 3
	v_bfe_u32 v56, v25, 27, 4
	v_ffbh_u32_e32 v46, v45
	v_cmp_eq_u32_e32 vcc_lo, 0, v56
	v_min_u32_e32 v46, 32, v46
	v_subrev_nc_u32_e32 v47, 28, v46
	v_sub_nc_u32_e32 v46, 29, v46
	v_lshlrev_b32_sdwa v47, v47, v25 dst_sel:DWORD dst_unused:UNUSED_PAD src0_sel:DWORD src1_sel:BYTE_3
	v_cndmask_b32_e32 v46, v56, v46, vcc_lo
	v_and_b32_e32 v25, 0x80000000, v25
	v_and_b32_e32 v47, 7, v47
	v_lshl_add_u32 v46, v46, 23, 0x3b800000
	v_cndmask_b32_e32 v45, v45, v47, vcc_lo
	v_lshlrev_b32_e32 v45, 20, v45
	v_or3_b32 v45, v25, v46, v45
.LBB4_2174:                             ;   in Loop: Header=BB4_1868 Depth=2
	s_or_b32 exec_lo, exec_lo, s26
	v_cmp_gt_i16_sdwa s26, v21, v96 src0_sel:BYTE_3 src1_sel:DWORD
	s_mov_b32 s12, 0
	s_and_saveexec_b32 s27, s26
	s_xor_b32 s26, exec_lo, s27
	s_cbranch_execz .LBB4_2568
; %bb.2175:                             ;   in Loop: Header=BB4_1868 Depth=2
	v_cmp_eq_u16_sdwa s28, v21, v97 src0_sel:BYTE_3 src1_sel:DWORD
	s_mov_b32 s12, -1
	s_and_saveexec_b32 s27, s28
; %bb.2176:                             ;   in Loop: Header=BB4_1868 Depth=2
	s_xor_b32 s12, exec_lo, -1
; %bb.2177:                             ;   in Loop: Header=BB4_1868 Depth=2
	s_or_b32 exec_lo, exec_lo, s27
	s_and_b32 s12, s12, exec_lo
	s_or_saveexec_b32 s26, s26
	v_mov_b32_e32 v25, 0x7f800001
	s_xor_b32 exec_lo, exec_lo, s26
	s_cbranch_execnz .LBB4_2569
.LBB4_2178:                             ;   in Loop: Header=BB4_1868 Depth=2
	s_or_b32 exec_lo, exec_lo, s26
	s_and_saveexec_b32 s26, s12
	s_cbranch_execz .LBB4_2180
.LBB4_2179:                             ;   in Loop: Header=BB4_1868 Depth=2
	v_bfe_u32 v25, v21, 24, 3
	v_bfe_u32 v56, v21, 27, 4
	v_ffbh_u32_e32 v46, v25
	v_cmp_eq_u32_e32 vcc_lo, 0, v56
	v_min_u32_e32 v46, 32, v46
	v_subrev_nc_u32_e32 v47, 28, v46
	v_sub_nc_u32_e32 v46, 29, v46
	v_lshlrev_b32_sdwa v47, v47, v21 dst_sel:DWORD dst_unused:UNUSED_PAD src0_sel:DWORD src1_sel:BYTE_3
	v_cndmask_b32_e32 v46, v56, v46, vcc_lo
	v_and_b32_e32 v21, 0x80000000, v21
	v_and_b32_e32 v47, 7, v47
	v_lshl_add_u32 v46, v46, 23, 0x3b800000
	v_cndmask_b32_e32 v25, v25, v47, vcc_lo
	v_lshlrev_b32_e32 v25, 20, v25
	v_or3_b32 v25, v21, v46, v25
.LBB4_2180:                             ;   in Loop: Header=BB4_1868 Depth=2
	s_or_b32 exec_lo, exec_lo, s26
	v_add_f32_e32 v25, v45, v25
	v_and_b32_e32 v21, 0x7f800000, v25
	v_cmp_ne_u32_e32 vcc_lo, 0x7f800000, v21
	v_mov_b32_e32 v21, 0x8000
	s_and_saveexec_b32 s26, vcc_lo
	s_cbranch_execz .LBB4_2188
; %bb.2181:                             ;   in Loop: Header=BB4_1868 Depth=2
	v_mov_b32_e32 v21, 0
	s_mov_b32 s27, exec_lo
	v_cmpx_ne_u32_e32 0, v25
	s_cbranch_execz .LBB4_2187
; %bb.2182:                             ;   in Loop: Header=BB4_1868 Depth=2
	v_bfe_u32 v21, v25, 23, 8
	v_and_b32_e32 v45, 0x7fffff, v25
	v_sub_nc_u32_e32 v46, 0x78, v21
	v_cmp_gt_u32_e32 vcc_lo, 0x79, v21
	v_or_b32_e32 v47, 0x800000, v45
	v_cndmask_b32_e32 v46, 0, v46, vcc_lo
	v_cmp_eq_u32_e32 vcc_lo, 0, v21
	v_add_nc_u32_e32 v21, 0xffffff89, v21
	v_cndmask_b32_e64 v46, v46, 0x77, vcc_lo
	v_cndmask_b32_e32 v45, v47, v45, vcc_lo
	v_cndmask_b32_e64 v21, v21, 0xffffff8a, vcc_lo
	v_lshl_add_u32 v47, 0x100000, v46, -1
	v_lshrrev_b32_e32 v56, v46, v45
	v_lshlrev_b32_e64 v58, v46, 0x80000
	v_add_nc_u32_e32 v46, v46, v21
	v_and_b32_e32 v45, v47, v45
	v_bfe_u32 v57, v56, 20, 1
	v_cmp_eq_u32_e64 s12, v45, v58
	v_add_nc_u32_e32 v47, -1, v57
	v_cndmask_b32_e64 v45, 0, v47, s12
	v_lshrrev_b32_e32 v47, 23, v56
	s_mov_b32 s12, exec_lo
	v_add_nc_u32_e32 v45, v45, v56
	v_xor_b32_e32 v47, 1, v47
	v_and_b32_e32 v21, 0xfffff, v45
	v_add_nc_u32_e32 v45, v21, v56
                                        ; implicit-def: $vgpr21
	v_cmpx_ne_u32_e64 v46, v47
	s_xor_b32 s12, exec_lo, s12
; %bb.2183:                             ;   in Loop: Header=BB4_1868 Depth=2
	v_cmp_lt_u32_e32 vcc_lo, 0xffffff, v45
	v_sub_nc_u32_e32 v21, v46, v47
	v_cndmask_b32_e64 v46, 0, 1, vcc_lo
	v_add_co_ci_u32_e64 v21, null, 0, v21, vcc_lo
	v_lshrrev_b32_e32 v45, v46, v45
; %bb.2184:                             ;   in Loop: Header=BB4_1868 Depth=2
	s_andn2_saveexec_b32 s12, s12
; %bb.2185:                             ;   in Loop: Header=BB4_1868 Depth=2
	v_bfe_u32 v21, v45, 23, 1
; %bb.2186:                             ;   in Loop: Header=BB4_1868 Depth=2
	s_or_b32 exec_lo, exec_lo, s12
	v_lshrrev_b32_e32 v45, 20, v45
	v_min_i32_e32 v46, 15, v21
	v_cmp_gt_i32_e32 vcc_lo, 16, v21
	v_and_b32_sdwa v25, v25, v97 dst_sel:DWORD dst_unused:UNUSED_PAD src0_sel:BYTE_3 src1_sel:DWORD
	v_lshlrev_b32_e32 v46, 3, v46
	v_cndmask_b32_e32 v45, 7, v45, vcc_lo
	v_and_b32_e32 v46, 0xf8, v46
	v_and_b32_e32 v47, 7, v45
	v_or_b32_e32 v21, v21, v45
	v_or3_b32 v25, v25, v46, v47
	v_cmp_ne_u32_e32 vcc_lo, 0, v21
	v_lshlrev_b32_e32 v25, 8, v25
	v_cndmask_b32_e32 v21, 0, v25, vcc_lo
.LBB4_2187:                             ;   in Loop: Header=BB4_1868 Depth=2
	s_or_b32 exec_lo, exec_lo, s27
.LBB4_2188:                             ;   in Loop: Header=BB4_1868 Depth=2
	s_or_b32 exec_lo, exec_lo, s26
	v_cmp_gt_i16_sdwa s26, v14, v96 src0_sel:BYTE_0 src1_sel:DWORD
	s_mov_b32 s12, 0
	s_and_saveexec_b32 s27, s26
	s_xor_b32 s26, exec_lo, s27
	s_cbranch_execz .LBB4_2570
; %bb.2189:                             ;   in Loop: Header=BB4_1868 Depth=2
	v_cmp_eq_u16_sdwa s28, v14, v97 src0_sel:BYTE_0 src1_sel:DWORD
	s_mov_b32 s12, -1
	s_and_saveexec_b32 s27, s28
; %bb.2190:                             ;   in Loop: Header=BB4_1868 Depth=2
	s_xor_b32 s12, exec_lo, -1
; %bb.2191:                             ;   in Loop: Header=BB4_1868 Depth=2
	s_or_b32 exec_lo, exec_lo, s27
	s_and_b32 s12, s12, exec_lo
	s_or_saveexec_b32 s26, s26
	v_mov_b32_e32 v25, 0x7f800001
	s_xor_b32 exec_lo, exec_lo, s26
	s_cbranch_execnz .LBB4_2571
.LBB4_2192:                             ;   in Loop: Header=BB4_1868 Depth=2
	s_or_b32 exec_lo, exec_lo, s26
	s_and_saveexec_b32 s26, s12
	s_cbranch_execz .LBB4_2194
.LBB4_2193:                             ;   in Loop: Header=BB4_1868 Depth=2
	v_and_b32_e32 v25, 7, v14
	v_bfe_u32 v47, v14, 3, 4
	v_lshlrev_b32_e32 v56, 24, v14
	v_ffbh_u32_e32 v45, v25
	v_cmp_eq_u32_e32 vcc_lo, 0, v47
	v_min_u32_e32 v45, 32, v45
	v_subrev_nc_u32_e32 v46, 28, v45
	v_sub_nc_u32_e32 v45, 29, v45
	v_lshlrev_b32_e32 v46, v46, v14
	v_cndmask_b32_e32 v45, v47, v45, vcc_lo
	v_and_b32_e32 v46, 7, v46
	v_lshl_add_u32 v45, v45, 23, 0x3b800000
	v_cndmask_b32_e32 v25, v25, v46, vcc_lo
	v_and_b32_e32 v46, 0x80000000, v56
	v_lshlrev_b32_e32 v25, 20, v25
	v_or3_b32 v25, v46, v45, v25
.LBB4_2194:                             ;   in Loop: Header=BB4_1868 Depth=2
	s_or_b32 exec_lo, exec_lo, s26
	s_waitcnt vmcnt(0)
	v_cmp_gt_i16_sdwa s26, v10, v96 src0_sel:BYTE_0 src1_sel:DWORD
	s_mov_b32 s12, 0
	s_and_saveexec_b32 s27, s26
	s_xor_b32 s26, exec_lo, s27
	s_cbranch_execz .LBB4_2572
; %bb.2195:                             ;   in Loop: Header=BB4_1868 Depth=2
	v_cmp_eq_u16_sdwa s28, v10, v97 src0_sel:BYTE_0 src1_sel:DWORD
	s_mov_b32 s12, -1
	s_and_saveexec_b32 s27, s28
; %bb.2196:                             ;   in Loop: Header=BB4_1868 Depth=2
	s_xor_b32 s12, exec_lo, -1
; %bb.2197:                             ;   in Loop: Header=BB4_1868 Depth=2
	s_or_b32 exec_lo, exec_lo, s27
	s_and_b32 s12, s12, exec_lo
	s_or_saveexec_b32 s26, s26
	v_mov_b32_e32 v45, 0x7f800001
	s_xor_b32 exec_lo, exec_lo, s26
	s_cbranch_execnz .LBB4_2573
.LBB4_2198:                             ;   in Loop: Header=BB4_1868 Depth=2
	s_or_b32 exec_lo, exec_lo, s26
	s_and_saveexec_b32 s26, s12
	s_cbranch_execz .LBB4_2200
.LBB4_2199:                             ;   in Loop: Header=BB4_1868 Depth=2
	v_and_b32_e32 v45, 7, v10
	v_bfe_u32 v56, v10, 3, 4
	v_lshlrev_b32_e32 v57, 24, v10
	v_ffbh_u32_e32 v46, v45
	v_cmp_eq_u32_e32 vcc_lo, 0, v56
	v_min_u32_e32 v46, 32, v46
	v_subrev_nc_u32_e32 v47, 28, v46
	v_sub_nc_u32_e32 v46, 29, v46
	v_lshlrev_b32_e32 v47, v47, v10
	v_cndmask_b32_e32 v46, v56, v46, vcc_lo
	v_and_b32_e32 v47, 7, v47
	v_lshl_add_u32 v46, v46, 23, 0x3b800000
	v_cndmask_b32_e32 v45, v45, v47, vcc_lo
	v_and_b32_e32 v47, 0x80000000, v57
	v_lshlrev_b32_e32 v45, 20, v45
	v_or3_b32 v45, v47, v46, v45
.LBB4_2200:                             ;   in Loop: Header=BB4_1868 Depth=2
	s_or_b32 exec_lo, exec_lo, s26
	v_add_f32_e32 v45, v25, v45
	v_and_b32_e32 v25, 0x7f800000, v45
	v_cmp_ne_u32_e32 vcc_lo, 0x7f800000, v25
	v_mov_b32_e32 v25, 0x80
	s_and_saveexec_b32 s26, vcc_lo
	s_cbranch_execz .LBB4_2208
; %bb.2201:                             ;   in Loop: Header=BB4_1868 Depth=2
	v_mov_b32_e32 v25, 0
	s_mov_b32 s27, exec_lo
	v_cmpx_ne_u32_e32 0, v45
	s_cbranch_execz .LBB4_2207
; %bb.2202:                             ;   in Loop: Header=BB4_1868 Depth=2
	v_bfe_u32 v25, v45, 23, 8
	v_and_b32_e32 v46, 0x7fffff, v45
	v_sub_nc_u32_e32 v47, 0x78, v25
	v_cmp_gt_u32_e32 vcc_lo, 0x79, v25
	v_or_b32_e32 v56, 0x800000, v46
	v_cndmask_b32_e32 v47, 0, v47, vcc_lo
	v_cmp_eq_u32_e32 vcc_lo, 0, v25
	v_add_nc_u32_e32 v25, 0xffffff89, v25
	v_cndmask_b32_e64 v47, v47, 0x77, vcc_lo
	v_cndmask_b32_e32 v46, v56, v46, vcc_lo
	v_cndmask_b32_e64 v25, v25, 0xffffff8a, vcc_lo
	v_lshl_add_u32 v56, 0x100000, v47, -1
	v_lshrrev_b32_e32 v57, v47, v46
	v_lshlrev_b32_e64 v59, v47, 0x80000
	v_add_nc_u32_e32 v47, v47, v25
	v_and_b32_e32 v46, v56, v46
	v_bfe_u32 v58, v57, 20, 1
	v_cmp_eq_u32_e64 s12, v46, v59
	v_add_nc_u32_e32 v56, -1, v58
	v_cndmask_b32_e64 v46, 0, v56, s12
	v_lshrrev_b32_e32 v56, 23, v57
	s_mov_b32 s12, exec_lo
	v_add_nc_u32_e32 v46, v46, v57
	v_xor_b32_e32 v56, 1, v56
	v_and_b32_e32 v25, 0xfffff, v46
	v_add_nc_u32_e32 v46, v25, v57
                                        ; implicit-def: $vgpr25
	v_cmpx_ne_u32_e64 v47, v56
	s_xor_b32 s12, exec_lo, s12
; %bb.2203:                             ;   in Loop: Header=BB4_1868 Depth=2
	v_cmp_lt_u32_e32 vcc_lo, 0xffffff, v46
	v_sub_nc_u32_e32 v25, v47, v56
	v_cndmask_b32_e64 v47, 0, 1, vcc_lo
	v_add_co_ci_u32_e64 v25, null, 0, v25, vcc_lo
	v_lshrrev_b32_e32 v46, v47, v46
; %bb.2204:                             ;   in Loop: Header=BB4_1868 Depth=2
	s_andn2_saveexec_b32 s12, s12
; %bb.2205:                             ;   in Loop: Header=BB4_1868 Depth=2
	v_bfe_u32 v25, v46, 23, 1
; %bb.2206:                             ;   in Loop: Header=BB4_1868 Depth=2
	s_or_b32 exec_lo, exec_lo, s12
	v_lshrrev_b32_e32 v46, 20, v46
	v_min_i32_e32 v47, 15, v25
	v_cmp_gt_i32_e32 vcc_lo, 16, v25
	v_and_b32_sdwa v45, v45, v97 dst_sel:DWORD dst_unused:UNUSED_PAD src0_sel:BYTE_3 src1_sel:DWORD
	v_lshlrev_b32_e32 v47, 3, v47
	v_cndmask_b32_e32 v46, 7, v46, vcc_lo
	v_and_b32_e32 v47, 0xf8, v47
	v_and_b32_e32 v56, 7, v46
	v_or_b32_e32 v25, v25, v46
	v_or3_b32 v45, v47, v45, v56
	v_cmp_ne_u32_e32 vcc_lo, 0, v25
	v_cndmask_b32_e32 v25, 0, v45, vcc_lo
.LBB4_2207:                             ;   in Loop: Header=BB4_1868 Depth=2
	s_or_b32 exec_lo, exec_lo, s27
.LBB4_2208:                             ;   in Loop: Header=BB4_1868 Depth=2
	s_or_b32 exec_lo, exec_lo, s26
	v_cmp_gt_i16_sdwa s26, v14, v96 src0_sel:BYTE_1 src1_sel:DWORD
	s_mov_b32 s12, 0
	s_and_saveexec_b32 s27, s26
	s_xor_b32 s26, exec_lo, s27
	s_cbranch_execz .LBB4_2574
; %bb.2209:                             ;   in Loop: Header=BB4_1868 Depth=2
	v_cmp_eq_u16_sdwa s28, v14, v97 src0_sel:BYTE_1 src1_sel:DWORD
	s_mov_b32 s12, -1
	s_and_saveexec_b32 s27, s28
; %bb.2210:                             ;   in Loop: Header=BB4_1868 Depth=2
	s_xor_b32 s12, exec_lo, -1
; %bb.2211:                             ;   in Loop: Header=BB4_1868 Depth=2
	s_or_b32 exec_lo, exec_lo, s27
	s_and_b32 s12, s12, exec_lo
	s_or_saveexec_b32 s26, s26
	v_mov_b32_e32 v45, 0x7f800001
	s_xor_b32 exec_lo, exec_lo, s26
	s_cbranch_execnz .LBB4_2575
.LBB4_2212:                             ;   in Loop: Header=BB4_1868 Depth=2
	s_or_b32 exec_lo, exec_lo, s26
	s_and_saveexec_b32 s26, s12
	s_cbranch_execz .LBB4_2214
.LBB4_2213:                             ;   in Loop: Header=BB4_1868 Depth=2
	v_and_b32_sdwa v45, v98, v14 dst_sel:DWORD dst_unused:UNUSED_PAD src0_sel:DWORD src1_sel:BYTE_1
	v_and_b32_e32 v46, 7, v45
	v_bfe_u32 v57, v45, 3, 4
	v_ffbh_u32_e32 v47, v46
	v_cmp_eq_u32_e32 vcc_lo, 0, v57
	v_min_u32_e32 v47, 32, v47
	v_subrev_nc_u32_e32 v56, 28, v47
	v_sub_nc_u32_e32 v47, 29, v47
	v_lshlrev_b32_e32 v45, v56, v45
	v_lshlrev_b32_sdwa v56, v100, v14 dst_sel:DWORD dst_unused:UNUSED_PAD src0_sel:DWORD src1_sel:BYTE_1
	v_cndmask_b32_e32 v47, v57, v47, vcc_lo
	v_and_b32_e32 v45, 7, v45
	v_lshl_add_u32 v47, v47, 23, 0x3b800000
	v_cndmask_b32_e32 v45, v46, v45, vcc_lo
	v_and_b32_e32 v46, 0x80000000, v56
	v_lshlrev_b32_e32 v45, 20, v45
	v_or3_b32 v45, v46, v47, v45
.LBB4_2214:                             ;   in Loop: Header=BB4_1868 Depth=2
	s_or_b32 exec_lo, exec_lo, s26
	v_cmp_gt_i16_sdwa s26, v10, v96 src0_sel:BYTE_1 src1_sel:DWORD
	s_mov_b32 s12, 0
	s_and_saveexec_b32 s27, s26
	s_xor_b32 s26, exec_lo, s27
	s_cbranch_execz .LBB4_2576
; %bb.2215:                             ;   in Loop: Header=BB4_1868 Depth=2
	v_cmp_eq_u16_sdwa s28, v10, v97 src0_sel:BYTE_1 src1_sel:DWORD
	s_mov_b32 s12, -1
	s_and_saveexec_b32 s27, s28
; %bb.2216:                             ;   in Loop: Header=BB4_1868 Depth=2
	s_xor_b32 s12, exec_lo, -1
; %bb.2217:                             ;   in Loop: Header=BB4_1868 Depth=2
	s_or_b32 exec_lo, exec_lo, s27
	s_and_b32 s12, s12, exec_lo
	s_or_saveexec_b32 s26, s26
	v_mov_b32_e32 v46, 0x7f800001
	s_xor_b32 exec_lo, exec_lo, s26
	s_cbranch_execnz .LBB4_2577
.LBB4_2218:                             ;   in Loop: Header=BB4_1868 Depth=2
	s_or_b32 exec_lo, exec_lo, s26
	s_and_saveexec_b32 s26, s12
	s_cbranch_execz .LBB4_2220
.LBB4_2219:                             ;   in Loop: Header=BB4_1868 Depth=2
	v_and_b32_sdwa v46, v98, v10 dst_sel:DWORD dst_unused:UNUSED_PAD src0_sel:DWORD src1_sel:BYTE_1
	v_and_b32_e32 v47, 7, v46
	v_bfe_u32 v58, v46, 3, 4
	v_ffbh_u32_e32 v56, v47
	v_cmp_eq_u32_e32 vcc_lo, 0, v58
	v_min_u32_e32 v56, 32, v56
	v_subrev_nc_u32_e32 v57, 28, v56
	v_sub_nc_u32_e32 v56, 29, v56
	v_lshlrev_b32_e32 v46, v57, v46
	v_lshlrev_b32_sdwa v57, v100, v10 dst_sel:DWORD dst_unused:UNUSED_PAD src0_sel:DWORD src1_sel:BYTE_1
	v_cndmask_b32_e32 v56, v58, v56, vcc_lo
	v_and_b32_e32 v46, 7, v46
	v_lshl_add_u32 v56, v56, 23, 0x3b800000
	v_cndmask_b32_e32 v46, v47, v46, vcc_lo
	v_and_b32_e32 v47, 0x80000000, v57
	v_lshlrev_b32_e32 v46, 20, v46
	v_or3_b32 v46, v47, v56, v46
.LBB4_2220:                             ;   in Loop: Header=BB4_1868 Depth=2
	s_or_b32 exec_lo, exec_lo, s26
	v_add_f32_e32 v46, v45, v46
	v_and_b32_e32 v45, 0x7f800000, v46
	v_cmp_ne_u32_e32 vcc_lo, 0x7f800000, v45
	v_mov_b32_e32 v45, 0x8000
	s_and_saveexec_b32 s26, vcc_lo
	s_cbranch_execz .LBB4_2228
; %bb.2221:                             ;   in Loop: Header=BB4_1868 Depth=2
	v_mov_b32_e32 v45, 0
	s_mov_b32 s27, exec_lo
	v_cmpx_ne_u32_e32 0, v46
	s_cbranch_execz .LBB4_2227
; %bb.2222:                             ;   in Loop: Header=BB4_1868 Depth=2
	v_bfe_u32 v45, v46, 23, 8
	v_and_b32_e32 v47, 0x7fffff, v46
	v_sub_nc_u32_e32 v56, 0x78, v45
	v_cmp_gt_u32_e32 vcc_lo, 0x79, v45
	v_or_b32_e32 v57, 0x800000, v47
	v_cndmask_b32_e32 v56, 0, v56, vcc_lo
	v_cmp_eq_u32_e32 vcc_lo, 0, v45
	v_add_nc_u32_e32 v45, 0xffffff89, v45
	v_cndmask_b32_e64 v56, v56, 0x77, vcc_lo
	v_cndmask_b32_e32 v47, v57, v47, vcc_lo
	v_cndmask_b32_e64 v45, v45, 0xffffff8a, vcc_lo
	v_lshl_add_u32 v57, 0x100000, v56, -1
	v_lshrrev_b32_e32 v58, v56, v47
	v_lshlrev_b32_e64 v60, v56, 0x80000
	v_add_nc_u32_e32 v56, v56, v45
	v_and_b32_e32 v47, v57, v47
	v_bfe_u32 v59, v58, 20, 1
	v_cmp_eq_u32_e64 s12, v47, v60
	v_add_nc_u32_e32 v57, -1, v59
	v_cndmask_b32_e64 v47, 0, v57, s12
	v_lshrrev_b32_e32 v57, 23, v58
	s_mov_b32 s12, exec_lo
	v_add_nc_u32_e32 v47, v47, v58
	v_xor_b32_e32 v57, 1, v57
	v_and_b32_e32 v45, 0xfffff, v47
	v_add_nc_u32_e32 v47, v45, v58
                                        ; implicit-def: $vgpr45
	v_cmpx_ne_u32_e64 v56, v57
	s_xor_b32 s12, exec_lo, s12
; %bb.2223:                             ;   in Loop: Header=BB4_1868 Depth=2
	v_cmp_lt_u32_e32 vcc_lo, 0xffffff, v47
	v_sub_nc_u32_e32 v45, v56, v57
	v_cndmask_b32_e64 v56, 0, 1, vcc_lo
	v_add_co_ci_u32_e64 v45, null, 0, v45, vcc_lo
	v_lshrrev_b32_e32 v47, v56, v47
; %bb.2224:                             ;   in Loop: Header=BB4_1868 Depth=2
	s_andn2_saveexec_b32 s12, s12
; %bb.2225:                             ;   in Loop: Header=BB4_1868 Depth=2
	v_bfe_u32 v45, v47, 23, 1
; %bb.2226:                             ;   in Loop: Header=BB4_1868 Depth=2
	s_or_b32 exec_lo, exec_lo, s12
	v_lshrrev_b32_e32 v47, 20, v47
	v_min_i32_e32 v56, 15, v45
	v_cmp_gt_i32_e32 vcc_lo, 16, v45
	v_and_b32_sdwa v46, v46, v97 dst_sel:DWORD dst_unused:UNUSED_PAD src0_sel:BYTE_3 src1_sel:DWORD
	v_lshlrev_b32_e32 v56, 3, v56
	v_cndmask_b32_e32 v47, 7, v47, vcc_lo
	v_and_b32_e32 v56, 0xf8, v56
	v_and_b32_e32 v57, 7, v47
	v_or_b32_e32 v45, v45, v47
	v_or3_b32 v46, v46, v56, v57
	v_cmp_ne_u32_e32 vcc_lo, 0, v45
	v_lshlrev_b32_e32 v46, 8, v46
	v_cndmask_b32_e32 v45, 0, v46, vcc_lo
.LBB4_2227:                             ;   in Loop: Header=BB4_1868 Depth=2
	s_or_b32 exec_lo, exec_lo, s27
.LBB4_2228:                             ;   in Loop: Header=BB4_1868 Depth=2
	s_or_b32 exec_lo, exec_lo, s26
	v_and_b32_sdwa v47, v14, v113 dst_sel:DWORD dst_unused:UNUSED_PAD src0_sel:WORD_1 src1_sel:DWORD
	s_mov_b32 s12, 0
	s_mov_b32 s26, exec_lo
	v_cmpx_lt_i16_e32 0x7f, v47
	s_xor_b32 s26, exec_lo, s26
	s_cbranch_execz .LBB4_2578
; %bb.2229:                             ;   in Loop: Header=BB4_1868 Depth=2
	s_mov_b32 s12, -1
	s_mov_b32 s27, exec_lo
	v_cmpx_eq_u16_e32 0x80, v47
; %bb.2230:                             ;   in Loop: Header=BB4_1868 Depth=2
	s_xor_b32 s12, exec_lo, -1
; %bb.2231:                             ;   in Loop: Header=BB4_1868 Depth=2
	s_or_b32 exec_lo, exec_lo, s27
	s_and_b32 s12, s12, exec_lo
                                        ; implicit-def: $vgpr47
	s_or_saveexec_b32 s26, s26
	v_mov_b32_e32 v46, 0x7f800001
	s_xor_b32 exec_lo, exec_lo, s26
	s_cbranch_execnz .LBB4_2579
.LBB4_2232:                             ;   in Loop: Header=BB4_1868 Depth=2
	s_or_b32 exec_lo, exec_lo, s26
	s_and_saveexec_b32 s26, s12
	s_cbranch_execz .LBB4_2234
.LBB4_2233:                             ;   in Loop: Header=BB4_1868 Depth=2
	v_bfe_u32 v46, v14, 16, 3
	v_bfe_u32 v57, v14, 19, 4
	v_lshlrev_b32_e32 v58, 8, v14
	v_ffbh_u32_e32 v47, v46
	v_cmp_eq_u32_e32 vcc_lo, 0, v57
	v_min_u32_e32 v47, 32, v47
	v_subrev_nc_u32_e32 v56, 28, v47
	v_sub_nc_u32_e32 v47, 29, v47
	v_lshlrev_b32_sdwa v56, v56, v14 dst_sel:DWORD dst_unused:UNUSED_PAD src0_sel:DWORD src1_sel:WORD_1
	v_cndmask_b32_e32 v47, v57, v47, vcc_lo
	v_and_b32_e32 v56, 7, v56
	v_lshl_add_u32 v47, v47, 23, 0x3b800000
	v_cndmask_b32_e32 v46, v46, v56, vcc_lo
	v_and_b32_e32 v56, 0x80000000, v58
	v_lshlrev_b32_e32 v46, 20, v46
	v_or3_b32 v46, v56, v47, v46
.LBB4_2234:                             ;   in Loop: Header=BB4_1868 Depth=2
	s_or_b32 exec_lo, exec_lo, s26
	v_and_b32_sdwa v56, v10, v113 dst_sel:DWORD dst_unused:UNUSED_PAD src0_sel:WORD_1 src1_sel:DWORD
	s_mov_b32 s12, 0
	s_mov_b32 s26, exec_lo
	v_cmpx_lt_i16_e32 0x7f, v56
	s_xor_b32 s26, exec_lo, s26
	s_cbranch_execz .LBB4_2580
; %bb.2235:                             ;   in Loop: Header=BB4_1868 Depth=2
	s_mov_b32 s12, -1
	s_mov_b32 s27, exec_lo
	v_cmpx_eq_u16_e32 0x80, v56
; %bb.2236:                             ;   in Loop: Header=BB4_1868 Depth=2
	s_xor_b32 s12, exec_lo, -1
; %bb.2237:                             ;   in Loop: Header=BB4_1868 Depth=2
	s_or_b32 exec_lo, exec_lo, s27
	s_and_b32 s12, s12, exec_lo
                                        ; implicit-def: $vgpr56
	s_or_saveexec_b32 s26, s26
	v_mov_b32_e32 v47, 0x7f800001
	s_xor_b32 exec_lo, exec_lo, s26
	s_cbranch_execnz .LBB4_2581
.LBB4_2238:                             ;   in Loop: Header=BB4_1868 Depth=2
	s_or_b32 exec_lo, exec_lo, s26
	s_and_saveexec_b32 s26, s12
	s_cbranch_execz .LBB4_2240
.LBB4_2239:                             ;   in Loop: Header=BB4_1868 Depth=2
	v_bfe_u32 v47, v10, 16, 3
	v_bfe_u32 v58, v10, 19, 4
	v_lshlrev_b32_e32 v59, 8, v10
	v_ffbh_u32_e32 v56, v47
	v_cmp_eq_u32_e32 vcc_lo, 0, v58
	v_min_u32_e32 v56, 32, v56
	v_subrev_nc_u32_e32 v57, 28, v56
	v_sub_nc_u32_e32 v56, 29, v56
	v_lshlrev_b32_sdwa v57, v57, v10 dst_sel:DWORD dst_unused:UNUSED_PAD src0_sel:DWORD src1_sel:WORD_1
	v_cndmask_b32_e32 v56, v58, v56, vcc_lo
	v_and_b32_e32 v57, 7, v57
	v_lshl_add_u32 v56, v56, 23, 0x3b800000
	v_cndmask_b32_e32 v47, v47, v57, vcc_lo
	v_and_b32_e32 v57, 0x80000000, v59
	v_lshlrev_b32_e32 v47, 20, v47
	v_or3_b32 v47, v57, v56, v47
.LBB4_2240:                             ;   in Loop: Header=BB4_1868 Depth=2
	s_or_b32 exec_lo, exec_lo, s26
	v_add_f32_e32 v47, v46, v47
	v_and_b32_e32 v46, 0x7f800000, v47
	v_cmp_ne_u32_e32 vcc_lo, 0x7f800000, v46
	v_mov_b32_e32 v46, 0x80
	s_and_saveexec_b32 s26, vcc_lo
	s_cbranch_execz .LBB4_2248
; %bb.2241:                             ;   in Loop: Header=BB4_1868 Depth=2
	v_mov_b32_e32 v46, 0
	s_mov_b32 s27, exec_lo
	v_cmpx_ne_u32_e32 0, v47
	s_cbranch_execz .LBB4_2247
; %bb.2242:                             ;   in Loop: Header=BB4_1868 Depth=2
	v_bfe_u32 v46, v47, 23, 8
	v_and_b32_e32 v56, 0x7fffff, v47
	v_sub_nc_u32_e32 v57, 0x78, v46
	v_cmp_gt_u32_e32 vcc_lo, 0x79, v46
	v_or_b32_e32 v58, 0x800000, v56
	v_cndmask_b32_e32 v57, 0, v57, vcc_lo
	v_cmp_eq_u32_e32 vcc_lo, 0, v46
	v_add_nc_u32_e32 v46, 0xffffff89, v46
	v_cndmask_b32_e64 v57, v57, 0x77, vcc_lo
	v_cndmask_b32_e32 v56, v58, v56, vcc_lo
	v_cndmask_b32_e64 v46, v46, 0xffffff8a, vcc_lo
	v_lshl_add_u32 v58, 0x100000, v57, -1
	v_lshrrev_b32_e32 v59, v57, v56
	v_lshlrev_b32_e64 v61, v57, 0x80000
	v_add_nc_u32_e32 v57, v57, v46
	v_and_b32_e32 v56, v58, v56
	v_bfe_u32 v60, v59, 20, 1
	v_cmp_eq_u32_e64 s12, v56, v61
	v_add_nc_u32_e32 v58, -1, v60
	v_cndmask_b32_e64 v56, 0, v58, s12
	v_lshrrev_b32_e32 v58, 23, v59
	s_mov_b32 s12, exec_lo
	v_add_nc_u32_e32 v56, v56, v59
	v_xor_b32_e32 v58, 1, v58
	v_and_b32_e32 v46, 0xfffff, v56
	v_add_nc_u32_e32 v56, v46, v59
                                        ; implicit-def: $vgpr46
	v_cmpx_ne_u32_e64 v57, v58
	s_xor_b32 s12, exec_lo, s12
; %bb.2243:                             ;   in Loop: Header=BB4_1868 Depth=2
	v_cmp_lt_u32_e32 vcc_lo, 0xffffff, v56
	v_sub_nc_u32_e32 v46, v57, v58
	v_cndmask_b32_e64 v57, 0, 1, vcc_lo
	v_add_co_ci_u32_e64 v46, null, 0, v46, vcc_lo
	v_lshrrev_b32_e32 v56, v57, v56
; %bb.2244:                             ;   in Loop: Header=BB4_1868 Depth=2
	s_andn2_saveexec_b32 s12, s12
; %bb.2245:                             ;   in Loop: Header=BB4_1868 Depth=2
	v_bfe_u32 v46, v56, 23, 1
; %bb.2246:                             ;   in Loop: Header=BB4_1868 Depth=2
	s_or_b32 exec_lo, exec_lo, s12
	v_lshrrev_b32_e32 v56, 20, v56
	v_min_i32_e32 v57, 15, v46
	v_cmp_gt_i32_e32 vcc_lo, 16, v46
	v_and_b32_sdwa v47, v47, v97 dst_sel:DWORD dst_unused:UNUSED_PAD src0_sel:BYTE_3 src1_sel:DWORD
	v_lshlrev_b32_e32 v57, 3, v57
	v_cndmask_b32_e32 v56, 7, v56, vcc_lo
	v_and_b32_e32 v57, 0xf8, v57
	v_and_b32_e32 v58, 7, v56
	v_or_b32_e32 v46, v46, v56
	v_or3_b32 v47, v57, v47, v58
	v_cmp_ne_u32_e32 vcc_lo, 0, v46
	v_cndmask_b32_e32 v46, 0, v47, vcc_lo
.LBB4_2247:                             ;   in Loop: Header=BB4_1868 Depth=2
	s_or_b32 exec_lo, exec_lo, s27
.LBB4_2248:                             ;   in Loop: Header=BB4_1868 Depth=2
	s_or_b32 exec_lo, exec_lo, s26
	v_cmp_gt_i16_sdwa s26, v14, v96 src0_sel:BYTE_3 src1_sel:DWORD
	s_mov_b32 s12, 0
	s_and_saveexec_b32 s27, s26
	s_xor_b32 s26, exec_lo, s27
	s_cbranch_execz .LBB4_2582
; %bb.2249:                             ;   in Loop: Header=BB4_1868 Depth=2
	v_cmp_eq_u16_sdwa s28, v14, v97 src0_sel:BYTE_3 src1_sel:DWORD
	s_mov_b32 s12, -1
	s_and_saveexec_b32 s27, s28
; %bb.2250:                             ;   in Loop: Header=BB4_1868 Depth=2
	s_xor_b32 s12, exec_lo, -1
; %bb.2251:                             ;   in Loop: Header=BB4_1868 Depth=2
	s_or_b32 exec_lo, exec_lo, s27
	s_and_b32 s12, s12, exec_lo
	s_or_saveexec_b32 s26, s26
	v_mov_b32_e32 v47, 0x7f800001
	s_xor_b32 exec_lo, exec_lo, s26
	s_cbranch_execnz .LBB4_2583
.LBB4_2252:                             ;   in Loop: Header=BB4_1868 Depth=2
	s_or_b32 exec_lo, exec_lo, s26
	s_and_saveexec_b32 s26, s12
	s_cbranch_execz .LBB4_2254
.LBB4_2253:                             ;   in Loop: Header=BB4_1868 Depth=2
	v_bfe_u32 v47, v14, 24, 3
	v_bfe_u32 v58, v14, 27, 4
	v_ffbh_u32_e32 v56, v47
	v_cmp_eq_u32_e32 vcc_lo, 0, v58
	v_min_u32_e32 v56, 32, v56
	v_subrev_nc_u32_e32 v57, 28, v56
	v_sub_nc_u32_e32 v56, 29, v56
	v_lshlrev_b32_sdwa v57, v57, v14 dst_sel:DWORD dst_unused:UNUSED_PAD src0_sel:DWORD src1_sel:BYTE_3
	v_cndmask_b32_e32 v56, v58, v56, vcc_lo
	v_and_b32_e32 v14, 0x80000000, v14
	v_and_b32_e32 v57, 7, v57
	v_lshl_add_u32 v56, v56, 23, 0x3b800000
	v_cndmask_b32_e32 v47, v47, v57, vcc_lo
	v_lshlrev_b32_e32 v47, 20, v47
	v_or3_b32 v47, v14, v56, v47
.LBB4_2254:                             ;   in Loop: Header=BB4_1868 Depth=2
	s_or_b32 exec_lo, exec_lo, s26
	v_cmp_gt_i16_sdwa s26, v10, v96 src0_sel:BYTE_3 src1_sel:DWORD
	s_mov_b32 s12, 0
	s_and_saveexec_b32 s27, s26
	s_xor_b32 s26, exec_lo, s27
	s_cbranch_execz .LBB4_2584
; %bb.2255:                             ;   in Loop: Header=BB4_1868 Depth=2
	v_cmp_eq_u16_sdwa s28, v10, v97 src0_sel:BYTE_3 src1_sel:DWORD
	s_mov_b32 s12, -1
	s_and_saveexec_b32 s27, s28
; %bb.2256:                             ;   in Loop: Header=BB4_1868 Depth=2
	s_xor_b32 s12, exec_lo, -1
; %bb.2257:                             ;   in Loop: Header=BB4_1868 Depth=2
	s_or_b32 exec_lo, exec_lo, s27
	s_and_b32 s12, s12, exec_lo
	s_or_saveexec_b32 s26, s26
	v_mov_b32_e32 v14, 0x7f800001
	s_xor_b32 exec_lo, exec_lo, s26
	s_cbranch_execnz .LBB4_2585
.LBB4_2258:                             ;   in Loop: Header=BB4_1868 Depth=2
	s_or_b32 exec_lo, exec_lo, s26
	s_and_saveexec_b32 s26, s12
	s_cbranch_execz .LBB4_2260
.LBB4_2259:                             ;   in Loop: Header=BB4_1868 Depth=2
	v_bfe_u32 v14, v10, 24, 3
	v_bfe_u32 v58, v10, 27, 4
	v_ffbh_u32_e32 v56, v14
	v_cmp_eq_u32_e32 vcc_lo, 0, v58
	v_min_u32_e32 v56, 32, v56
	v_subrev_nc_u32_e32 v57, 28, v56
	v_sub_nc_u32_e32 v56, 29, v56
	v_lshlrev_b32_sdwa v57, v57, v10 dst_sel:DWORD dst_unused:UNUSED_PAD src0_sel:DWORD src1_sel:BYTE_3
	v_cndmask_b32_e32 v56, v58, v56, vcc_lo
	v_and_b32_e32 v10, 0x80000000, v10
	v_and_b32_e32 v57, 7, v57
	v_lshl_add_u32 v56, v56, 23, 0x3b800000
	v_cndmask_b32_e32 v14, v14, v57, vcc_lo
	v_lshlrev_b32_e32 v14, 20, v14
	v_or3_b32 v14, v10, v56, v14
.LBB4_2260:                             ;   in Loop: Header=BB4_1868 Depth=2
	s_or_b32 exec_lo, exec_lo, s26
	v_add_f32_e32 v14, v47, v14
	v_and_b32_e32 v10, 0x7f800000, v14
	v_cmp_ne_u32_e32 vcc_lo, 0x7f800000, v10
	v_mov_b32_e32 v10, 0x8000
	s_and_saveexec_b32 s26, vcc_lo
	s_cbranch_execz .LBB4_2268
; %bb.2261:                             ;   in Loop: Header=BB4_1868 Depth=2
	v_mov_b32_e32 v10, 0
	s_mov_b32 s27, exec_lo
	v_cmpx_ne_u32_e32 0, v14
	s_cbranch_execz .LBB4_2267
; %bb.2262:                             ;   in Loop: Header=BB4_1868 Depth=2
	v_bfe_u32 v10, v14, 23, 8
	v_and_b32_e32 v47, 0x7fffff, v14
	v_sub_nc_u32_e32 v56, 0x78, v10
	v_cmp_gt_u32_e32 vcc_lo, 0x79, v10
	v_or_b32_e32 v57, 0x800000, v47
	v_cndmask_b32_e32 v56, 0, v56, vcc_lo
	v_cmp_eq_u32_e32 vcc_lo, 0, v10
	v_add_nc_u32_e32 v10, 0xffffff89, v10
	v_cndmask_b32_e64 v56, v56, 0x77, vcc_lo
	v_cndmask_b32_e32 v47, v57, v47, vcc_lo
	v_cndmask_b32_e64 v10, v10, 0xffffff8a, vcc_lo
	v_lshl_add_u32 v57, 0x100000, v56, -1
	v_lshrrev_b32_e32 v58, v56, v47
	v_lshlrev_b32_e64 v60, v56, 0x80000
	v_add_nc_u32_e32 v56, v56, v10
	v_and_b32_e32 v47, v57, v47
	v_bfe_u32 v59, v58, 20, 1
	v_cmp_eq_u32_e64 s12, v47, v60
	v_add_nc_u32_e32 v57, -1, v59
	v_cndmask_b32_e64 v47, 0, v57, s12
	v_lshrrev_b32_e32 v57, 23, v58
	s_mov_b32 s12, exec_lo
	v_add_nc_u32_e32 v47, v47, v58
	v_xor_b32_e32 v57, 1, v57
	v_and_b32_e32 v10, 0xfffff, v47
	v_add_nc_u32_e32 v47, v10, v58
                                        ; implicit-def: $vgpr10
	v_cmpx_ne_u32_e64 v56, v57
	s_xor_b32 s12, exec_lo, s12
; %bb.2263:                             ;   in Loop: Header=BB4_1868 Depth=2
	v_cmp_lt_u32_e32 vcc_lo, 0xffffff, v47
	v_sub_nc_u32_e32 v10, v56, v57
	v_cndmask_b32_e64 v56, 0, 1, vcc_lo
	v_add_co_ci_u32_e64 v10, null, 0, v10, vcc_lo
	v_lshrrev_b32_e32 v47, v56, v47
; %bb.2264:                             ;   in Loop: Header=BB4_1868 Depth=2
	s_andn2_saveexec_b32 s12, s12
; %bb.2265:                             ;   in Loop: Header=BB4_1868 Depth=2
	v_bfe_u32 v10, v47, 23, 1
; %bb.2266:                             ;   in Loop: Header=BB4_1868 Depth=2
	s_or_b32 exec_lo, exec_lo, s12
	v_lshrrev_b32_e32 v47, 20, v47
	v_min_i32_e32 v56, 15, v10
	v_cmp_gt_i32_e32 vcc_lo, 16, v10
	v_and_b32_sdwa v14, v14, v97 dst_sel:DWORD dst_unused:UNUSED_PAD src0_sel:BYTE_3 src1_sel:DWORD
	v_lshlrev_b32_e32 v56, 3, v56
	v_cndmask_b32_e32 v47, 7, v47, vcc_lo
	v_and_b32_e32 v56, 0xf8, v56
	v_and_b32_e32 v57, 7, v47
	v_or_b32_e32 v10, v10, v47
	v_or3_b32 v14, v14, v56, v57
	v_cmp_ne_u32_e32 vcc_lo, 0, v10
	v_lshlrev_b32_e32 v14, 8, v14
	v_cndmask_b32_e32 v10, 0, v14, vcc_lo
.LBB4_2267:                             ;   in Loop: Header=BB4_1868 Depth=2
	s_or_b32 exec_lo, exec_lo, s27
.LBB4_2268:                             ;   in Loop: Header=BB4_1868 Depth=2
	s_or_b32 exec_lo, exec_lo, s26
	v_cmp_gt_i16_sdwa s26, v15, v96 src0_sel:BYTE_0 src1_sel:DWORD
	s_mov_b32 s12, 0
	s_and_saveexec_b32 s27, s26
	s_xor_b32 s26, exec_lo, s27
	s_cbranch_execz .LBB4_2586
; %bb.2269:                             ;   in Loop: Header=BB4_1868 Depth=2
	v_cmp_eq_u16_sdwa s28, v15, v97 src0_sel:BYTE_0 src1_sel:DWORD
	s_mov_b32 s12, -1
	s_and_saveexec_b32 s27, s28
; %bb.2270:                             ;   in Loop: Header=BB4_1868 Depth=2
	s_xor_b32 s12, exec_lo, -1
; %bb.2271:                             ;   in Loop: Header=BB4_1868 Depth=2
	s_or_b32 exec_lo, exec_lo, s27
	s_and_b32 s12, s12, exec_lo
	s_or_saveexec_b32 s26, s26
	v_mov_b32_e32 v14, 0x7f800001
	s_xor_b32 exec_lo, exec_lo, s26
	s_cbranch_execnz .LBB4_2587
.LBB4_2272:                             ;   in Loop: Header=BB4_1868 Depth=2
	s_or_b32 exec_lo, exec_lo, s26
	s_and_saveexec_b32 s26, s12
	s_cbranch_execz .LBB4_2274
.LBB4_2273:                             ;   in Loop: Header=BB4_1868 Depth=2
	v_and_b32_e32 v14, 7, v15
	v_bfe_u32 v57, v15, 3, 4
	v_lshlrev_b32_e32 v58, 24, v15
	v_ffbh_u32_e32 v47, v14
	v_cmp_eq_u32_e32 vcc_lo, 0, v57
	v_min_u32_e32 v47, 32, v47
	v_subrev_nc_u32_e32 v56, 28, v47
	v_sub_nc_u32_e32 v47, 29, v47
	v_lshlrev_b32_e32 v56, v56, v15
	v_cndmask_b32_e32 v47, v57, v47, vcc_lo
	v_and_b32_e32 v56, 7, v56
	v_lshl_add_u32 v47, v47, 23, 0x3b800000
	v_cndmask_b32_e32 v14, v14, v56, vcc_lo
	v_and_b32_e32 v56, 0x80000000, v58
	v_lshlrev_b32_e32 v14, 20, v14
	v_or3_b32 v14, v56, v47, v14
.LBB4_2274:                             ;   in Loop: Header=BB4_1868 Depth=2
	s_or_b32 exec_lo, exec_lo, s26
	v_cmp_gt_i16_sdwa s26, v11, v96 src0_sel:BYTE_0 src1_sel:DWORD
	s_mov_b32 s12, 0
	s_and_saveexec_b32 s27, s26
	s_xor_b32 s26, exec_lo, s27
	s_cbranch_execz .LBB4_2588
; %bb.2275:                             ;   in Loop: Header=BB4_1868 Depth=2
	v_cmp_eq_u16_sdwa s28, v11, v97 src0_sel:BYTE_0 src1_sel:DWORD
	s_mov_b32 s12, -1
	s_and_saveexec_b32 s27, s28
; %bb.2276:                             ;   in Loop: Header=BB4_1868 Depth=2
	s_xor_b32 s12, exec_lo, -1
; %bb.2277:                             ;   in Loop: Header=BB4_1868 Depth=2
	s_or_b32 exec_lo, exec_lo, s27
	s_and_b32 s12, s12, exec_lo
	s_or_saveexec_b32 s26, s26
	v_mov_b32_e32 v47, 0x7f800001
	s_xor_b32 exec_lo, exec_lo, s26
	s_cbranch_execnz .LBB4_2589
.LBB4_2278:                             ;   in Loop: Header=BB4_1868 Depth=2
	s_or_b32 exec_lo, exec_lo, s26
	s_and_saveexec_b32 s26, s12
	s_cbranch_execz .LBB4_2280
.LBB4_2279:                             ;   in Loop: Header=BB4_1868 Depth=2
	v_and_b32_e32 v47, 7, v11
	v_bfe_u32 v58, v11, 3, 4
	v_lshlrev_b32_e32 v59, 24, v11
	v_ffbh_u32_e32 v56, v47
	v_cmp_eq_u32_e32 vcc_lo, 0, v58
	v_min_u32_e32 v56, 32, v56
	v_subrev_nc_u32_e32 v57, 28, v56
	v_sub_nc_u32_e32 v56, 29, v56
	v_lshlrev_b32_e32 v57, v57, v11
	v_cndmask_b32_e32 v56, v58, v56, vcc_lo
	v_and_b32_e32 v57, 7, v57
	v_lshl_add_u32 v56, v56, 23, 0x3b800000
	v_cndmask_b32_e32 v47, v47, v57, vcc_lo
	v_and_b32_e32 v57, 0x80000000, v59
	v_lshlrev_b32_e32 v47, 20, v47
	v_or3_b32 v47, v57, v56, v47
.LBB4_2280:                             ;   in Loop: Header=BB4_1868 Depth=2
	s_or_b32 exec_lo, exec_lo, s26
	v_add_f32_e32 v47, v14, v47
	v_and_b32_e32 v14, 0x7f800000, v47
	v_cmp_ne_u32_e32 vcc_lo, 0x7f800000, v14
	v_mov_b32_e32 v14, 0x80
	s_and_saveexec_b32 s26, vcc_lo
	s_cbranch_execz .LBB4_2288
; %bb.2281:                             ;   in Loop: Header=BB4_1868 Depth=2
	v_mov_b32_e32 v14, 0
	s_mov_b32 s27, exec_lo
	v_cmpx_ne_u32_e32 0, v47
	s_cbranch_execz .LBB4_2287
; %bb.2282:                             ;   in Loop: Header=BB4_1868 Depth=2
	v_bfe_u32 v14, v47, 23, 8
	v_and_b32_e32 v56, 0x7fffff, v47
	v_sub_nc_u32_e32 v57, 0x78, v14
	v_cmp_gt_u32_e32 vcc_lo, 0x79, v14
	v_or_b32_e32 v58, 0x800000, v56
	v_cndmask_b32_e32 v57, 0, v57, vcc_lo
	v_cmp_eq_u32_e32 vcc_lo, 0, v14
	v_add_nc_u32_e32 v14, 0xffffff89, v14
	v_cndmask_b32_e64 v57, v57, 0x77, vcc_lo
	v_cndmask_b32_e32 v56, v58, v56, vcc_lo
	v_cndmask_b32_e64 v14, v14, 0xffffff8a, vcc_lo
	v_lshl_add_u32 v58, 0x100000, v57, -1
	v_lshrrev_b32_e32 v59, v57, v56
	v_lshlrev_b32_e64 v61, v57, 0x80000
	v_add_nc_u32_e32 v57, v57, v14
	v_and_b32_e32 v56, v58, v56
	v_bfe_u32 v60, v59, 20, 1
	v_cmp_eq_u32_e64 s12, v56, v61
	v_add_nc_u32_e32 v58, -1, v60
	v_cndmask_b32_e64 v56, 0, v58, s12
	v_lshrrev_b32_e32 v58, 23, v59
	s_mov_b32 s12, exec_lo
	v_add_nc_u32_e32 v56, v56, v59
	v_xor_b32_e32 v58, 1, v58
	v_and_b32_e32 v14, 0xfffff, v56
	v_add_nc_u32_e32 v56, v14, v59
                                        ; implicit-def: $vgpr14
	v_cmpx_ne_u32_e64 v57, v58
	s_xor_b32 s12, exec_lo, s12
; %bb.2283:                             ;   in Loop: Header=BB4_1868 Depth=2
	v_cmp_lt_u32_e32 vcc_lo, 0xffffff, v56
	v_sub_nc_u32_e32 v14, v57, v58
	v_cndmask_b32_e64 v57, 0, 1, vcc_lo
	v_add_co_ci_u32_e64 v14, null, 0, v14, vcc_lo
	v_lshrrev_b32_e32 v56, v57, v56
; %bb.2284:                             ;   in Loop: Header=BB4_1868 Depth=2
	s_andn2_saveexec_b32 s12, s12
; %bb.2285:                             ;   in Loop: Header=BB4_1868 Depth=2
	v_bfe_u32 v14, v56, 23, 1
; %bb.2286:                             ;   in Loop: Header=BB4_1868 Depth=2
	s_or_b32 exec_lo, exec_lo, s12
	v_lshrrev_b32_e32 v56, 20, v56
	v_min_i32_e32 v57, 15, v14
	v_cmp_gt_i32_e32 vcc_lo, 16, v14
	v_and_b32_sdwa v47, v47, v97 dst_sel:DWORD dst_unused:UNUSED_PAD src0_sel:BYTE_3 src1_sel:DWORD
	v_lshlrev_b32_e32 v57, 3, v57
	v_cndmask_b32_e32 v56, 7, v56, vcc_lo
	v_and_b32_e32 v57, 0xf8, v57
	v_and_b32_e32 v58, 7, v56
	v_or_b32_e32 v14, v14, v56
	v_or3_b32 v47, v57, v47, v58
	v_cmp_ne_u32_e32 vcc_lo, 0, v14
	v_cndmask_b32_e32 v14, 0, v47, vcc_lo
.LBB4_2287:                             ;   in Loop: Header=BB4_1868 Depth=2
	s_or_b32 exec_lo, exec_lo, s27
.LBB4_2288:                             ;   in Loop: Header=BB4_1868 Depth=2
	s_or_b32 exec_lo, exec_lo, s26
	v_cmp_gt_i16_sdwa s26, v15, v96 src0_sel:BYTE_1 src1_sel:DWORD
	s_mov_b32 s12, 0
	s_and_saveexec_b32 s27, s26
	s_xor_b32 s26, exec_lo, s27
	s_cbranch_execz .LBB4_2590
; %bb.2289:                             ;   in Loop: Header=BB4_1868 Depth=2
	v_cmp_eq_u16_sdwa s28, v15, v97 src0_sel:BYTE_1 src1_sel:DWORD
	s_mov_b32 s12, -1
	s_and_saveexec_b32 s27, s28
; %bb.2290:                             ;   in Loop: Header=BB4_1868 Depth=2
	s_xor_b32 s12, exec_lo, -1
; %bb.2291:                             ;   in Loop: Header=BB4_1868 Depth=2
	s_or_b32 exec_lo, exec_lo, s27
	s_and_b32 s12, s12, exec_lo
	s_or_saveexec_b32 s26, s26
	v_mov_b32_e32 v47, 0x7f800001
	s_xor_b32 exec_lo, exec_lo, s26
	s_cbranch_execnz .LBB4_2591
.LBB4_2292:                             ;   in Loop: Header=BB4_1868 Depth=2
	s_or_b32 exec_lo, exec_lo, s26
	s_and_saveexec_b32 s26, s12
	s_cbranch_execz .LBB4_2294
.LBB4_2293:                             ;   in Loop: Header=BB4_1868 Depth=2
	v_and_b32_sdwa v47, v98, v15 dst_sel:DWORD dst_unused:UNUSED_PAD src0_sel:DWORD src1_sel:BYTE_1
	v_and_b32_e32 v56, 7, v47
	v_bfe_u32 v59, v47, 3, 4
	v_ffbh_u32_e32 v57, v56
	v_cmp_eq_u32_e32 vcc_lo, 0, v59
	v_min_u32_e32 v57, 32, v57
	v_subrev_nc_u32_e32 v58, 28, v57
	v_sub_nc_u32_e32 v57, 29, v57
	v_lshlrev_b32_e32 v47, v58, v47
	v_lshlrev_b32_sdwa v58, v100, v15 dst_sel:DWORD dst_unused:UNUSED_PAD src0_sel:DWORD src1_sel:BYTE_1
	v_cndmask_b32_e32 v57, v59, v57, vcc_lo
	v_and_b32_e32 v47, 7, v47
	v_lshl_add_u32 v57, v57, 23, 0x3b800000
	v_cndmask_b32_e32 v47, v56, v47, vcc_lo
	v_and_b32_e32 v56, 0x80000000, v58
	v_lshlrev_b32_e32 v47, 20, v47
	v_or3_b32 v47, v56, v57, v47
.LBB4_2294:                             ;   in Loop: Header=BB4_1868 Depth=2
	s_or_b32 exec_lo, exec_lo, s26
	v_cmp_gt_i16_sdwa s26, v11, v96 src0_sel:BYTE_1 src1_sel:DWORD
	s_mov_b32 s12, 0
	s_and_saveexec_b32 s27, s26
	s_xor_b32 s26, exec_lo, s27
	s_cbranch_execz .LBB4_2592
; %bb.2295:                             ;   in Loop: Header=BB4_1868 Depth=2
	v_cmp_eq_u16_sdwa s28, v11, v97 src0_sel:BYTE_1 src1_sel:DWORD
	s_mov_b32 s12, -1
	s_and_saveexec_b32 s27, s28
; %bb.2296:                             ;   in Loop: Header=BB4_1868 Depth=2
	s_xor_b32 s12, exec_lo, -1
; %bb.2297:                             ;   in Loop: Header=BB4_1868 Depth=2
	s_or_b32 exec_lo, exec_lo, s27
	s_and_b32 s12, s12, exec_lo
	s_or_saveexec_b32 s26, s26
	v_mov_b32_e32 v56, 0x7f800001
	s_xor_b32 exec_lo, exec_lo, s26
	s_cbranch_execnz .LBB4_2593
.LBB4_2298:                             ;   in Loop: Header=BB4_1868 Depth=2
	s_or_b32 exec_lo, exec_lo, s26
	s_and_saveexec_b32 s26, s12
	s_cbranch_execz .LBB4_2300
.LBB4_2299:                             ;   in Loop: Header=BB4_1868 Depth=2
	v_and_b32_sdwa v56, v98, v11 dst_sel:DWORD dst_unused:UNUSED_PAD src0_sel:DWORD src1_sel:BYTE_1
	v_and_b32_e32 v57, 7, v56
	v_bfe_u32 v60, v56, 3, 4
	v_ffbh_u32_e32 v58, v57
	v_cmp_eq_u32_e32 vcc_lo, 0, v60
	v_min_u32_e32 v58, 32, v58
	v_subrev_nc_u32_e32 v59, 28, v58
	v_sub_nc_u32_e32 v58, 29, v58
	v_lshlrev_b32_e32 v56, v59, v56
	v_lshlrev_b32_sdwa v59, v100, v11 dst_sel:DWORD dst_unused:UNUSED_PAD src0_sel:DWORD src1_sel:BYTE_1
	v_cndmask_b32_e32 v58, v60, v58, vcc_lo
	v_and_b32_e32 v56, 7, v56
	v_lshl_add_u32 v58, v58, 23, 0x3b800000
	v_cndmask_b32_e32 v56, v57, v56, vcc_lo
	v_and_b32_e32 v57, 0x80000000, v59
	v_lshlrev_b32_e32 v56, 20, v56
	v_or3_b32 v56, v57, v58, v56
.LBB4_2300:                             ;   in Loop: Header=BB4_1868 Depth=2
	s_or_b32 exec_lo, exec_lo, s26
	v_add_f32_e32 v56, v47, v56
	v_and_b32_e32 v47, 0x7f800000, v56
	v_cmp_ne_u32_e32 vcc_lo, 0x7f800000, v47
	v_mov_b32_e32 v47, 0x8000
	s_and_saveexec_b32 s26, vcc_lo
	s_cbranch_execz .LBB4_2308
; %bb.2301:                             ;   in Loop: Header=BB4_1868 Depth=2
	v_mov_b32_e32 v47, 0
	s_mov_b32 s27, exec_lo
	v_cmpx_ne_u32_e32 0, v56
	s_cbranch_execz .LBB4_2307
; %bb.2302:                             ;   in Loop: Header=BB4_1868 Depth=2
	v_bfe_u32 v47, v56, 23, 8
	v_and_b32_e32 v57, 0x7fffff, v56
	v_sub_nc_u32_e32 v58, 0x78, v47
	v_cmp_gt_u32_e32 vcc_lo, 0x79, v47
	v_or_b32_e32 v59, 0x800000, v57
	v_cndmask_b32_e32 v58, 0, v58, vcc_lo
	v_cmp_eq_u32_e32 vcc_lo, 0, v47
	v_add_nc_u32_e32 v47, 0xffffff89, v47
	v_cndmask_b32_e64 v58, v58, 0x77, vcc_lo
	v_cndmask_b32_e32 v57, v59, v57, vcc_lo
	v_cndmask_b32_e64 v47, v47, 0xffffff8a, vcc_lo
	v_lshl_add_u32 v59, 0x100000, v58, -1
	v_lshrrev_b32_e32 v60, v58, v57
	v_lshlrev_b32_e64 v62, v58, 0x80000
	v_add_nc_u32_e32 v58, v58, v47
	v_and_b32_e32 v57, v59, v57
	v_bfe_u32 v61, v60, 20, 1
	v_cmp_eq_u32_e64 s12, v57, v62
	v_add_nc_u32_e32 v59, -1, v61
	v_cndmask_b32_e64 v57, 0, v59, s12
	v_lshrrev_b32_e32 v59, 23, v60
	s_mov_b32 s12, exec_lo
	v_add_nc_u32_e32 v57, v57, v60
	v_xor_b32_e32 v59, 1, v59
	v_and_b32_e32 v47, 0xfffff, v57
	v_add_nc_u32_e32 v57, v47, v60
                                        ; implicit-def: $vgpr47
	v_cmpx_ne_u32_e64 v58, v59
	s_xor_b32 s12, exec_lo, s12
; %bb.2303:                             ;   in Loop: Header=BB4_1868 Depth=2
	v_cmp_lt_u32_e32 vcc_lo, 0xffffff, v57
	v_sub_nc_u32_e32 v47, v58, v59
	v_cndmask_b32_e64 v58, 0, 1, vcc_lo
	v_add_co_ci_u32_e64 v47, null, 0, v47, vcc_lo
	v_lshrrev_b32_e32 v57, v58, v57
; %bb.2304:                             ;   in Loop: Header=BB4_1868 Depth=2
	s_andn2_saveexec_b32 s12, s12
; %bb.2305:                             ;   in Loop: Header=BB4_1868 Depth=2
	v_bfe_u32 v47, v57, 23, 1
; %bb.2306:                             ;   in Loop: Header=BB4_1868 Depth=2
	s_or_b32 exec_lo, exec_lo, s12
	v_lshrrev_b32_e32 v57, 20, v57
	v_min_i32_e32 v58, 15, v47
	v_cmp_gt_i32_e32 vcc_lo, 16, v47
	v_and_b32_sdwa v56, v56, v97 dst_sel:DWORD dst_unused:UNUSED_PAD src0_sel:BYTE_3 src1_sel:DWORD
	v_lshlrev_b32_e32 v58, 3, v58
	v_cndmask_b32_e32 v57, 7, v57, vcc_lo
	v_and_b32_e32 v58, 0xf8, v58
	v_and_b32_e32 v59, 7, v57
	v_or_b32_e32 v47, v47, v57
	v_or3_b32 v56, v56, v58, v59
	v_cmp_ne_u32_e32 vcc_lo, 0, v47
	v_lshlrev_b32_e32 v56, 8, v56
	v_cndmask_b32_e32 v47, 0, v56, vcc_lo
.LBB4_2307:                             ;   in Loop: Header=BB4_1868 Depth=2
	s_or_b32 exec_lo, exec_lo, s27
.LBB4_2308:                             ;   in Loop: Header=BB4_1868 Depth=2
	s_or_b32 exec_lo, exec_lo, s26
	v_and_b32_sdwa v57, v15, v113 dst_sel:DWORD dst_unused:UNUSED_PAD src0_sel:WORD_1 src1_sel:DWORD
	s_mov_b32 s12, 0
	s_mov_b32 s26, exec_lo
	v_cmpx_lt_i16_e32 0x7f, v57
	s_xor_b32 s26, exec_lo, s26
	s_cbranch_execz .LBB4_2594
; %bb.2309:                             ;   in Loop: Header=BB4_1868 Depth=2
	s_mov_b32 s12, -1
	s_mov_b32 s27, exec_lo
	v_cmpx_eq_u16_e32 0x80, v57
; %bb.2310:                             ;   in Loop: Header=BB4_1868 Depth=2
	s_xor_b32 s12, exec_lo, -1
; %bb.2311:                             ;   in Loop: Header=BB4_1868 Depth=2
	s_or_b32 exec_lo, exec_lo, s27
	s_and_b32 s12, s12, exec_lo
                                        ; implicit-def: $vgpr57
	s_or_saveexec_b32 s26, s26
	v_mov_b32_e32 v56, 0x7f800001
	s_xor_b32 exec_lo, exec_lo, s26
	s_cbranch_execnz .LBB4_2595
.LBB4_2312:                             ;   in Loop: Header=BB4_1868 Depth=2
	s_or_b32 exec_lo, exec_lo, s26
	s_and_saveexec_b32 s26, s12
	s_cbranch_execz .LBB4_2314
.LBB4_2313:                             ;   in Loop: Header=BB4_1868 Depth=2
	v_bfe_u32 v56, v15, 16, 3
	v_bfe_u32 v59, v15, 19, 4
	v_lshlrev_b32_e32 v60, 8, v15
	v_ffbh_u32_e32 v57, v56
	v_cmp_eq_u32_e32 vcc_lo, 0, v59
	v_min_u32_e32 v57, 32, v57
	v_subrev_nc_u32_e32 v58, 28, v57
	v_sub_nc_u32_e32 v57, 29, v57
	v_lshlrev_b32_sdwa v58, v58, v15 dst_sel:DWORD dst_unused:UNUSED_PAD src0_sel:DWORD src1_sel:WORD_1
	v_cndmask_b32_e32 v57, v59, v57, vcc_lo
	v_and_b32_e32 v58, 7, v58
	v_lshl_add_u32 v57, v57, 23, 0x3b800000
	v_cndmask_b32_e32 v56, v56, v58, vcc_lo
	v_and_b32_e32 v58, 0x80000000, v60
	v_lshlrev_b32_e32 v56, 20, v56
	v_or3_b32 v56, v58, v57, v56
.LBB4_2314:                             ;   in Loop: Header=BB4_1868 Depth=2
	s_or_b32 exec_lo, exec_lo, s26
	v_and_b32_sdwa v58, v11, v113 dst_sel:DWORD dst_unused:UNUSED_PAD src0_sel:WORD_1 src1_sel:DWORD
	s_mov_b32 s12, 0
	s_mov_b32 s26, exec_lo
	v_cmpx_lt_i16_e32 0x7f, v58
	s_xor_b32 s26, exec_lo, s26
	s_cbranch_execz .LBB4_2596
; %bb.2315:                             ;   in Loop: Header=BB4_1868 Depth=2
	s_mov_b32 s12, -1
	s_mov_b32 s27, exec_lo
	v_cmpx_eq_u16_e32 0x80, v58
; %bb.2316:                             ;   in Loop: Header=BB4_1868 Depth=2
	s_xor_b32 s12, exec_lo, -1
; %bb.2317:                             ;   in Loop: Header=BB4_1868 Depth=2
	s_or_b32 exec_lo, exec_lo, s27
	s_and_b32 s12, s12, exec_lo
                                        ; implicit-def: $vgpr58
	s_or_saveexec_b32 s26, s26
	v_mov_b32_e32 v57, 0x7f800001
	s_xor_b32 exec_lo, exec_lo, s26
	s_cbranch_execnz .LBB4_2597
.LBB4_2318:                             ;   in Loop: Header=BB4_1868 Depth=2
	s_or_b32 exec_lo, exec_lo, s26
	s_and_saveexec_b32 s26, s12
	s_cbranch_execz .LBB4_2320
.LBB4_2319:                             ;   in Loop: Header=BB4_1868 Depth=2
	v_bfe_u32 v57, v11, 16, 3
	v_bfe_u32 v60, v11, 19, 4
	v_lshlrev_b32_e32 v61, 8, v11
	v_ffbh_u32_e32 v58, v57
	v_cmp_eq_u32_e32 vcc_lo, 0, v60
	v_min_u32_e32 v58, 32, v58
	v_subrev_nc_u32_e32 v59, 28, v58
	v_sub_nc_u32_e32 v58, 29, v58
	v_lshlrev_b32_sdwa v59, v59, v11 dst_sel:DWORD dst_unused:UNUSED_PAD src0_sel:DWORD src1_sel:WORD_1
	v_cndmask_b32_e32 v58, v60, v58, vcc_lo
	v_and_b32_e32 v59, 7, v59
	v_lshl_add_u32 v58, v58, 23, 0x3b800000
	v_cndmask_b32_e32 v57, v57, v59, vcc_lo
	v_and_b32_e32 v59, 0x80000000, v61
	v_lshlrev_b32_e32 v57, 20, v57
	v_or3_b32 v57, v59, v58, v57
.LBB4_2320:                             ;   in Loop: Header=BB4_1868 Depth=2
	s_or_b32 exec_lo, exec_lo, s26
	v_add_f32_e32 v57, v56, v57
	v_and_b32_e32 v56, 0x7f800000, v57
	v_cmp_ne_u32_e32 vcc_lo, 0x7f800000, v56
	v_mov_b32_e32 v56, 0x80
	s_and_saveexec_b32 s26, vcc_lo
	s_cbranch_execz .LBB4_2328
; %bb.2321:                             ;   in Loop: Header=BB4_1868 Depth=2
	v_mov_b32_e32 v56, 0
	s_mov_b32 s27, exec_lo
	v_cmpx_ne_u32_e32 0, v57
	s_cbranch_execz .LBB4_2327
; %bb.2322:                             ;   in Loop: Header=BB4_1868 Depth=2
	v_bfe_u32 v56, v57, 23, 8
	v_and_b32_e32 v58, 0x7fffff, v57
	v_sub_nc_u32_e32 v59, 0x78, v56
	v_cmp_gt_u32_e32 vcc_lo, 0x79, v56
	v_or_b32_e32 v60, 0x800000, v58
	v_cndmask_b32_e32 v59, 0, v59, vcc_lo
	v_cmp_eq_u32_e32 vcc_lo, 0, v56
	v_add_nc_u32_e32 v56, 0xffffff89, v56
	v_cndmask_b32_e64 v59, v59, 0x77, vcc_lo
	v_cndmask_b32_e32 v58, v60, v58, vcc_lo
	v_cndmask_b32_e64 v56, v56, 0xffffff8a, vcc_lo
	v_lshl_add_u32 v60, 0x100000, v59, -1
	v_lshrrev_b32_e32 v61, v59, v58
	v_lshlrev_b32_e64 v63, v59, 0x80000
	v_add_nc_u32_e32 v59, v59, v56
	v_and_b32_e32 v58, v60, v58
	v_bfe_u32 v62, v61, 20, 1
	v_cmp_eq_u32_e64 s12, v58, v63
	v_add_nc_u32_e32 v60, -1, v62
	v_cndmask_b32_e64 v58, 0, v60, s12
	v_lshrrev_b32_e32 v60, 23, v61
	s_mov_b32 s12, exec_lo
	v_add_nc_u32_e32 v58, v58, v61
	v_xor_b32_e32 v60, 1, v60
	v_and_b32_e32 v56, 0xfffff, v58
	v_add_nc_u32_e32 v58, v56, v61
                                        ; implicit-def: $vgpr56
	v_cmpx_ne_u32_e64 v59, v60
	s_xor_b32 s12, exec_lo, s12
; %bb.2323:                             ;   in Loop: Header=BB4_1868 Depth=2
	v_cmp_lt_u32_e32 vcc_lo, 0xffffff, v58
	v_sub_nc_u32_e32 v56, v59, v60
	v_cndmask_b32_e64 v59, 0, 1, vcc_lo
	v_add_co_ci_u32_e64 v56, null, 0, v56, vcc_lo
	v_lshrrev_b32_e32 v58, v59, v58
; %bb.2324:                             ;   in Loop: Header=BB4_1868 Depth=2
	s_andn2_saveexec_b32 s12, s12
; %bb.2325:                             ;   in Loop: Header=BB4_1868 Depth=2
	v_bfe_u32 v56, v58, 23, 1
; %bb.2326:                             ;   in Loop: Header=BB4_1868 Depth=2
	s_or_b32 exec_lo, exec_lo, s12
	v_lshrrev_b32_e32 v58, 20, v58
	v_min_i32_e32 v59, 15, v56
	v_cmp_gt_i32_e32 vcc_lo, 16, v56
	v_and_b32_sdwa v57, v57, v97 dst_sel:DWORD dst_unused:UNUSED_PAD src0_sel:BYTE_3 src1_sel:DWORD
	v_lshlrev_b32_e32 v59, 3, v59
	v_cndmask_b32_e32 v58, 7, v58, vcc_lo
	v_and_b32_e32 v59, 0xf8, v59
	v_and_b32_e32 v60, 7, v58
	v_or_b32_e32 v56, v56, v58
	v_or3_b32 v57, v59, v57, v60
	v_cmp_ne_u32_e32 vcc_lo, 0, v56
	v_cndmask_b32_e32 v56, 0, v57, vcc_lo
.LBB4_2327:                             ;   in Loop: Header=BB4_1868 Depth=2
	s_or_b32 exec_lo, exec_lo, s27
.LBB4_2328:                             ;   in Loop: Header=BB4_1868 Depth=2
	s_or_b32 exec_lo, exec_lo, s26
	v_cmp_gt_i16_sdwa s26, v15, v96 src0_sel:BYTE_3 src1_sel:DWORD
	s_mov_b32 s12, 0
	s_and_saveexec_b32 s27, s26
	s_xor_b32 s26, exec_lo, s27
	s_cbranch_execz .LBB4_2598
; %bb.2329:                             ;   in Loop: Header=BB4_1868 Depth=2
	v_cmp_eq_u16_sdwa s28, v15, v97 src0_sel:BYTE_3 src1_sel:DWORD
	s_mov_b32 s12, -1
	s_and_saveexec_b32 s27, s28
; %bb.2330:                             ;   in Loop: Header=BB4_1868 Depth=2
	s_xor_b32 s12, exec_lo, -1
; %bb.2331:                             ;   in Loop: Header=BB4_1868 Depth=2
	s_or_b32 exec_lo, exec_lo, s27
	s_and_b32 s12, s12, exec_lo
	s_or_saveexec_b32 s26, s26
	v_mov_b32_e32 v57, 0x7f800001
	s_xor_b32 exec_lo, exec_lo, s26
	s_cbranch_execnz .LBB4_2599
.LBB4_2332:                             ;   in Loop: Header=BB4_1868 Depth=2
	s_or_b32 exec_lo, exec_lo, s26
	s_and_saveexec_b32 s26, s12
	s_cbranch_execz .LBB4_2334
.LBB4_2333:                             ;   in Loop: Header=BB4_1868 Depth=2
	v_bfe_u32 v57, v15, 24, 3
	v_bfe_u32 v60, v15, 27, 4
	v_ffbh_u32_e32 v58, v57
	v_cmp_eq_u32_e32 vcc_lo, 0, v60
	v_min_u32_e32 v58, 32, v58
	v_subrev_nc_u32_e32 v59, 28, v58
	v_sub_nc_u32_e32 v58, 29, v58
	v_lshlrev_b32_sdwa v59, v59, v15 dst_sel:DWORD dst_unused:UNUSED_PAD src0_sel:DWORD src1_sel:BYTE_3
	v_cndmask_b32_e32 v58, v60, v58, vcc_lo
	v_and_b32_e32 v15, 0x80000000, v15
	v_and_b32_e32 v59, 7, v59
	v_lshl_add_u32 v58, v58, 23, 0x3b800000
	v_cndmask_b32_e32 v57, v57, v59, vcc_lo
	v_lshlrev_b32_e32 v57, 20, v57
	v_or3_b32 v57, v15, v58, v57
.LBB4_2334:                             ;   in Loop: Header=BB4_1868 Depth=2
	s_or_b32 exec_lo, exec_lo, s26
	v_cmp_gt_i16_sdwa s26, v11, v96 src0_sel:BYTE_3 src1_sel:DWORD
	s_mov_b32 s12, 0
	s_and_saveexec_b32 s27, s26
	s_xor_b32 s26, exec_lo, s27
	s_cbranch_execz .LBB4_2600
; %bb.2335:                             ;   in Loop: Header=BB4_1868 Depth=2
	v_cmp_eq_u16_sdwa s28, v11, v97 src0_sel:BYTE_3 src1_sel:DWORD
	s_mov_b32 s12, -1
	s_and_saveexec_b32 s27, s28
; %bb.2336:                             ;   in Loop: Header=BB4_1868 Depth=2
	s_xor_b32 s12, exec_lo, -1
; %bb.2337:                             ;   in Loop: Header=BB4_1868 Depth=2
	s_or_b32 exec_lo, exec_lo, s27
	s_and_b32 s12, s12, exec_lo
	s_or_saveexec_b32 s26, s26
	v_mov_b32_e32 v15, 0x7f800001
	s_xor_b32 exec_lo, exec_lo, s26
	s_cbranch_execnz .LBB4_2601
.LBB4_2338:                             ;   in Loop: Header=BB4_1868 Depth=2
	s_or_b32 exec_lo, exec_lo, s26
	s_and_saveexec_b32 s26, s12
	s_cbranch_execz .LBB4_2340
.LBB4_2339:                             ;   in Loop: Header=BB4_1868 Depth=2
	v_bfe_u32 v15, v11, 24, 3
	v_bfe_u32 v60, v11, 27, 4
	v_ffbh_u32_e32 v58, v15
	v_cmp_eq_u32_e32 vcc_lo, 0, v60
	v_min_u32_e32 v58, 32, v58
	v_subrev_nc_u32_e32 v59, 28, v58
	v_sub_nc_u32_e32 v58, 29, v58
	v_lshlrev_b32_sdwa v59, v59, v11 dst_sel:DWORD dst_unused:UNUSED_PAD src0_sel:DWORD src1_sel:BYTE_3
	v_cndmask_b32_e32 v58, v60, v58, vcc_lo
	v_and_b32_e32 v11, 0x80000000, v11
	v_and_b32_e32 v59, 7, v59
	v_lshl_add_u32 v58, v58, 23, 0x3b800000
	v_cndmask_b32_e32 v15, v15, v59, vcc_lo
	v_lshlrev_b32_e32 v15, 20, v15
	v_or3_b32 v15, v11, v58, v15
.LBB4_2340:                             ;   in Loop: Header=BB4_1868 Depth=2
	s_or_b32 exec_lo, exec_lo, s26
	v_add_f32_e32 v15, v57, v15
	v_and_b32_e32 v11, 0x7f800000, v15
	v_cmp_ne_u32_e32 vcc_lo, 0x7f800000, v11
	v_mov_b32_e32 v11, 0x8000
	s_and_saveexec_b32 s26, vcc_lo
	s_cbranch_execz .LBB4_2348
; %bb.2341:                             ;   in Loop: Header=BB4_1868 Depth=2
	v_mov_b32_e32 v11, 0
	s_mov_b32 s27, exec_lo
	v_cmpx_ne_u32_e32 0, v15
	s_cbranch_execz .LBB4_2347
; %bb.2342:                             ;   in Loop: Header=BB4_1868 Depth=2
	v_bfe_u32 v11, v15, 23, 8
	v_and_b32_e32 v57, 0x7fffff, v15
	v_sub_nc_u32_e32 v58, 0x78, v11
	v_cmp_gt_u32_e32 vcc_lo, 0x79, v11
	v_or_b32_e32 v59, 0x800000, v57
	v_cndmask_b32_e32 v58, 0, v58, vcc_lo
	v_cmp_eq_u32_e32 vcc_lo, 0, v11
	v_add_nc_u32_e32 v11, 0xffffff89, v11
	v_cndmask_b32_e64 v58, v58, 0x77, vcc_lo
	v_cndmask_b32_e32 v57, v59, v57, vcc_lo
	v_cndmask_b32_e64 v11, v11, 0xffffff8a, vcc_lo
	v_lshl_add_u32 v59, 0x100000, v58, -1
	v_lshrrev_b32_e32 v60, v58, v57
	v_lshlrev_b32_e64 v62, v58, 0x80000
	v_add_nc_u32_e32 v58, v58, v11
	v_and_b32_e32 v57, v59, v57
	v_bfe_u32 v61, v60, 20, 1
	v_cmp_eq_u32_e64 s12, v57, v62
	v_add_nc_u32_e32 v59, -1, v61
	v_cndmask_b32_e64 v57, 0, v59, s12
	v_lshrrev_b32_e32 v59, 23, v60
	s_mov_b32 s12, exec_lo
	v_add_nc_u32_e32 v57, v57, v60
	v_xor_b32_e32 v59, 1, v59
	v_and_b32_e32 v11, 0xfffff, v57
	v_add_nc_u32_e32 v57, v11, v60
                                        ; implicit-def: $vgpr11
	v_cmpx_ne_u32_e64 v58, v59
	s_xor_b32 s12, exec_lo, s12
; %bb.2343:                             ;   in Loop: Header=BB4_1868 Depth=2
	v_cmp_lt_u32_e32 vcc_lo, 0xffffff, v57
	v_sub_nc_u32_e32 v11, v58, v59
	v_cndmask_b32_e64 v58, 0, 1, vcc_lo
	v_add_co_ci_u32_e64 v11, null, 0, v11, vcc_lo
	v_lshrrev_b32_e32 v57, v58, v57
; %bb.2344:                             ;   in Loop: Header=BB4_1868 Depth=2
	s_andn2_saveexec_b32 s12, s12
; %bb.2345:                             ;   in Loop: Header=BB4_1868 Depth=2
	v_bfe_u32 v11, v57, 23, 1
; %bb.2346:                             ;   in Loop: Header=BB4_1868 Depth=2
	s_or_b32 exec_lo, exec_lo, s12
	v_lshrrev_b32_e32 v57, 20, v57
	v_min_i32_e32 v58, 15, v11
	v_cmp_gt_i32_e32 vcc_lo, 16, v11
	v_and_b32_sdwa v15, v15, v97 dst_sel:DWORD dst_unused:UNUSED_PAD src0_sel:BYTE_3 src1_sel:DWORD
	v_lshlrev_b32_e32 v58, 3, v58
	v_cndmask_b32_e32 v57, 7, v57, vcc_lo
	v_and_b32_e32 v58, 0xf8, v58
	v_and_b32_e32 v59, 7, v57
	v_or_b32_e32 v11, v11, v57
	v_or3_b32 v15, v15, v58, v59
	v_cmp_ne_u32_e32 vcc_lo, 0, v11
	v_lshlrev_b32_e32 v15, 8, v15
	v_cndmask_b32_e32 v11, 0, v15, vcc_lo
.LBB4_2347:                             ;   in Loop: Header=BB4_1868 Depth=2
	s_or_b32 exec_lo, exec_lo, s27
.LBB4_2348:                             ;   in Loop: Header=BB4_1868 Depth=2
	s_or_b32 exec_lo, exec_lo, s26
	v_cmp_gt_i16_sdwa s26, v16, v96 src0_sel:BYTE_0 src1_sel:DWORD
	s_mov_b32 s12, 0
	s_and_saveexec_b32 s27, s26
	s_xor_b32 s26, exec_lo, s27
	s_cbranch_execz .LBB4_2602
; %bb.2349:                             ;   in Loop: Header=BB4_1868 Depth=2
	v_cmp_eq_u16_sdwa s28, v16, v97 src0_sel:BYTE_0 src1_sel:DWORD
	s_mov_b32 s12, -1
	s_and_saveexec_b32 s27, s28
; %bb.2350:                             ;   in Loop: Header=BB4_1868 Depth=2
	s_xor_b32 s12, exec_lo, -1
; %bb.2351:                             ;   in Loop: Header=BB4_1868 Depth=2
	s_or_b32 exec_lo, exec_lo, s27
	s_and_b32 s12, s12, exec_lo
	s_or_saveexec_b32 s26, s26
	v_mov_b32_e32 v15, 0x7f800001
	s_xor_b32 exec_lo, exec_lo, s26
	s_cbranch_execnz .LBB4_2603
.LBB4_2352:                             ;   in Loop: Header=BB4_1868 Depth=2
	s_or_b32 exec_lo, exec_lo, s26
	s_and_saveexec_b32 s26, s12
	s_cbranch_execz .LBB4_2354
.LBB4_2353:                             ;   in Loop: Header=BB4_1868 Depth=2
	v_and_b32_e32 v15, 7, v16
	v_bfe_u32 v59, v16, 3, 4
	v_lshlrev_b32_e32 v60, 24, v16
	v_ffbh_u32_e32 v57, v15
	v_cmp_eq_u32_e32 vcc_lo, 0, v59
	v_min_u32_e32 v57, 32, v57
	v_subrev_nc_u32_e32 v58, 28, v57
	v_sub_nc_u32_e32 v57, 29, v57
	v_lshlrev_b32_e32 v58, v58, v16
	v_cndmask_b32_e32 v57, v59, v57, vcc_lo
	v_and_b32_e32 v58, 7, v58
	v_lshl_add_u32 v57, v57, 23, 0x3b800000
	v_cndmask_b32_e32 v15, v15, v58, vcc_lo
	v_and_b32_e32 v58, 0x80000000, v60
	v_lshlrev_b32_e32 v15, 20, v15
	v_or3_b32 v15, v58, v57, v15
.LBB4_2354:                             ;   in Loop: Header=BB4_1868 Depth=2
	s_or_b32 exec_lo, exec_lo, s26
	v_cmp_gt_i16_sdwa s26, v12, v96 src0_sel:BYTE_0 src1_sel:DWORD
	s_mov_b32 s12, 0
	s_and_saveexec_b32 s27, s26
	s_xor_b32 s26, exec_lo, s27
	s_cbranch_execz .LBB4_2604
; %bb.2355:                             ;   in Loop: Header=BB4_1868 Depth=2
	v_cmp_eq_u16_sdwa s28, v12, v97 src0_sel:BYTE_0 src1_sel:DWORD
	s_mov_b32 s12, -1
	s_and_saveexec_b32 s27, s28
; %bb.2356:                             ;   in Loop: Header=BB4_1868 Depth=2
	s_xor_b32 s12, exec_lo, -1
; %bb.2357:                             ;   in Loop: Header=BB4_1868 Depth=2
	s_or_b32 exec_lo, exec_lo, s27
	s_and_b32 s12, s12, exec_lo
	s_or_saveexec_b32 s26, s26
	v_mov_b32_e32 v57, 0x7f800001
	s_xor_b32 exec_lo, exec_lo, s26
	s_cbranch_execnz .LBB4_2605
.LBB4_2358:                             ;   in Loop: Header=BB4_1868 Depth=2
	s_or_b32 exec_lo, exec_lo, s26
	s_and_saveexec_b32 s26, s12
	s_cbranch_execz .LBB4_2360
.LBB4_2359:                             ;   in Loop: Header=BB4_1868 Depth=2
	v_and_b32_e32 v57, 7, v12
	v_bfe_u32 v60, v12, 3, 4
	v_lshlrev_b32_e32 v61, 24, v12
	v_ffbh_u32_e32 v58, v57
	v_cmp_eq_u32_e32 vcc_lo, 0, v60
	v_min_u32_e32 v58, 32, v58
	v_subrev_nc_u32_e32 v59, 28, v58
	v_sub_nc_u32_e32 v58, 29, v58
	v_lshlrev_b32_e32 v59, v59, v12
	v_cndmask_b32_e32 v58, v60, v58, vcc_lo
	v_and_b32_e32 v59, 7, v59
	v_lshl_add_u32 v58, v58, 23, 0x3b800000
	v_cndmask_b32_e32 v57, v57, v59, vcc_lo
	v_and_b32_e32 v59, 0x80000000, v61
	v_lshlrev_b32_e32 v57, 20, v57
	v_or3_b32 v57, v59, v58, v57
.LBB4_2360:                             ;   in Loop: Header=BB4_1868 Depth=2
	s_or_b32 exec_lo, exec_lo, s26
	v_add_f32_e32 v57, v15, v57
	v_and_b32_e32 v15, 0x7f800000, v57
	v_cmp_ne_u32_e32 vcc_lo, 0x7f800000, v15
	v_mov_b32_e32 v15, 0x80
	s_and_saveexec_b32 s26, vcc_lo
	s_cbranch_execz .LBB4_2368
; %bb.2361:                             ;   in Loop: Header=BB4_1868 Depth=2
	v_mov_b32_e32 v15, 0
	s_mov_b32 s27, exec_lo
	v_cmpx_ne_u32_e32 0, v57
	s_cbranch_execz .LBB4_2367
; %bb.2362:                             ;   in Loop: Header=BB4_1868 Depth=2
	v_bfe_u32 v15, v57, 23, 8
	v_and_b32_e32 v58, 0x7fffff, v57
	v_sub_nc_u32_e32 v59, 0x78, v15
	v_cmp_gt_u32_e32 vcc_lo, 0x79, v15
	v_or_b32_e32 v60, 0x800000, v58
	v_cndmask_b32_e32 v59, 0, v59, vcc_lo
	v_cmp_eq_u32_e32 vcc_lo, 0, v15
	v_add_nc_u32_e32 v15, 0xffffff89, v15
	v_cndmask_b32_e64 v59, v59, 0x77, vcc_lo
	v_cndmask_b32_e32 v58, v60, v58, vcc_lo
	v_cndmask_b32_e64 v15, v15, 0xffffff8a, vcc_lo
	v_lshl_add_u32 v60, 0x100000, v59, -1
	v_lshrrev_b32_e32 v61, v59, v58
	v_lshlrev_b32_e64 v63, v59, 0x80000
	v_add_nc_u32_e32 v59, v59, v15
	v_and_b32_e32 v58, v60, v58
	v_bfe_u32 v62, v61, 20, 1
	v_cmp_eq_u32_e64 s12, v58, v63
	v_add_nc_u32_e32 v60, -1, v62
	v_cndmask_b32_e64 v58, 0, v60, s12
	v_lshrrev_b32_e32 v60, 23, v61
	s_mov_b32 s12, exec_lo
	v_add_nc_u32_e32 v58, v58, v61
	v_xor_b32_e32 v60, 1, v60
	v_and_b32_e32 v15, 0xfffff, v58
	v_add_nc_u32_e32 v58, v15, v61
                                        ; implicit-def: $vgpr15
	v_cmpx_ne_u32_e64 v59, v60
	s_xor_b32 s12, exec_lo, s12
; %bb.2363:                             ;   in Loop: Header=BB4_1868 Depth=2
	v_cmp_lt_u32_e32 vcc_lo, 0xffffff, v58
	v_sub_nc_u32_e32 v15, v59, v60
	v_cndmask_b32_e64 v59, 0, 1, vcc_lo
	v_add_co_ci_u32_e64 v15, null, 0, v15, vcc_lo
	v_lshrrev_b32_e32 v58, v59, v58
; %bb.2364:                             ;   in Loop: Header=BB4_1868 Depth=2
	s_andn2_saveexec_b32 s12, s12
; %bb.2365:                             ;   in Loop: Header=BB4_1868 Depth=2
	v_bfe_u32 v15, v58, 23, 1
; %bb.2366:                             ;   in Loop: Header=BB4_1868 Depth=2
	s_or_b32 exec_lo, exec_lo, s12
	v_lshrrev_b32_e32 v58, 20, v58
	v_min_i32_e32 v59, 15, v15
	v_cmp_gt_i32_e32 vcc_lo, 16, v15
	v_and_b32_sdwa v57, v57, v97 dst_sel:DWORD dst_unused:UNUSED_PAD src0_sel:BYTE_3 src1_sel:DWORD
	v_lshlrev_b32_e32 v59, 3, v59
	v_cndmask_b32_e32 v58, 7, v58, vcc_lo
	v_and_b32_e32 v59, 0xf8, v59
	v_and_b32_e32 v60, 7, v58
	v_or_b32_e32 v15, v15, v58
	v_or3_b32 v57, v59, v57, v60
	v_cmp_ne_u32_e32 vcc_lo, 0, v15
	v_cndmask_b32_e32 v15, 0, v57, vcc_lo
.LBB4_2367:                             ;   in Loop: Header=BB4_1868 Depth=2
	s_or_b32 exec_lo, exec_lo, s27
.LBB4_2368:                             ;   in Loop: Header=BB4_1868 Depth=2
	s_or_b32 exec_lo, exec_lo, s26
	v_cmp_gt_i16_sdwa s26, v16, v96 src0_sel:BYTE_1 src1_sel:DWORD
	s_mov_b32 s12, 0
	s_and_saveexec_b32 s27, s26
	s_xor_b32 s26, exec_lo, s27
	s_cbranch_execz .LBB4_2606
; %bb.2369:                             ;   in Loop: Header=BB4_1868 Depth=2
	v_cmp_eq_u16_sdwa s28, v16, v97 src0_sel:BYTE_1 src1_sel:DWORD
	s_mov_b32 s12, -1
	s_and_saveexec_b32 s27, s28
; %bb.2370:                             ;   in Loop: Header=BB4_1868 Depth=2
	s_xor_b32 s12, exec_lo, -1
; %bb.2371:                             ;   in Loop: Header=BB4_1868 Depth=2
	s_or_b32 exec_lo, exec_lo, s27
	s_and_b32 s12, s12, exec_lo
	s_or_saveexec_b32 s26, s26
	v_mov_b32_e32 v57, 0x7f800001
	s_xor_b32 exec_lo, exec_lo, s26
	s_cbranch_execnz .LBB4_2607
.LBB4_2372:                             ;   in Loop: Header=BB4_1868 Depth=2
	s_or_b32 exec_lo, exec_lo, s26
	s_and_saveexec_b32 s26, s12
	s_cbranch_execz .LBB4_2374
.LBB4_2373:                             ;   in Loop: Header=BB4_1868 Depth=2
	v_and_b32_sdwa v57, v98, v16 dst_sel:DWORD dst_unused:UNUSED_PAD src0_sel:DWORD src1_sel:BYTE_1
	v_and_b32_e32 v58, 7, v57
	v_bfe_u32 v61, v57, 3, 4
	v_ffbh_u32_e32 v59, v58
	v_cmp_eq_u32_e32 vcc_lo, 0, v61
	v_min_u32_e32 v59, 32, v59
	v_subrev_nc_u32_e32 v60, 28, v59
	v_sub_nc_u32_e32 v59, 29, v59
	v_lshlrev_b32_e32 v57, v60, v57
	v_lshlrev_b32_sdwa v60, v100, v16 dst_sel:DWORD dst_unused:UNUSED_PAD src0_sel:DWORD src1_sel:BYTE_1
	v_cndmask_b32_e32 v59, v61, v59, vcc_lo
	v_and_b32_e32 v57, 7, v57
	v_lshl_add_u32 v59, v59, 23, 0x3b800000
	v_cndmask_b32_e32 v57, v58, v57, vcc_lo
	v_and_b32_e32 v58, 0x80000000, v60
	v_lshlrev_b32_e32 v57, 20, v57
	v_or3_b32 v57, v58, v59, v57
.LBB4_2374:                             ;   in Loop: Header=BB4_1868 Depth=2
	s_or_b32 exec_lo, exec_lo, s26
	v_cmp_gt_i16_sdwa s26, v12, v96 src0_sel:BYTE_1 src1_sel:DWORD
	s_mov_b32 s12, 0
	s_and_saveexec_b32 s27, s26
	s_xor_b32 s26, exec_lo, s27
	s_cbranch_execz .LBB4_2608
; %bb.2375:                             ;   in Loop: Header=BB4_1868 Depth=2
	v_cmp_eq_u16_sdwa s28, v12, v97 src0_sel:BYTE_1 src1_sel:DWORD
	s_mov_b32 s12, -1
	s_and_saveexec_b32 s27, s28
; %bb.2376:                             ;   in Loop: Header=BB4_1868 Depth=2
	s_xor_b32 s12, exec_lo, -1
; %bb.2377:                             ;   in Loop: Header=BB4_1868 Depth=2
	s_or_b32 exec_lo, exec_lo, s27
	s_and_b32 s12, s12, exec_lo
	s_or_saveexec_b32 s26, s26
	v_mov_b32_e32 v58, 0x7f800001
	s_xor_b32 exec_lo, exec_lo, s26
	s_cbranch_execnz .LBB4_2609
.LBB4_2378:                             ;   in Loop: Header=BB4_1868 Depth=2
	s_or_b32 exec_lo, exec_lo, s26
	s_and_saveexec_b32 s26, s12
	s_cbranch_execz .LBB4_2380
.LBB4_2379:                             ;   in Loop: Header=BB4_1868 Depth=2
	v_and_b32_sdwa v58, v98, v12 dst_sel:DWORD dst_unused:UNUSED_PAD src0_sel:DWORD src1_sel:BYTE_1
	v_and_b32_e32 v59, 7, v58
	v_bfe_u32 v62, v58, 3, 4
	v_ffbh_u32_e32 v60, v59
	v_cmp_eq_u32_e32 vcc_lo, 0, v62
	v_min_u32_e32 v60, 32, v60
	v_subrev_nc_u32_e32 v61, 28, v60
	v_sub_nc_u32_e32 v60, 29, v60
	v_lshlrev_b32_e32 v58, v61, v58
	v_lshlrev_b32_sdwa v61, v100, v12 dst_sel:DWORD dst_unused:UNUSED_PAD src0_sel:DWORD src1_sel:BYTE_1
	v_cndmask_b32_e32 v60, v62, v60, vcc_lo
	v_and_b32_e32 v58, 7, v58
	v_lshl_add_u32 v60, v60, 23, 0x3b800000
	v_cndmask_b32_e32 v58, v59, v58, vcc_lo
	v_and_b32_e32 v59, 0x80000000, v61
	v_lshlrev_b32_e32 v58, 20, v58
	v_or3_b32 v58, v59, v60, v58
.LBB4_2380:                             ;   in Loop: Header=BB4_1868 Depth=2
	s_or_b32 exec_lo, exec_lo, s26
	v_add_f32_e32 v58, v57, v58
	v_and_b32_e32 v57, 0x7f800000, v58
	v_cmp_ne_u32_e32 vcc_lo, 0x7f800000, v57
	v_mov_b32_e32 v57, 0x8000
	s_and_saveexec_b32 s26, vcc_lo
	s_cbranch_execz .LBB4_2388
; %bb.2381:                             ;   in Loop: Header=BB4_1868 Depth=2
	v_mov_b32_e32 v57, 0
	s_mov_b32 s27, exec_lo
	v_cmpx_ne_u32_e32 0, v58
	s_cbranch_execz .LBB4_2387
; %bb.2382:                             ;   in Loop: Header=BB4_1868 Depth=2
	v_bfe_u32 v57, v58, 23, 8
	v_and_b32_e32 v59, 0x7fffff, v58
	v_sub_nc_u32_e32 v60, 0x78, v57
	v_cmp_gt_u32_e32 vcc_lo, 0x79, v57
	v_or_b32_e32 v61, 0x800000, v59
	v_cndmask_b32_e32 v60, 0, v60, vcc_lo
	v_cmp_eq_u32_e32 vcc_lo, 0, v57
	v_add_nc_u32_e32 v57, 0xffffff89, v57
	v_cndmask_b32_e64 v60, v60, 0x77, vcc_lo
	v_cndmask_b32_e32 v59, v61, v59, vcc_lo
	v_cndmask_b32_e64 v57, v57, 0xffffff8a, vcc_lo
	v_lshl_add_u32 v61, 0x100000, v60, -1
	v_lshrrev_b32_e32 v62, v60, v59
	v_lshlrev_b32_e64 v72, v60, 0x80000
	v_add_nc_u32_e32 v60, v60, v57
	v_and_b32_e32 v59, v61, v59
	v_bfe_u32 v63, v62, 20, 1
	v_cmp_eq_u32_e64 s12, v59, v72
	v_add_nc_u32_e32 v61, -1, v63
	v_cndmask_b32_e64 v59, 0, v61, s12
	v_lshrrev_b32_e32 v61, 23, v62
	s_mov_b32 s12, exec_lo
	v_add_nc_u32_e32 v59, v59, v62
	v_xor_b32_e32 v61, 1, v61
	v_and_b32_e32 v57, 0xfffff, v59
	v_add_nc_u32_e32 v59, v57, v62
                                        ; implicit-def: $vgpr57
	v_cmpx_ne_u32_e64 v60, v61
	s_xor_b32 s12, exec_lo, s12
; %bb.2383:                             ;   in Loop: Header=BB4_1868 Depth=2
	v_cmp_lt_u32_e32 vcc_lo, 0xffffff, v59
	v_sub_nc_u32_e32 v57, v60, v61
	v_cndmask_b32_e64 v60, 0, 1, vcc_lo
	v_add_co_ci_u32_e64 v57, null, 0, v57, vcc_lo
	v_lshrrev_b32_e32 v59, v60, v59
; %bb.2384:                             ;   in Loop: Header=BB4_1868 Depth=2
	s_andn2_saveexec_b32 s12, s12
; %bb.2385:                             ;   in Loop: Header=BB4_1868 Depth=2
	v_bfe_u32 v57, v59, 23, 1
; %bb.2386:                             ;   in Loop: Header=BB4_1868 Depth=2
	s_or_b32 exec_lo, exec_lo, s12
	v_lshrrev_b32_e32 v59, 20, v59
	v_min_i32_e32 v60, 15, v57
	v_cmp_gt_i32_e32 vcc_lo, 16, v57
	v_and_b32_sdwa v58, v58, v97 dst_sel:DWORD dst_unused:UNUSED_PAD src0_sel:BYTE_3 src1_sel:DWORD
	v_lshlrev_b32_e32 v60, 3, v60
	v_cndmask_b32_e32 v59, 7, v59, vcc_lo
	v_and_b32_e32 v60, 0xf8, v60
	v_and_b32_e32 v61, 7, v59
	v_or_b32_e32 v57, v57, v59
	v_or3_b32 v58, v58, v60, v61
	v_cmp_ne_u32_e32 vcc_lo, 0, v57
	v_lshlrev_b32_e32 v58, 8, v58
	v_cndmask_b32_e32 v57, 0, v58, vcc_lo
.LBB4_2387:                             ;   in Loop: Header=BB4_1868 Depth=2
	s_or_b32 exec_lo, exec_lo, s27
.LBB4_2388:                             ;   in Loop: Header=BB4_1868 Depth=2
	s_or_b32 exec_lo, exec_lo, s26
	v_and_b32_sdwa v59, v16, v113 dst_sel:DWORD dst_unused:UNUSED_PAD src0_sel:WORD_1 src1_sel:DWORD
	s_mov_b32 s12, 0
	s_mov_b32 s26, exec_lo
	v_cmpx_lt_i16_e32 0x7f, v59
	s_xor_b32 s26, exec_lo, s26
	s_cbranch_execz .LBB4_2610
; %bb.2389:                             ;   in Loop: Header=BB4_1868 Depth=2
	s_mov_b32 s12, -1
	s_mov_b32 s27, exec_lo
	v_cmpx_eq_u16_e32 0x80, v59
; %bb.2390:                             ;   in Loop: Header=BB4_1868 Depth=2
	s_xor_b32 s12, exec_lo, -1
; %bb.2391:                             ;   in Loop: Header=BB4_1868 Depth=2
	s_or_b32 exec_lo, exec_lo, s27
	s_and_b32 s12, s12, exec_lo
                                        ; implicit-def: $vgpr59
	s_or_saveexec_b32 s26, s26
	v_mov_b32_e32 v58, 0x7f800001
	s_xor_b32 exec_lo, exec_lo, s26
	s_cbranch_execnz .LBB4_2611
.LBB4_2392:                             ;   in Loop: Header=BB4_1868 Depth=2
	s_or_b32 exec_lo, exec_lo, s26
	s_and_saveexec_b32 s26, s12
	s_cbranch_execz .LBB4_2394
.LBB4_2393:                             ;   in Loop: Header=BB4_1868 Depth=2
	v_bfe_u32 v58, v16, 16, 3
	v_bfe_u32 v61, v16, 19, 4
	v_lshlrev_b32_e32 v62, 8, v16
	v_ffbh_u32_e32 v59, v58
	v_cmp_eq_u32_e32 vcc_lo, 0, v61
	v_min_u32_e32 v59, 32, v59
	v_subrev_nc_u32_e32 v60, 28, v59
	v_sub_nc_u32_e32 v59, 29, v59
	v_lshlrev_b32_sdwa v60, v60, v16 dst_sel:DWORD dst_unused:UNUSED_PAD src0_sel:DWORD src1_sel:WORD_1
	v_cndmask_b32_e32 v59, v61, v59, vcc_lo
	v_and_b32_e32 v60, 7, v60
	v_lshl_add_u32 v59, v59, 23, 0x3b800000
	v_cndmask_b32_e32 v58, v58, v60, vcc_lo
	v_and_b32_e32 v60, 0x80000000, v62
	v_lshlrev_b32_e32 v58, 20, v58
	v_or3_b32 v58, v60, v59, v58
.LBB4_2394:                             ;   in Loop: Header=BB4_1868 Depth=2
	s_or_b32 exec_lo, exec_lo, s26
	v_and_b32_sdwa v60, v12, v113 dst_sel:DWORD dst_unused:UNUSED_PAD src0_sel:WORD_1 src1_sel:DWORD
	s_mov_b32 s12, 0
	s_mov_b32 s26, exec_lo
	v_cmpx_lt_i16_e32 0x7f, v60
	s_xor_b32 s26, exec_lo, s26
	s_cbranch_execz .LBB4_2612
; %bb.2395:                             ;   in Loop: Header=BB4_1868 Depth=2
	s_mov_b32 s12, -1
	s_mov_b32 s27, exec_lo
	v_cmpx_eq_u16_e32 0x80, v60
; %bb.2396:                             ;   in Loop: Header=BB4_1868 Depth=2
	s_xor_b32 s12, exec_lo, -1
; %bb.2397:                             ;   in Loop: Header=BB4_1868 Depth=2
	s_or_b32 exec_lo, exec_lo, s27
	s_and_b32 s12, s12, exec_lo
                                        ; implicit-def: $vgpr60
	s_or_saveexec_b32 s26, s26
	v_mov_b32_e32 v59, 0x7f800001
	s_xor_b32 exec_lo, exec_lo, s26
	s_cbranch_execnz .LBB4_2613
.LBB4_2398:                             ;   in Loop: Header=BB4_1868 Depth=2
	s_or_b32 exec_lo, exec_lo, s26
	s_and_saveexec_b32 s26, s12
	s_cbranch_execz .LBB4_2400
.LBB4_2399:                             ;   in Loop: Header=BB4_1868 Depth=2
	v_bfe_u32 v59, v12, 16, 3
	v_bfe_u32 v62, v12, 19, 4
	v_lshlrev_b32_e32 v63, 8, v12
	v_ffbh_u32_e32 v60, v59
	v_cmp_eq_u32_e32 vcc_lo, 0, v62
	v_min_u32_e32 v60, 32, v60
	v_subrev_nc_u32_e32 v61, 28, v60
	v_sub_nc_u32_e32 v60, 29, v60
	v_lshlrev_b32_sdwa v61, v61, v12 dst_sel:DWORD dst_unused:UNUSED_PAD src0_sel:DWORD src1_sel:WORD_1
	v_cndmask_b32_e32 v60, v62, v60, vcc_lo
	v_and_b32_e32 v61, 7, v61
	v_lshl_add_u32 v60, v60, 23, 0x3b800000
	v_cndmask_b32_e32 v59, v59, v61, vcc_lo
	v_and_b32_e32 v61, 0x80000000, v63
	v_lshlrev_b32_e32 v59, 20, v59
	v_or3_b32 v59, v61, v60, v59
.LBB4_2400:                             ;   in Loop: Header=BB4_1868 Depth=2
	s_or_b32 exec_lo, exec_lo, s26
	v_add_f32_e32 v59, v58, v59
	v_and_b32_e32 v58, 0x7f800000, v59
	v_cmp_ne_u32_e32 vcc_lo, 0x7f800000, v58
	v_mov_b32_e32 v58, 0x80
	s_and_saveexec_b32 s26, vcc_lo
	s_cbranch_execz .LBB4_2408
; %bb.2401:                             ;   in Loop: Header=BB4_1868 Depth=2
	v_mov_b32_e32 v58, 0
	s_mov_b32 s27, exec_lo
	v_cmpx_ne_u32_e32 0, v59
	s_cbranch_execz .LBB4_2407
; %bb.2402:                             ;   in Loop: Header=BB4_1868 Depth=2
	v_bfe_u32 v58, v59, 23, 8
	v_and_b32_e32 v60, 0x7fffff, v59
	v_sub_nc_u32_e32 v61, 0x78, v58
	v_cmp_gt_u32_e32 vcc_lo, 0x79, v58
	v_or_b32_e32 v62, 0x800000, v60
	v_cndmask_b32_e32 v61, 0, v61, vcc_lo
	v_cmp_eq_u32_e32 vcc_lo, 0, v58
	v_add_nc_u32_e32 v58, 0xffffff89, v58
	v_cndmask_b32_e64 v61, v61, 0x77, vcc_lo
	v_cndmask_b32_e32 v60, v62, v60, vcc_lo
	v_cndmask_b32_e64 v58, v58, 0xffffff8a, vcc_lo
	v_lshl_add_u32 v62, 0x100000, v61, -1
	v_lshrrev_b32_e32 v63, v61, v60
	v_lshlrev_b32_e64 v73, v61, 0x80000
	v_add_nc_u32_e32 v61, v61, v58
	v_and_b32_e32 v60, v62, v60
	v_bfe_u32 v72, v63, 20, 1
	v_cmp_eq_u32_e64 s12, v60, v73
	v_add_nc_u32_e32 v62, -1, v72
	v_cndmask_b32_e64 v60, 0, v62, s12
	v_lshrrev_b32_e32 v62, 23, v63
	s_mov_b32 s12, exec_lo
	v_add_nc_u32_e32 v60, v60, v63
	v_xor_b32_e32 v62, 1, v62
	v_and_b32_e32 v58, 0xfffff, v60
	v_add_nc_u32_e32 v60, v58, v63
                                        ; implicit-def: $vgpr58
	v_cmpx_ne_u32_e64 v61, v62
	s_xor_b32 s12, exec_lo, s12
; %bb.2403:                             ;   in Loop: Header=BB4_1868 Depth=2
	v_cmp_lt_u32_e32 vcc_lo, 0xffffff, v60
	v_sub_nc_u32_e32 v58, v61, v62
	v_cndmask_b32_e64 v61, 0, 1, vcc_lo
	v_add_co_ci_u32_e64 v58, null, 0, v58, vcc_lo
	v_lshrrev_b32_e32 v60, v61, v60
; %bb.2404:                             ;   in Loop: Header=BB4_1868 Depth=2
	s_andn2_saveexec_b32 s12, s12
; %bb.2405:                             ;   in Loop: Header=BB4_1868 Depth=2
	v_bfe_u32 v58, v60, 23, 1
; %bb.2406:                             ;   in Loop: Header=BB4_1868 Depth=2
	s_or_b32 exec_lo, exec_lo, s12
	v_lshrrev_b32_e32 v60, 20, v60
	v_min_i32_e32 v61, 15, v58
	v_cmp_gt_i32_e32 vcc_lo, 16, v58
	v_and_b32_sdwa v59, v59, v97 dst_sel:DWORD dst_unused:UNUSED_PAD src0_sel:BYTE_3 src1_sel:DWORD
	v_lshlrev_b32_e32 v61, 3, v61
	v_cndmask_b32_e32 v60, 7, v60, vcc_lo
	v_and_b32_e32 v61, 0xf8, v61
	v_and_b32_e32 v62, 7, v60
	v_or_b32_e32 v58, v58, v60
	v_or3_b32 v59, v61, v59, v62
	v_cmp_ne_u32_e32 vcc_lo, 0, v58
	v_cndmask_b32_e32 v58, 0, v59, vcc_lo
.LBB4_2407:                             ;   in Loop: Header=BB4_1868 Depth=2
	s_or_b32 exec_lo, exec_lo, s27
.LBB4_2408:                             ;   in Loop: Header=BB4_1868 Depth=2
	s_or_b32 exec_lo, exec_lo, s26
	v_cmp_gt_i16_sdwa s26, v16, v96 src0_sel:BYTE_3 src1_sel:DWORD
	s_mov_b32 s12, 0
	s_and_saveexec_b32 s27, s26
	s_xor_b32 s26, exec_lo, s27
	s_cbranch_execz .LBB4_2614
; %bb.2409:                             ;   in Loop: Header=BB4_1868 Depth=2
	v_cmp_eq_u16_sdwa s28, v16, v97 src0_sel:BYTE_3 src1_sel:DWORD
	s_mov_b32 s12, -1
	s_and_saveexec_b32 s27, s28
; %bb.2410:                             ;   in Loop: Header=BB4_1868 Depth=2
	s_xor_b32 s12, exec_lo, -1
; %bb.2411:                             ;   in Loop: Header=BB4_1868 Depth=2
	s_or_b32 exec_lo, exec_lo, s27
	s_and_b32 s12, s12, exec_lo
	s_or_saveexec_b32 s26, s26
	v_mov_b32_e32 v59, 0x7f800001
	s_xor_b32 exec_lo, exec_lo, s26
	s_cbranch_execnz .LBB4_2615
.LBB4_2412:                             ;   in Loop: Header=BB4_1868 Depth=2
	s_or_b32 exec_lo, exec_lo, s26
	s_and_saveexec_b32 s26, s12
	s_cbranch_execz .LBB4_2414
.LBB4_2413:                             ;   in Loop: Header=BB4_1868 Depth=2
	v_bfe_u32 v59, v16, 24, 3
	v_bfe_u32 v62, v16, 27, 4
	v_ffbh_u32_e32 v60, v59
	v_cmp_eq_u32_e32 vcc_lo, 0, v62
	v_min_u32_e32 v60, 32, v60
	v_subrev_nc_u32_e32 v61, 28, v60
	v_sub_nc_u32_e32 v60, 29, v60
	v_lshlrev_b32_sdwa v61, v61, v16 dst_sel:DWORD dst_unused:UNUSED_PAD src0_sel:DWORD src1_sel:BYTE_3
	v_cndmask_b32_e32 v60, v62, v60, vcc_lo
	v_and_b32_e32 v16, 0x80000000, v16
	v_and_b32_e32 v61, 7, v61
	v_lshl_add_u32 v60, v60, 23, 0x3b800000
	v_cndmask_b32_e32 v59, v59, v61, vcc_lo
	v_lshlrev_b32_e32 v59, 20, v59
	v_or3_b32 v59, v16, v60, v59
.LBB4_2414:                             ;   in Loop: Header=BB4_1868 Depth=2
	s_or_b32 exec_lo, exec_lo, s26
	v_cmp_gt_i16_sdwa s26, v12, v96 src0_sel:BYTE_3 src1_sel:DWORD
	s_mov_b32 s12, 0
	s_and_saveexec_b32 s27, s26
	s_xor_b32 s26, exec_lo, s27
	s_cbranch_execz .LBB4_2616
; %bb.2415:                             ;   in Loop: Header=BB4_1868 Depth=2
	v_cmp_eq_u16_sdwa s28, v12, v97 src0_sel:BYTE_3 src1_sel:DWORD
	s_mov_b32 s12, -1
	s_and_saveexec_b32 s27, s28
; %bb.2416:                             ;   in Loop: Header=BB4_1868 Depth=2
	s_xor_b32 s12, exec_lo, -1
; %bb.2417:                             ;   in Loop: Header=BB4_1868 Depth=2
	s_or_b32 exec_lo, exec_lo, s27
	s_and_b32 s12, s12, exec_lo
	s_or_saveexec_b32 s26, s26
	v_mov_b32_e32 v16, 0x7f800001
	s_xor_b32 exec_lo, exec_lo, s26
	s_cbranch_execnz .LBB4_2617
.LBB4_2418:                             ;   in Loop: Header=BB4_1868 Depth=2
	s_or_b32 exec_lo, exec_lo, s26
	s_and_saveexec_b32 s26, s12
	s_cbranch_execz .LBB4_2420
.LBB4_2419:                             ;   in Loop: Header=BB4_1868 Depth=2
	v_bfe_u32 v16, v12, 24, 3
	v_bfe_u32 v62, v12, 27, 4
	v_ffbh_u32_e32 v60, v16
	v_cmp_eq_u32_e32 vcc_lo, 0, v62
	v_min_u32_e32 v60, 32, v60
	v_subrev_nc_u32_e32 v61, 28, v60
	v_sub_nc_u32_e32 v60, 29, v60
	v_lshlrev_b32_sdwa v61, v61, v12 dst_sel:DWORD dst_unused:UNUSED_PAD src0_sel:DWORD src1_sel:BYTE_3
	v_cndmask_b32_e32 v60, v62, v60, vcc_lo
	v_and_b32_e32 v12, 0x80000000, v12
	v_and_b32_e32 v61, 7, v61
	v_lshl_add_u32 v60, v60, 23, 0x3b800000
	v_cndmask_b32_e32 v16, v16, v61, vcc_lo
	v_lshlrev_b32_e32 v16, 20, v16
	v_or3_b32 v16, v12, v60, v16
.LBB4_2420:                             ;   in Loop: Header=BB4_1868 Depth=2
	s_or_b32 exec_lo, exec_lo, s26
	v_add_f32_e32 v16, v59, v16
	v_and_b32_e32 v12, 0x7f800000, v16
	v_cmp_ne_u32_e32 vcc_lo, 0x7f800000, v12
	v_mov_b32_e32 v12, 0x8000
	s_and_saveexec_b32 s26, vcc_lo
	s_cbranch_execz .LBB4_2428
; %bb.2421:                             ;   in Loop: Header=BB4_1868 Depth=2
	v_mov_b32_e32 v12, 0
	s_mov_b32 s27, exec_lo
	v_cmpx_ne_u32_e32 0, v16
	s_cbranch_execz .LBB4_2427
; %bb.2422:                             ;   in Loop: Header=BB4_1868 Depth=2
	v_bfe_u32 v12, v16, 23, 8
	v_and_b32_e32 v59, 0x7fffff, v16
	v_sub_nc_u32_e32 v60, 0x78, v12
	v_cmp_gt_u32_e32 vcc_lo, 0x79, v12
	v_or_b32_e32 v61, 0x800000, v59
	v_cndmask_b32_e32 v60, 0, v60, vcc_lo
	v_cmp_eq_u32_e32 vcc_lo, 0, v12
	v_add_nc_u32_e32 v12, 0xffffff89, v12
	v_cndmask_b32_e64 v60, v60, 0x77, vcc_lo
	v_cndmask_b32_e32 v59, v61, v59, vcc_lo
	v_cndmask_b32_e64 v12, v12, 0xffffff8a, vcc_lo
	v_lshl_add_u32 v61, 0x100000, v60, -1
	v_lshrrev_b32_e32 v62, v60, v59
	v_lshlrev_b32_e64 v72, v60, 0x80000
	v_add_nc_u32_e32 v60, v60, v12
	v_and_b32_e32 v59, v61, v59
	v_bfe_u32 v63, v62, 20, 1
	v_cmp_eq_u32_e64 s12, v59, v72
	v_add_nc_u32_e32 v61, -1, v63
	v_cndmask_b32_e64 v59, 0, v61, s12
	v_lshrrev_b32_e32 v61, 23, v62
	s_mov_b32 s12, exec_lo
	v_add_nc_u32_e32 v59, v59, v62
	v_xor_b32_e32 v61, 1, v61
	v_and_b32_e32 v12, 0xfffff, v59
	v_add_nc_u32_e32 v59, v12, v62
                                        ; implicit-def: $vgpr12
	v_cmpx_ne_u32_e64 v60, v61
	s_xor_b32 s12, exec_lo, s12
; %bb.2423:                             ;   in Loop: Header=BB4_1868 Depth=2
	v_cmp_lt_u32_e32 vcc_lo, 0xffffff, v59
	v_sub_nc_u32_e32 v12, v60, v61
	v_cndmask_b32_e64 v60, 0, 1, vcc_lo
	v_add_co_ci_u32_e64 v12, null, 0, v12, vcc_lo
	v_lshrrev_b32_e32 v59, v60, v59
; %bb.2424:                             ;   in Loop: Header=BB4_1868 Depth=2
	s_andn2_saveexec_b32 s12, s12
; %bb.2425:                             ;   in Loop: Header=BB4_1868 Depth=2
	v_bfe_u32 v12, v59, 23, 1
; %bb.2426:                             ;   in Loop: Header=BB4_1868 Depth=2
	s_or_b32 exec_lo, exec_lo, s12
	v_lshrrev_b32_e32 v59, 20, v59
	v_min_i32_e32 v60, 15, v12
	v_cmp_gt_i32_e32 vcc_lo, 16, v12
	v_and_b32_sdwa v16, v16, v97 dst_sel:DWORD dst_unused:UNUSED_PAD src0_sel:BYTE_3 src1_sel:DWORD
	v_lshlrev_b32_e32 v60, 3, v60
	v_cndmask_b32_e32 v59, 7, v59, vcc_lo
	v_and_b32_e32 v60, 0xf8, v60
	v_and_b32_e32 v61, 7, v59
	v_or_b32_e32 v12, v12, v59
	v_or3_b32 v16, v16, v60, v61
	v_cmp_ne_u32_e32 vcc_lo, 0, v12
	v_lshlrev_b32_e32 v16, 8, v16
	v_cndmask_b32_e32 v12, 0, v16, vcc_lo
.LBB4_2427:                             ;   in Loop: Header=BB4_1868 Depth=2
	s_or_b32 exec_lo, exec_lo, s27
.LBB4_2428:                             ;   in Loop: Header=BB4_1868 Depth=2
	s_or_b32 exec_lo, exec_lo, s26
	v_cmp_gt_i16_sdwa s26, v17, v96 src0_sel:BYTE_0 src1_sel:DWORD
	s_mov_b32 s12, 0
	s_and_saveexec_b32 s27, s26
	s_xor_b32 s26, exec_lo, s27
	s_cbranch_execz .LBB4_2618
; %bb.2429:                             ;   in Loop: Header=BB4_1868 Depth=2
	v_cmp_eq_u16_sdwa s28, v17, v97 src0_sel:BYTE_0 src1_sel:DWORD
	s_mov_b32 s12, -1
	s_and_saveexec_b32 s27, s28
; %bb.2430:                             ;   in Loop: Header=BB4_1868 Depth=2
	s_xor_b32 s12, exec_lo, -1
; %bb.2431:                             ;   in Loop: Header=BB4_1868 Depth=2
	s_or_b32 exec_lo, exec_lo, s27
	s_and_b32 s12, s12, exec_lo
	s_or_saveexec_b32 s26, s26
	v_mov_b32_e32 v16, 0x7f800001
	s_xor_b32 exec_lo, exec_lo, s26
	s_cbranch_execnz .LBB4_2619
.LBB4_2432:                             ;   in Loop: Header=BB4_1868 Depth=2
	s_or_b32 exec_lo, exec_lo, s26
	s_and_saveexec_b32 s26, s12
	s_cbranch_execz .LBB4_2434
.LBB4_2433:                             ;   in Loop: Header=BB4_1868 Depth=2
	v_and_b32_e32 v16, 7, v17
	v_bfe_u32 v61, v17, 3, 4
	v_lshlrev_b32_e32 v62, 24, v17
	v_ffbh_u32_e32 v59, v16
	v_cmp_eq_u32_e32 vcc_lo, 0, v61
	v_min_u32_e32 v59, 32, v59
	v_subrev_nc_u32_e32 v60, 28, v59
	v_sub_nc_u32_e32 v59, 29, v59
	v_lshlrev_b32_e32 v60, v60, v17
	v_cndmask_b32_e32 v59, v61, v59, vcc_lo
	v_and_b32_e32 v60, 7, v60
	v_lshl_add_u32 v59, v59, 23, 0x3b800000
	v_cndmask_b32_e32 v16, v16, v60, vcc_lo
	v_and_b32_e32 v60, 0x80000000, v62
	v_lshlrev_b32_e32 v16, 20, v16
	v_or3_b32 v16, v60, v59, v16
.LBB4_2434:                             ;   in Loop: Header=BB4_1868 Depth=2
	s_or_b32 exec_lo, exec_lo, s26
	v_cmp_gt_i16_sdwa s26, v13, v96 src0_sel:BYTE_0 src1_sel:DWORD
	s_mov_b32 s12, 0
	s_and_saveexec_b32 s27, s26
	s_xor_b32 s26, exec_lo, s27
	s_cbranch_execz .LBB4_2620
; %bb.2435:                             ;   in Loop: Header=BB4_1868 Depth=2
	v_cmp_eq_u16_sdwa s28, v13, v97 src0_sel:BYTE_0 src1_sel:DWORD
	s_mov_b32 s12, -1
	s_and_saveexec_b32 s27, s28
; %bb.2436:                             ;   in Loop: Header=BB4_1868 Depth=2
	s_xor_b32 s12, exec_lo, -1
; %bb.2437:                             ;   in Loop: Header=BB4_1868 Depth=2
	s_or_b32 exec_lo, exec_lo, s27
	s_and_b32 s12, s12, exec_lo
	s_or_saveexec_b32 s26, s26
	v_mov_b32_e32 v59, 0x7f800001
	s_xor_b32 exec_lo, exec_lo, s26
	s_cbranch_execnz .LBB4_2621
.LBB4_2438:                             ;   in Loop: Header=BB4_1868 Depth=2
	s_or_b32 exec_lo, exec_lo, s26
	s_and_saveexec_b32 s26, s12
	s_cbranch_execz .LBB4_2440
.LBB4_2439:                             ;   in Loop: Header=BB4_1868 Depth=2
	v_and_b32_e32 v59, 7, v13
	v_bfe_u32 v62, v13, 3, 4
	v_lshlrev_b32_e32 v63, 24, v13
	v_ffbh_u32_e32 v60, v59
	v_cmp_eq_u32_e32 vcc_lo, 0, v62
	v_min_u32_e32 v60, 32, v60
	v_subrev_nc_u32_e32 v61, 28, v60
	v_sub_nc_u32_e32 v60, 29, v60
	v_lshlrev_b32_e32 v61, v61, v13
	v_cndmask_b32_e32 v60, v62, v60, vcc_lo
	v_and_b32_e32 v61, 7, v61
	v_lshl_add_u32 v60, v60, 23, 0x3b800000
	v_cndmask_b32_e32 v59, v59, v61, vcc_lo
	v_and_b32_e32 v61, 0x80000000, v63
	v_lshlrev_b32_e32 v59, 20, v59
	v_or3_b32 v59, v61, v60, v59
.LBB4_2440:                             ;   in Loop: Header=BB4_1868 Depth=2
	s_or_b32 exec_lo, exec_lo, s26
	v_add_f32_e32 v59, v16, v59
	v_and_b32_e32 v16, 0x7f800000, v59
	v_cmp_ne_u32_e32 vcc_lo, 0x7f800000, v16
	v_mov_b32_e32 v16, 0x80
	s_and_saveexec_b32 s26, vcc_lo
	s_cbranch_execz .LBB4_2448
; %bb.2441:                             ;   in Loop: Header=BB4_1868 Depth=2
	v_mov_b32_e32 v16, 0
	s_mov_b32 s27, exec_lo
	v_cmpx_ne_u32_e32 0, v59
	s_cbranch_execz .LBB4_2447
; %bb.2442:                             ;   in Loop: Header=BB4_1868 Depth=2
	v_bfe_u32 v16, v59, 23, 8
	v_and_b32_e32 v60, 0x7fffff, v59
	v_sub_nc_u32_e32 v61, 0x78, v16
	v_cmp_gt_u32_e32 vcc_lo, 0x79, v16
	v_or_b32_e32 v62, 0x800000, v60
	v_cndmask_b32_e32 v61, 0, v61, vcc_lo
	v_cmp_eq_u32_e32 vcc_lo, 0, v16
	v_add_nc_u32_e32 v16, 0xffffff89, v16
	v_cndmask_b32_e64 v61, v61, 0x77, vcc_lo
	v_cndmask_b32_e32 v60, v62, v60, vcc_lo
	v_cndmask_b32_e64 v16, v16, 0xffffff8a, vcc_lo
	v_lshl_add_u32 v62, 0x100000, v61, -1
	v_lshrrev_b32_e32 v63, v61, v60
	v_lshlrev_b32_e64 v73, v61, 0x80000
	v_add_nc_u32_e32 v61, v61, v16
	v_and_b32_e32 v60, v62, v60
	v_bfe_u32 v72, v63, 20, 1
	v_cmp_eq_u32_e64 s12, v60, v73
	v_add_nc_u32_e32 v62, -1, v72
	v_cndmask_b32_e64 v60, 0, v62, s12
	v_lshrrev_b32_e32 v62, 23, v63
	s_mov_b32 s12, exec_lo
	v_add_nc_u32_e32 v60, v60, v63
	v_xor_b32_e32 v62, 1, v62
	v_and_b32_e32 v16, 0xfffff, v60
	v_add_nc_u32_e32 v60, v16, v63
                                        ; implicit-def: $vgpr16
	v_cmpx_ne_u32_e64 v61, v62
	s_xor_b32 s12, exec_lo, s12
; %bb.2443:                             ;   in Loop: Header=BB4_1868 Depth=2
	v_cmp_lt_u32_e32 vcc_lo, 0xffffff, v60
	v_sub_nc_u32_e32 v16, v61, v62
	v_cndmask_b32_e64 v61, 0, 1, vcc_lo
	v_add_co_ci_u32_e64 v16, null, 0, v16, vcc_lo
	v_lshrrev_b32_e32 v60, v61, v60
; %bb.2444:                             ;   in Loop: Header=BB4_1868 Depth=2
	s_andn2_saveexec_b32 s12, s12
; %bb.2445:                             ;   in Loop: Header=BB4_1868 Depth=2
	v_bfe_u32 v16, v60, 23, 1
; %bb.2446:                             ;   in Loop: Header=BB4_1868 Depth=2
	s_or_b32 exec_lo, exec_lo, s12
	v_lshrrev_b32_e32 v60, 20, v60
	v_min_i32_e32 v61, 15, v16
	v_cmp_gt_i32_e32 vcc_lo, 16, v16
	v_and_b32_sdwa v59, v59, v97 dst_sel:DWORD dst_unused:UNUSED_PAD src0_sel:BYTE_3 src1_sel:DWORD
	v_lshlrev_b32_e32 v61, 3, v61
	v_cndmask_b32_e32 v60, 7, v60, vcc_lo
	v_and_b32_e32 v61, 0xf8, v61
	v_and_b32_e32 v62, 7, v60
	v_or_b32_e32 v16, v16, v60
	v_or3_b32 v59, v61, v59, v62
	v_cmp_ne_u32_e32 vcc_lo, 0, v16
	v_cndmask_b32_e32 v16, 0, v59, vcc_lo
.LBB4_2447:                             ;   in Loop: Header=BB4_1868 Depth=2
	s_or_b32 exec_lo, exec_lo, s27
.LBB4_2448:                             ;   in Loop: Header=BB4_1868 Depth=2
	s_or_b32 exec_lo, exec_lo, s26
	v_cmp_gt_i16_sdwa s26, v17, v96 src0_sel:BYTE_1 src1_sel:DWORD
	s_mov_b32 s12, 0
	s_and_saveexec_b32 s27, s26
	s_xor_b32 s26, exec_lo, s27
	s_cbranch_execz .LBB4_2622
; %bb.2449:                             ;   in Loop: Header=BB4_1868 Depth=2
	v_cmp_eq_u16_sdwa s28, v17, v97 src0_sel:BYTE_1 src1_sel:DWORD
	s_mov_b32 s12, -1
	s_and_saveexec_b32 s27, s28
; %bb.2450:                             ;   in Loop: Header=BB4_1868 Depth=2
	s_xor_b32 s12, exec_lo, -1
; %bb.2451:                             ;   in Loop: Header=BB4_1868 Depth=2
	s_or_b32 exec_lo, exec_lo, s27
	s_and_b32 s12, s12, exec_lo
	s_or_saveexec_b32 s26, s26
	v_mov_b32_e32 v59, 0x7f800001
	s_xor_b32 exec_lo, exec_lo, s26
	s_cbranch_execnz .LBB4_2623
.LBB4_2452:                             ;   in Loop: Header=BB4_1868 Depth=2
	s_or_b32 exec_lo, exec_lo, s26
	s_and_saveexec_b32 s26, s12
	s_cbranch_execz .LBB4_2454
.LBB4_2453:                             ;   in Loop: Header=BB4_1868 Depth=2
	v_and_b32_sdwa v59, v98, v17 dst_sel:DWORD dst_unused:UNUSED_PAD src0_sel:DWORD src1_sel:BYTE_1
	v_and_b32_e32 v60, 7, v59
	v_bfe_u32 v63, v59, 3, 4
	v_ffbh_u32_e32 v61, v60
	v_cmp_eq_u32_e32 vcc_lo, 0, v63
	v_min_u32_e32 v61, 32, v61
	v_subrev_nc_u32_e32 v62, 28, v61
	v_sub_nc_u32_e32 v61, 29, v61
	v_lshlrev_b32_e32 v59, v62, v59
	v_lshlrev_b32_sdwa v62, v100, v17 dst_sel:DWORD dst_unused:UNUSED_PAD src0_sel:DWORD src1_sel:BYTE_1
	v_cndmask_b32_e32 v61, v63, v61, vcc_lo
	v_and_b32_e32 v59, 7, v59
	v_lshl_add_u32 v61, v61, 23, 0x3b800000
	v_cndmask_b32_e32 v59, v60, v59, vcc_lo
	v_and_b32_e32 v60, 0x80000000, v62
	v_lshlrev_b32_e32 v59, 20, v59
	v_or3_b32 v59, v60, v61, v59
.LBB4_2454:                             ;   in Loop: Header=BB4_1868 Depth=2
	s_or_b32 exec_lo, exec_lo, s26
	v_cmp_gt_i16_sdwa s26, v13, v96 src0_sel:BYTE_1 src1_sel:DWORD
	s_mov_b32 s12, 0
	s_and_saveexec_b32 s27, s26
	s_xor_b32 s26, exec_lo, s27
	s_cbranch_execz .LBB4_2624
; %bb.2455:                             ;   in Loop: Header=BB4_1868 Depth=2
	v_cmp_eq_u16_sdwa s28, v13, v97 src0_sel:BYTE_1 src1_sel:DWORD
	s_mov_b32 s12, -1
	s_and_saveexec_b32 s27, s28
; %bb.2456:                             ;   in Loop: Header=BB4_1868 Depth=2
	s_xor_b32 s12, exec_lo, -1
; %bb.2457:                             ;   in Loop: Header=BB4_1868 Depth=2
	s_or_b32 exec_lo, exec_lo, s27
	s_and_b32 s12, s12, exec_lo
	s_or_saveexec_b32 s26, s26
	v_mov_b32_e32 v60, 0x7f800001
	s_xor_b32 exec_lo, exec_lo, s26
	s_cbranch_execnz .LBB4_2625
.LBB4_2458:                             ;   in Loop: Header=BB4_1868 Depth=2
	s_or_b32 exec_lo, exec_lo, s26
	s_and_saveexec_b32 s26, s12
	s_cbranch_execz .LBB4_2460
.LBB4_2459:                             ;   in Loop: Header=BB4_1868 Depth=2
	v_and_b32_sdwa v60, v98, v13 dst_sel:DWORD dst_unused:UNUSED_PAD src0_sel:DWORD src1_sel:BYTE_1
	v_and_b32_e32 v61, 7, v60
	v_bfe_u32 v72, v60, 3, 4
	v_ffbh_u32_e32 v62, v61
	v_cmp_eq_u32_e32 vcc_lo, 0, v72
	v_min_u32_e32 v62, 32, v62
	v_subrev_nc_u32_e32 v63, 28, v62
	v_sub_nc_u32_e32 v62, 29, v62
	v_lshlrev_b32_e32 v60, v63, v60
	v_lshlrev_b32_sdwa v63, v100, v13 dst_sel:DWORD dst_unused:UNUSED_PAD src0_sel:DWORD src1_sel:BYTE_1
	v_cndmask_b32_e32 v62, v72, v62, vcc_lo
	v_and_b32_e32 v60, 7, v60
	v_lshl_add_u32 v62, v62, 23, 0x3b800000
	v_cndmask_b32_e32 v60, v61, v60, vcc_lo
	v_and_b32_e32 v61, 0x80000000, v63
	v_lshlrev_b32_e32 v60, 20, v60
	v_or3_b32 v60, v61, v62, v60
.LBB4_2460:                             ;   in Loop: Header=BB4_1868 Depth=2
	s_or_b32 exec_lo, exec_lo, s26
	v_add_f32_e32 v60, v59, v60
	v_and_b32_e32 v59, 0x7f800000, v60
	v_cmp_ne_u32_e32 vcc_lo, 0x7f800000, v59
	v_mov_b32_e32 v59, 0x8000
	s_and_saveexec_b32 s26, vcc_lo
	s_cbranch_execz .LBB4_2468
; %bb.2461:                             ;   in Loop: Header=BB4_1868 Depth=2
	v_mov_b32_e32 v59, 0
	s_mov_b32 s27, exec_lo
	v_cmpx_ne_u32_e32 0, v60
	s_cbranch_execz .LBB4_2467
; %bb.2462:                             ;   in Loop: Header=BB4_1868 Depth=2
	v_bfe_u32 v59, v60, 23, 8
	v_and_b32_e32 v61, 0x7fffff, v60
	v_sub_nc_u32_e32 v62, 0x78, v59
	v_cmp_gt_u32_e32 vcc_lo, 0x79, v59
	v_or_b32_e32 v63, 0x800000, v61
	v_cndmask_b32_e32 v62, 0, v62, vcc_lo
	v_cmp_eq_u32_e32 vcc_lo, 0, v59
	v_add_nc_u32_e32 v59, 0xffffff89, v59
	v_cndmask_b32_e64 v62, v62, 0x77, vcc_lo
	v_cndmask_b32_e32 v61, v63, v61, vcc_lo
	v_cndmask_b32_e64 v59, v59, 0xffffff8a, vcc_lo
	v_lshl_add_u32 v63, 0x100000, v62, -1
	v_lshrrev_b32_e32 v72, v62, v61
	v_lshlrev_b32_e64 v74, v62, 0x80000
	v_add_nc_u32_e32 v62, v62, v59
	v_and_b32_e32 v61, v63, v61
	v_bfe_u32 v73, v72, 20, 1
	v_cmp_eq_u32_e64 s12, v61, v74
	v_add_nc_u32_e32 v63, -1, v73
	v_cndmask_b32_e64 v61, 0, v63, s12
	v_lshrrev_b32_e32 v63, 23, v72
	s_mov_b32 s12, exec_lo
	v_add_nc_u32_e32 v61, v61, v72
	v_xor_b32_e32 v63, 1, v63
	v_and_b32_e32 v59, 0xfffff, v61
	v_add_nc_u32_e32 v61, v59, v72
                                        ; implicit-def: $vgpr59
	v_cmpx_ne_u32_e64 v62, v63
	s_xor_b32 s12, exec_lo, s12
; %bb.2463:                             ;   in Loop: Header=BB4_1868 Depth=2
	v_cmp_lt_u32_e32 vcc_lo, 0xffffff, v61
	v_sub_nc_u32_e32 v59, v62, v63
	v_cndmask_b32_e64 v62, 0, 1, vcc_lo
	v_add_co_ci_u32_e64 v59, null, 0, v59, vcc_lo
	v_lshrrev_b32_e32 v61, v62, v61
; %bb.2464:                             ;   in Loop: Header=BB4_1868 Depth=2
	s_andn2_saveexec_b32 s12, s12
; %bb.2465:                             ;   in Loop: Header=BB4_1868 Depth=2
	v_bfe_u32 v59, v61, 23, 1
; %bb.2466:                             ;   in Loop: Header=BB4_1868 Depth=2
	s_or_b32 exec_lo, exec_lo, s12
	v_lshrrev_b32_e32 v61, 20, v61
	v_min_i32_e32 v62, 15, v59
	v_cmp_gt_i32_e32 vcc_lo, 16, v59
	v_and_b32_sdwa v60, v60, v97 dst_sel:DWORD dst_unused:UNUSED_PAD src0_sel:BYTE_3 src1_sel:DWORD
	v_lshlrev_b32_e32 v62, 3, v62
	v_cndmask_b32_e32 v61, 7, v61, vcc_lo
	v_and_b32_e32 v62, 0xf8, v62
	v_and_b32_e32 v63, 7, v61
	v_or_b32_e32 v59, v59, v61
	v_or3_b32 v60, v60, v62, v63
	v_cmp_ne_u32_e32 vcc_lo, 0, v59
	v_lshlrev_b32_e32 v60, 8, v60
	v_cndmask_b32_e32 v59, 0, v60, vcc_lo
.LBB4_2467:                             ;   in Loop: Header=BB4_1868 Depth=2
	s_or_b32 exec_lo, exec_lo, s27
.LBB4_2468:                             ;   in Loop: Header=BB4_1868 Depth=2
	s_or_b32 exec_lo, exec_lo, s26
	v_and_b32_sdwa v61, v17, v113 dst_sel:DWORD dst_unused:UNUSED_PAD src0_sel:WORD_1 src1_sel:DWORD
	s_mov_b32 s12, 0
	s_mov_b32 s26, exec_lo
	v_cmpx_lt_i16_e32 0x7f, v61
	s_xor_b32 s26, exec_lo, s26
	s_cbranch_execz .LBB4_2626
; %bb.2469:                             ;   in Loop: Header=BB4_1868 Depth=2
	s_mov_b32 s12, -1
	s_mov_b32 s27, exec_lo
	v_cmpx_eq_u16_e32 0x80, v61
; %bb.2470:                             ;   in Loop: Header=BB4_1868 Depth=2
	s_xor_b32 s12, exec_lo, -1
; %bb.2471:                             ;   in Loop: Header=BB4_1868 Depth=2
	s_or_b32 exec_lo, exec_lo, s27
	s_and_b32 s12, s12, exec_lo
                                        ; implicit-def: $vgpr61
	s_or_saveexec_b32 s26, s26
	v_mov_b32_e32 v60, 0x7f800001
	s_xor_b32 exec_lo, exec_lo, s26
	s_cbranch_execnz .LBB4_2627
.LBB4_2472:                             ;   in Loop: Header=BB4_1868 Depth=2
	s_or_b32 exec_lo, exec_lo, s26
	s_and_saveexec_b32 s26, s12
	s_cbranch_execz .LBB4_2474
.LBB4_2473:                             ;   in Loop: Header=BB4_1868 Depth=2
	v_bfe_u32 v60, v17, 16, 3
	v_bfe_u32 v63, v17, 19, 4
	v_lshlrev_b32_e32 v72, 8, v17
	v_ffbh_u32_e32 v61, v60
	v_cmp_eq_u32_e32 vcc_lo, 0, v63
	v_min_u32_e32 v61, 32, v61
	v_subrev_nc_u32_e32 v62, 28, v61
	v_sub_nc_u32_e32 v61, 29, v61
	v_lshlrev_b32_sdwa v62, v62, v17 dst_sel:DWORD dst_unused:UNUSED_PAD src0_sel:DWORD src1_sel:WORD_1
	v_cndmask_b32_e32 v61, v63, v61, vcc_lo
	v_and_b32_e32 v62, 7, v62
	v_lshl_add_u32 v61, v61, 23, 0x3b800000
	v_cndmask_b32_e32 v60, v60, v62, vcc_lo
	v_and_b32_e32 v62, 0x80000000, v72
	v_lshlrev_b32_e32 v60, 20, v60
	v_or3_b32 v60, v62, v61, v60
.LBB4_2474:                             ;   in Loop: Header=BB4_1868 Depth=2
	s_or_b32 exec_lo, exec_lo, s26
	v_and_b32_sdwa v62, v13, v113 dst_sel:DWORD dst_unused:UNUSED_PAD src0_sel:WORD_1 src1_sel:DWORD
	s_mov_b32 s12, 0
	s_mov_b32 s26, exec_lo
	v_cmpx_lt_i16_e32 0x7f, v62
	s_xor_b32 s26, exec_lo, s26
	s_cbranch_execz .LBB4_2628
; %bb.2475:                             ;   in Loop: Header=BB4_1868 Depth=2
	s_mov_b32 s12, -1
	s_mov_b32 s27, exec_lo
	v_cmpx_eq_u16_e32 0x80, v62
; %bb.2476:                             ;   in Loop: Header=BB4_1868 Depth=2
	s_xor_b32 s12, exec_lo, -1
; %bb.2477:                             ;   in Loop: Header=BB4_1868 Depth=2
	s_or_b32 exec_lo, exec_lo, s27
	s_and_b32 s12, s12, exec_lo
                                        ; implicit-def: $vgpr62
	s_or_saveexec_b32 s26, s26
	v_mov_b32_e32 v61, 0x7f800001
	s_xor_b32 exec_lo, exec_lo, s26
	s_cbranch_execnz .LBB4_2629
.LBB4_2478:                             ;   in Loop: Header=BB4_1868 Depth=2
	s_or_b32 exec_lo, exec_lo, s26
	s_and_saveexec_b32 s26, s12
	s_cbranch_execz .LBB4_2480
.LBB4_2479:                             ;   in Loop: Header=BB4_1868 Depth=2
	v_bfe_u32 v61, v13, 16, 3
	v_bfe_u32 v72, v13, 19, 4
	v_lshlrev_b32_e32 v73, 8, v13
	v_ffbh_u32_e32 v62, v61
	v_cmp_eq_u32_e32 vcc_lo, 0, v72
	v_min_u32_e32 v62, 32, v62
	v_subrev_nc_u32_e32 v63, 28, v62
	v_sub_nc_u32_e32 v62, 29, v62
	v_lshlrev_b32_sdwa v63, v63, v13 dst_sel:DWORD dst_unused:UNUSED_PAD src0_sel:DWORD src1_sel:WORD_1
	v_cndmask_b32_e32 v62, v72, v62, vcc_lo
	v_and_b32_e32 v63, 7, v63
	v_lshl_add_u32 v62, v62, 23, 0x3b800000
	v_cndmask_b32_e32 v61, v61, v63, vcc_lo
	v_and_b32_e32 v63, 0x80000000, v73
	v_lshlrev_b32_e32 v61, 20, v61
	v_or3_b32 v61, v63, v62, v61
.LBB4_2480:                             ;   in Loop: Header=BB4_1868 Depth=2
	s_or_b32 exec_lo, exec_lo, s26
	v_add_f32_e32 v61, v60, v61
	v_and_b32_e32 v60, 0x7f800000, v61
	v_cmp_ne_u32_e32 vcc_lo, 0x7f800000, v60
	v_mov_b32_e32 v60, 0x80
	s_and_saveexec_b32 s26, vcc_lo
	s_cbranch_execz .LBB4_2488
; %bb.2481:                             ;   in Loop: Header=BB4_1868 Depth=2
	v_mov_b32_e32 v60, 0
	s_mov_b32 s27, exec_lo
	v_cmpx_ne_u32_e32 0, v61
	s_cbranch_execz .LBB4_2487
; %bb.2482:                             ;   in Loop: Header=BB4_1868 Depth=2
	v_bfe_u32 v60, v61, 23, 8
	v_and_b32_e32 v62, 0x7fffff, v61
	v_sub_nc_u32_e32 v63, 0x78, v60
	v_cmp_gt_u32_e32 vcc_lo, 0x79, v60
	v_or_b32_e32 v72, 0x800000, v62
	v_cndmask_b32_e32 v63, 0, v63, vcc_lo
	v_cmp_eq_u32_e32 vcc_lo, 0, v60
	v_add_nc_u32_e32 v60, 0xffffff89, v60
	v_cndmask_b32_e64 v63, v63, 0x77, vcc_lo
	v_cndmask_b32_e32 v62, v72, v62, vcc_lo
	v_cndmask_b32_e64 v60, v60, 0xffffff8a, vcc_lo
	v_lshl_add_u32 v72, 0x100000, v63, -1
	v_lshrrev_b32_e32 v73, v63, v62
	v_lshlrev_b32_e64 v75, v63, 0x80000
	v_add_nc_u32_e32 v63, v63, v60
	v_and_b32_e32 v62, v72, v62
	v_bfe_u32 v74, v73, 20, 1
	v_cmp_eq_u32_e64 s12, v62, v75
	v_add_nc_u32_e32 v72, -1, v74
	v_cndmask_b32_e64 v62, 0, v72, s12
	v_lshrrev_b32_e32 v72, 23, v73
	s_mov_b32 s12, exec_lo
	v_add_nc_u32_e32 v62, v62, v73
	v_xor_b32_e32 v72, 1, v72
	v_and_b32_e32 v60, 0xfffff, v62
	v_add_nc_u32_e32 v62, v60, v73
                                        ; implicit-def: $vgpr60
	v_cmpx_ne_u32_e64 v63, v72
	s_xor_b32 s12, exec_lo, s12
; %bb.2483:                             ;   in Loop: Header=BB4_1868 Depth=2
	v_cmp_lt_u32_e32 vcc_lo, 0xffffff, v62
	v_sub_nc_u32_e32 v60, v63, v72
	v_cndmask_b32_e64 v63, 0, 1, vcc_lo
	v_add_co_ci_u32_e64 v60, null, 0, v60, vcc_lo
	v_lshrrev_b32_e32 v62, v63, v62
; %bb.2484:                             ;   in Loop: Header=BB4_1868 Depth=2
	s_andn2_saveexec_b32 s12, s12
; %bb.2485:                             ;   in Loop: Header=BB4_1868 Depth=2
	v_bfe_u32 v60, v62, 23, 1
; %bb.2486:                             ;   in Loop: Header=BB4_1868 Depth=2
	s_or_b32 exec_lo, exec_lo, s12
	v_lshrrev_b32_e32 v62, 20, v62
	v_min_i32_e32 v63, 15, v60
	v_cmp_gt_i32_e32 vcc_lo, 16, v60
	v_and_b32_sdwa v61, v61, v97 dst_sel:DWORD dst_unused:UNUSED_PAD src0_sel:BYTE_3 src1_sel:DWORD
	v_lshlrev_b32_e32 v63, 3, v63
	v_cndmask_b32_e32 v62, 7, v62, vcc_lo
	v_and_b32_e32 v63, 0xf8, v63
	v_and_b32_e32 v72, 7, v62
	v_or_b32_e32 v60, v60, v62
	v_or3_b32 v61, v63, v61, v72
	v_cmp_ne_u32_e32 vcc_lo, 0, v60
	v_cndmask_b32_e32 v60, 0, v61, vcc_lo
.LBB4_2487:                             ;   in Loop: Header=BB4_1868 Depth=2
	s_or_b32 exec_lo, exec_lo, s27
.LBB4_2488:                             ;   in Loop: Header=BB4_1868 Depth=2
	s_or_b32 exec_lo, exec_lo, s26
	v_cmp_gt_i16_sdwa s26, v17, v96 src0_sel:BYTE_3 src1_sel:DWORD
	s_mov_b32 s12, 0
	s_and_saveexec_b32 s27, s26
	s_xor_b32 s26, exec_lo, s27
	s_cbranch_execz .LBB4_2630
; %bb.2489:                             ;   in Loop: Header=BB4_1868 Depth=2
	v_cmp_eq_u16_sdwa s28, v17, v97 src0_sel:BYTE_3 src1_sel:DWORD
	s_mov_b32 s12, -1
	s_and_saveexec_b32 s27, s28
; %bb.2490:                             ;   in Loop: Header=BB4_1868 Depth=2
	s_xor_b32 s12, exec_lo, -1
; %bb.2491:                             ;   in Loop: Header=BB4_1868 Depth=2
	s_or_b32 exec_lo, exec_lo, s27
	s_and_b32 s12, s12, exec_lo
	s_or_saveexec_b32 s26, s26
	v_mov_b32_e32 v61, 0x7f800001
	s_xor_b32 exec_lo, exec_lo, s26
	s_cbranch_execnz .LBB4_2631
.LBB4_2492:                             ;   in Loop: Header=BB4_1868 Depth=2
	s_or_b32 exec_lo, exec_lo, s26
	s_and_saveexec_b32 s26, s12
	s_cbranch_execz .LBB4_2494
.LBB4_2493:                             ;   in Loop: Header=BB4_1868 Depth=2
	v_bfe_u32 v61, v17, 24, 3
	v_bfe_u32 v72, v17, 27, 4
	v_ffbh_u32_e32 v62, v61
	v_cmp_eq_u32_e32 vcc_lo, 0, v72
	v_min_u32_e32 v62, 32, v62
	v_subrev_nc_u32_e32 v63, 28, v62
	v_sub_nc_u32_e32 v62, 29, v62
	v_lshlrev_b32_sdwa v63, v63, v17 dst_sel:DWORD dst_unused:UNUSED_PAD src0_sel:DWORD src1_sel:BYTE_3
	v_cndmask_b32_e32 v62, v72, v62, vcc_lo
	v_and_b32_e32 v17, 0x80000000, v17
	v_and_b32_e32 v63, 7, v63
	v_lshl_add_u32 v62, v62, 23, 0x3b800000
	v_cndmask_b32_e32 v61, v61, v63, vcc_lo
	v_lshlrev_b32_e32 v61, 20, v61
	v_or3_b32 v61, v17, v62, v61
.LBB4_2494:                             ;   in Loop: Header=BB4_1868 Depth=2
	s_or_b32 exec_lo, exec_lo, s26
	v_cmp_gt_i16_sdwa s26, v13, v96 src0_sel:BYTE_3 src1_sel:DWORD
	s_mov_b32 s12, 0
	s_and_saveexec_b32 s27, s26
	s_xor_b32 s26, exec_lo, s27
	s_cbranch_execz .LBB4_2632
; %bb.2495:                             ;   in Loop: Header=BB4_1868 Depth=2
	v_cmp_eq_u16_sdwa s28, v13, v97 src0_sel:BYTE_3 src1_sel:DWORD
	s_mov_b32 s12, -1
	s_and_saveexec_b32 s27, s28
; %bb.2496:                             ;   in Loop: Header=BB4_1868 Depth=2
	s_xor_b32 s12, exec_lo, -1
; %bb.2497:                             ;   in Loop: Header=BB4_1868 Depth=2
	s_or_b32 exec_lo, exec_lo, s27
	s_and_b32 s12, s12, exec_lo
	s_or_saveexec_b32 s26, s26
	v_mov_b32_e32 v17, 0x7f800001
	s_xor_b32 exec_lo, exec_lo, s26
	s_cbranch_execnz .LBB4_2633
.LBB4_2498:                             ;   in Loop: Header=BB4_1868 Depth=2
	s_or_b32 exec_lo, exec_lo, s26
	s_and_saveexec_b32 s26, s12
	s_cbranch_execz .LBB4_2500
.LBB4_2499:                             ;   in Loop: Header=BB4_1868 Depth=2
	v_bfe_u32 v17, v13, 24, 3
	v_bfe_u32 v72, v13, 27, 4
	v_ffbh_u32_e32 v62, v17
	v_cmp_eq_u32_e32 vcc_lo, 0, v72
	v_min_u32_e32 v62, 32, v62
	v_subrev_nc_u32_e32 v63, 28, v62
	v_sub_nc_u32_e32 v62, 29, v62
	v_lshlrev_b32_sdwa v63, v63, v13 dst_sel:DWORD dst_unused:UNUSED_PAD src0_sel:DWORD src1_sel:BYTE_3
	v_cndmask_b32_e32 v62, v72, v62, vcc_lo
	v_and_b32_e32 v13, 0x80000000, v13
	v_and_b32_e32 v63, 7, v63
	v_lshl_add_u32 v62, v62, 23, 0x3b800000
	v_cndmask_b32_e32 v17, v17, v63, vcc_lo
	v_lshlrev_b32_e32 v17, 20, v17
	v_or3_b32 v17, v13, v62, v17
.LBB4_2500:                             ;   in Loop: Header=BB4_1868 Depth=2
	s_or_b32 exec_lo, exec_lo, s26
	v_add_f32_e32 v13, v61, v17
	v_and_b32_e32 v17, 0x7f800000, v13
	v_cmp_ne_u32_e32 vcc_lo, 0x7f800000, v17
	v_mov_b32_e32 v17, 0x8000
	s_and_saveexec_b32 s26, vcc_lo
	s_cbranch_execz .LBB4_1867
; %bb.2501:                             ;   in Loop: Header=BB4_1868 Depth=2
	v_mov_b32_e32 v17, 0
	s_mov_b32 s27, exec_lo
	v_cmpx_ne_u32_e32 0, v13
	s_cbranch_execz .LBB4_1866
; %bb.2502:                             ;   in Loop: Header=BB4_1868 Depth=2
	v_bfe_u32 v17, v13, 23, 8
	v_and_b32_e32 v61, 0x7fffff, v13
	v_sub_nc_u32_e32 v62, 0x78, v17
	v_cmp_gt_u32_e32 vcc_lo, 0x79, v17
	v_or_b32_e32 v63, 0x800000, v61
	v_cndmask_b32_e32 v62, 0, v62, vcc_lo
	v_cmp_eq_u32_e32 vcc_lo, 0, v17
	v_add_nc_u32_e32 v17, 0xffffff89, v17
	v_cndmask_b32_e64 v62, v62, 0x77, vcc_lo
	v_cndmask_b32_e32 v61, v63, v61, vcc_lo
	v_cndmask_b32_e64 v17, v17, 0xffffff8a, vcc_lo
	v_lshl_add_u32 v63, 0x100000, v62, -1
	v_lshrrev_b32_e32 v72, v62, v61
	v_lshlrev_b32_e64 v74, v62, 0x80000
	v_add_nc_u32_e32 v62, v62, v17
	v_and_b32_e32 v61, v63, v61
	v_bfe_u32 v73, v72, 20, 1
	v_cmp_eq_u32_e64 s12, v61, v74
	v_add_nc_u32_e32 v63, -1, v73
	v_cndmask_b32_e64 v61, 0, v63, s12
	v_lshrrev_b32_e32 v63, 23, v72
	s_mov_b32 s12, exec_lo
	v_add_nc_u32_e32 v61, v61, v72
	v_xor_b32_e32 v63, 1, v63
	v_and_b32_e32 v17, 0xfffff, v61
	v_add_nc_u32_e32 v61, v17, v72
                                        ; implicit-def: $vgpr17
	v_cmpx_ne_u32_e64 v62, v63
	s_xor_b32 s12, exec_lo, s12
; %bb.2503:                             ;   in Loop: Header=BB4_1868 Depth=2
	v_cmp_lt_u32_e32 vcc_lo, 0xffffff, v61
	v_sub_nc_u32_e32 v17, v62, v63
	v_cndmask_b32_e64 v62, 0, 1, vcc_lo
	v_add_co_ci_u32_e64 v17, null, 0, v17, vcc_lo
	v_lshrrev_b32_e32 v61, v62, v61
; %bb.2504:                             ;   in Loop: Header=BB4_1868 Depth=2
	s_andn2_saveexec_b32 s12, s12
	s_cbranch_execz .LBB4_1865
; %bb.2505:                             ;   in Loop: Header=BB4_1868 Depth=2
	v_bfe_u32 v17, v61, 23, 1
	s_branch .LBB4_1865
.LBB4_2506:                             ;   in Loop: Header=BB4_1868 Depth=2
	s_or_saveexec_b32 s26, s26
	v_mov_b32_e32 v116, 0x7f800001
	s_xor_b32 exec_lo, exec_lo, s26
	s_cbranch_execz .LBB4_1872
.LBB4_2507:                             ;   in Loop: Header=BB4_1868 Depth=2
	v_cmp_ne_u16_sdwa s27, v22, v51 src0_sel:BYTE_0 src1_sel:DWORD
	v_mov_b32_e32 v116, 0
	s_andn2_b32 s12, s12, exec_lo
	s_and_b32 s27, s27, exec_lo
	s_or_b32 s12, s12, s27
	s_or_b32 exec_lo, exec_lo, s26
	s_and_saveexec_b32 s26, s12
	s_cbranch_execnz .LBB4_1873
	s_branch .LBB4_1874
.LBB4_2508:                             ;   in Loop: Header=BB4_1868 Depth=2
	s_or_saveexec_b32 s26, s26
	v_mov_b32_e32 v117, 0x7f800001
	s_xor_b32 exec_lo, exec_lo, s26
	s_cbranch_execz .LBB4_1878
.LBB4_2509:                             ;   in Loop: Header=BB4_1868 Depth=2
	v_cmp_ne_u16_sdwa s27, v18, v51 src0_sel:BYTE_0 src1_sel:DWORD
	v_mov_b32_e32 v117, 0
	s_andn2_b32 s12, s12, exec_lo
	s_and_b32 s27, s27, exec_lo
	s_or_b32 s12, s12, s27
	s_or_b32 exec_lo, exec_lo, s26
	s_and_saveexec_b32 s26, s12
	s_cbranch_execnz .LBB4_1879
	s_branch .LBB4_1880
.LBB4_2510:                             ;   in Loop: Header=BB4_1868 Depth=2
	s_or_saveexec_b32 s26, s26
	v_mov_b32_e32 v117, 0x7f800001
	s_xor_b32 exec_lo, exec_lo, s26
	s_cbranch_execz .LBB4_1892
.LBB4_2511:                             ;   in Loop: Header=BB4_1868 Depth=2
	v_cmp_ne_u16_sdwa s27, v22, v51 src0_sel:BYTE_1 src1_sel:DWORD
	v_mov_b32_e32 v117, 0
	s_andn2_b32 s12, s12, exec_lo
	s_and_b32 s27, s27, exec_lo
	s_or_b32 s12, s12, s27
	s_or_b32 exec_lo, exec_lo, s26
	s_and_saveexec_b32 s26, s12
	s_cbranch_execnz .LBB4_1893
	s_branch .LBB4_1894
.LBB4_2512:                             ;   in Loop: Header=BB4_1868 Depth=2
	s_or_saveexec_b32 s26, s26
	v_mov_b32_e32 v118, 0x7f800001
	s_xor_b32 exec_lo, exec_lo, s26
	s_cbranch_execz .LBB4_1898
.LBB4_2513:                             ;   in Loop: Header=BB4_1868 Depth=2
	v_cmp_ne_u16_sdwa s27, v18, v51 src0_sel:BYTE_1 src1_sel:DWORD
	v_mov_b32_e32 v118, 0
	s_andn2_b32 s12, s12, exec_lo
	s_and_b32 s27, s27, exec_lo
	s_or_b32 s12, s12, s27
	s_or_b32 exec_lo, exec_lo, s26
	s_and_saveexec_b32 s26, s12
	s_cbranch_execnz .LBB4_1899
	s_branch .LBB4_1900
.LBB4_2514:                             ;   in Loop: Header=BB4_1868 Depth=2
	s_or_saveexec_b32 s26, s26
	v_mov_b32_e32 v118, 0x7f800001
	s_xor_b32 exec_lo, exec_lo, s26
	s_cbranch_execz .LBB4_1912
.LBB4_2515:                             ;   in Loop: Header=BB4_1868 Depth=2
	v_cmp_ne_u16_e32 vcc_lo, 0, v119
	v_mov_b32_e32 v118, 0
	s_andn2_b32 s12, s12, exec_lo
	s_and_b32 s27, vcc_lo, exec_lo
	s_or_b32 s12, s12, s27
	s_or_b32 exec_lo, exec_lo, s26
	s_and_saveexec_b32 s26, s12
	s_cbranch_execnz .LBB4_1913
	s_branch .LBB4_1914
.LBB4_2516:                             ;   in Loop: Header=BB4_1868 Depth=2
	s_or_saveexec_b32 s26, s26
	v_mov_b32_e32 v119, 0x7f800001
	s_xor_b32 exec_lo, exec_lo, s26
	s_cbranch_execz .LBB4_1918
.LBB4_2517:                             ;   in Loop: Header=BB4_1868 Depth=2
	v_cmp_ne_u16_e32 vcc_lo, 0, v40
	v_mov_b32_e32 v119, 0
	s_andn2_b32 s12, s12, exec_lo
	s_and_b32 s27, vcc_lo, exec_lo
	s_or_b32 s12, s12, s27
	s_or_b32 exec_lo, exec_lo, s26
	s_and_saveexec_b32 s26, s12
	s_cbranch_execnz .LBB4_1919
	s_branch .LBB4_1920
.LBB4_2518:                             ;   in Loop: Header=BB4_1868 Depth=2
	s_or_saveexec_b32 s26, s26
	v_mov_b32_e32 v119, 0x7f800001
	s_xor_b32 exec_lo, exec_lo, s26
	s_cbranch_execz .LBB4_1932
.LBB4_2519:                             ;   in Loop: Header=BB4_1868 Depth=2
	v_cmp_ne_u16_sdwa s27, v22, v51 src0_sel:BYTE_3 src1_sel:DWORD
	v_mov_b32_e32 v119, 0
	s_andn2_b32 s12, s12, exec_lo
	s_and_b32 s27, s27, exec_lo
	s_or_b32 s12, s12, s27
	s_or_b32 exec_lo, exec_lo, s26
	s_and_saveexec_b32 s26, s12
	s_cbranch_execnz .LBB4_1933
	s_branch .LBB4_1934
.LBB4_2520:                             ;   in Loop: Header=BB4_1868 Depth=2
	s_or_saveexec_b32 s26, s26
	v_mov_b32_e32 v22, 0x7f800001
	s_xor_b32 exec_lo, exec_lo, s26
	s_cbranch_execz .LBB4_1938
.LBB4_2521:                             ;   in Loop: Header=BB4_1868 Depth=2
	v_cmp_ne_u16_sdwa s27, v18, v51 src0_sel:BYTE_3 src1_sel:DWORD
	v_mov_b32_e32 v22, 0
	s_andn2_b32 s12, s12, exec_lo
	s_and_b32 s27, s27, exec_lo
	s_or_b32 s12, s12, s27
	s_or_b32 exec_lo, exec_lo, s26
	s_and_saveexec_b32 s26, s12
	s_cbranch_execnz .LBB4_1939
	s_branch .LBB4_1940
.LBB4_2522:                             ;   in Loop: Header=BB4_1868 Depth=2
	s_or_saveexec_b32 s26, s26
	v_mov_b32_e32 v22, 0x7f800001
	s_xor_b32 exec_lo, exec_lo, s26
	s_cbranch_execz .LBB4_1952
.LBB4_2523:                             ;   in Loop: Header=BB4_1868 Depth=2
	v_cmp_ne_u16_sdwa s27, v23, v51 src0_sel:BYTE_0 src1_sel:DWORD
	v_mov_b32_e32 v22, 0
	s_andn2_b32 s12, s12, exec_lo
	s_and_b32 s27, s27, exec_lo
	s_or_b32 s12, s12, s27
	s_or_b32 exec_lo, exec_lo, s26
	s_and_saveexec_b32 s26, s12
	s_cbranch_execnz .LBB4_1953
	s_branch .LBB4_1954
.LBB4_2524:                             ;   in Loop: Header=BB4_1868 Depth=2
	s_or_saveexec_b32 s26, s26
	v_mov_b32_e32 v119, 0x7f800001
	s_xor_b32 exec_lo, exec_lo, s26
	s_cbranch_execz .LBB4_1958
.LBB4_2525:                             ;   in Loop: Header=BB4_1868 Depth=2
	v_cmp_ne_u16_sdwa s27, v19, v51 src0_sel:BYTE_0 src1_sel:DWORD
	v_mov_b32_e32 v119, 0
	s_andn2_b32 s12, s12, exec_lo
	s_and_b32 s27, s27, exec_lo
	s_or_b32 s12, s12, s27
	s_or_b32 exec_lo, exec_lo, s26
	s_and_saveexec_b32 s26, s12
	s_cbranch_execnz .LBB4_1959
	s_branch .LBB4_1960
.LBB4_2526:                             ;   in Loop: Header=BB4_1868 Depth=2
	s_or_saveexec_b32 s26, s26
	v_mov_b32_e32 v119, 0x7f800001
	s_xor_b32 exec_lo, exec_lo, s26
	s_cbranch_execz .LBB4_1972
.LBB4_2527:                             ;   in Loop: Header=BB4_1868 Depth=2
	v_cmp_ne_u16_sdwa s27, v23, v51 src0_sel:BYTE_1 src1_sel:DWORD
	v_mov_b32_e32 v119, 0
	s_andn2_b32 s12, s12, exec_lo
	s_and_b32 s27, s27, exec_lo
	s_or_b32 s12, s12, s27
	s_or_b32 exec_lo, exec_lo, s26
	s_and_saveexec_b32 s26, s12
	s_cbranch_execnz .LBB4_1973
	s_branch .LBB4_1974
.LBB4_2528:                             ;   in Loop: Header=BB4_1868 Depth=2
	s_or_saveexec_b32 s26, s26
	v_mov_b32_e32 v40, 0x7f800001
	s_xor_b32 exec_lo, exec_lo, s26
	s_cbranch_execz .LBB4_1978
.LBB4_2529:                             ;   in Loop: Header=BB4_1868 Depth=2
	v_cmp_ne_u16_sdwa s27, v19, v51 src0_sel:BYTE_1 src1_sel:DWORD
	v_mov_b32_e32 v40, 0
	s_andn2_b32 s12, s12, exec_lo
	s_and_b32 s27, s27, exec_lo
	s_or_b32 s12, s12, s27
	s_or_b32 exec_lo, exec_lo, s26
	s_and_saveexec_b32 s26, s12
	s_cbranch_execnz .LBB4_1979
	s_branch .LBB4_1980
.LBB4_2530:                             ;   in Loop: Header=BB4_1868 Depth=2
	s_or_saveexec_b32 s26, s26
	v_mov_b32_e32 v40, 0x7f800001
	s_xor_b32 exec_lo, exec_lo, s26
	s_cbranch_execz .LBB4_1992
.LBB4_2531:                             ;   in Loop: Header=BB4_1868 Depth=2
	v_cmp_ne_u16_e32 vcc_lo, 0, v41
	v_mov_b32_e32 v40, 0
	s_andn2_b32 s12, s12, exec_lo
	s_and_b32 s27, vcc_lo, exec_lo
	s_or_b32 s12, s12, s27
	s_or_b32 exec_lo, exec_lo, s26
	s_and_saveexec_b32 s26, s12
	s_cbranch_execnz .LBB4_1993
	s_branch .LBB4_1994
.LBB4_2532:                             ;   in Loop: Header=BB4_1868 Depth=2
	s_or_saveexec_b32 s26, s26
	v_mov_b32_e32 v41, 0x7f800001
	s_xor_b32 exec_lo, exec_lo, s26
	s_cbranch_execz .LBB4_1998
.LBB4_2533:                             ;   in Loop: Header=BB4_1868 Depth=2
	v_cmp_ne_u16_e32 vcc_lo, 0, v42
	v_mov_b32_e32 v41, 0
	s_andn2_b32 s12, s12, exec_lo
	s_and_b32 s27, vcc_lo, exec_lo
	s_or_b32 s12, s12, s27
	s_or_b32 exec_lo, exec_lo, s26
	s_and_saveexec_b32 s26, s12
	s_cbranch_execnz .LBB4_1999
	s_branch .LBB4_2000
.LBB4_2534:                             ;   in Loop: Header=BB4_1868 Depth=2
	s_or_saveexec_b32 s26, s26
	v_mov_b32_e32 v41, 0x7f800001
	s_xor_b32 exec_lo, exec_lo, s26
	s_cbranch_execz .LBB4_2012
.LBB4_2535:                             ;   in Loop: Header=BB4_1868 Depth=2
	v_cmp_ne_u16_sdwa s27, v23, v51 src0_sel:BYTE_3 src1_sel:DWORD
	v_mov_b32_e32 v41, 0
	s_andn2_b32 s12, s12, exec_lo
	s_and_b32 s27, s27, exec_lo
	s_or_b32 s12, s12, s27
	s_or_b32 exec_lo, exec_lo, s26
	s_and_saveexec_b32 s26, s12
	s_cbranch_execnz .LBB4_2013
	s_branch .LBB4_2014
.LBB4_2536:                             ;   in Loop: Header=BB4_1868 Depth=2
	s_or_saveexec_b32 s26, s26
	v_mov_b32_e32 v23, 0x7f800001
	s_xor_b32 exec_lo, exec_lo, s26
	s_cbranch_execz .LBB4_2018
.LBB4_2537:                             ;   in Loop: Header=BB4_1868 Depth=2
	v_cmp_ne_u16_sdwa s27, v19, v51 src0_sel:BYTE_3 src1_sel:DWORD
	v_mov_b32_e32 v23, 0
	s_andn2_b32 s12, s12, exec_lo
	s_and_b32 s27, s27, exec_lo
	s_or_b32 s12, s12, s27
	s_or_b32 exec_lo, exec_lo, s26
	s_and_saveexec_b32 s26, s12
	s_cbranch_execnz .LBB4_2019
	s_branch .LBB4_2020
.LBB4_2538:                             ;   in Loop: Header=BB4_1868 Depth=2
	s_or_saveexec_b32 s26, s26
	v_mov_b32_e32 v23, 0x7f800001
	s_xor_b32 exec_lo, exec_lo, s26
	s_cbranch_execz .LBB4_2032
.LBB4_2539:                             ;   in Loop: Header=BB4_1868 Depth=2
	v_cmp_ne_u16_sdwa s27, v24, v51 src0_sel:BYTE_0 src1_sel:DWORD
	v_mov_b32_e32 v23, 0
	s_andn2_b32 s12, s12, exec_lo
	s_and_b32 s27, s27, exec_lo
	s_or_b32 s12, s12, s27
	s_or_b32 exec_lo, exec_lo, s26
	s_and_saveexec_b32 s26, s12
	s_cbranch_execnz .LBB4_2033
	s_branch .LBB4_2034
.LBB4_2540:                             ;   in Loop: Header=BB4_1868 Depth=2
	s_or_saveexec_b32 s26, s26
	v_mov_b32_e32 v41, 0x7f800001
	s_xor_b32 exec_lo, exec_lo, s26
	s_cbranch_execz .LBB4_2038
.LBB4_2541:                             ;   in Loop: Header=BB4_1868 Depth=2
	v_cmp_ne_u16_sdwa s27, v20, v51 src0_sel:BYTE_0 src1_sel:DWORD
	v_mov_b32_e32 v41, 0
	s_andn2_b32 s12, s12, exec_lo
	s_and_b32 s27, s27, exec_lo
	s_or_b32 s12, s12, s27
	s_or_b32 exec_lo, exec_lo, s26
	s_and_saveexec_b32 s26, s12
	s_cbranch_execnz .LBB4_2039
	s_branch .LBB4_2040
.LBB4_2542:                             ;   in Loop: Header=BB4_1868 Depth=2
	s_or_saveexec_b32 s26, s26
	v_mov_b32_e32 v41, 0x7f800001
	s_xor_b32 exec_lo, exec_lo, s26
	s_cbranch_execz .LBB4_2052
.LBB4_2543:                             ;   in Loop: Header=BB4_1868 Depth=2
	v_cmp_ne_u16_sdwa s27, v24, v51 src0_sel:BYTE_1 src1_sel:DWORD
	v_mov_b32_e32 v41, 0
	s_andn2_b32 s12, s12, exec_lo
	s_and_b32 s27, s27, exec_lo
	s_or_b32 s12, s12, s27
	s_or_b32 exec_lo, exec_lo, s26
	s_and_saveexec_b32 s26, s12
	s_cbranch_execnz .LBB4_2053
	s_branch .LBB4_2054
.LBB4_2544:                             ;   in Loop: Header=BB4_1868 Depth=2
	s_or_saveexec_b32 s26, s26
	v_mov_b32_e32 v42, 0x7f800001
	s_xor_b32 exec_lo, exec_lo, s26
	s_cbranch_execz .LBB4_2058
.LBB4_2545:                             ;   in Loop: Header=BB4_1868 Depth=2
	v_cmp_ne_u16_sdwa s27, v20, v51 src0_sel:BYTE_1 src1_sel:DWORD
	v_mov_b32_e32 v42, 0
	s_andn2_b32 s12, s12, exec_lo
	s_and_b32 s27, s27, exec_lo
	s_or_b32 s12, s12, s27
	s_or_b32 exec_lo, exec_lo, s26
	s_and_saveexec_b32 s26, s12
	s_cbranch_execnz .LBB4_2059
	s_branch .LBB4_2060
.LBB4_2546:                             ;   in Loop: Header=BB4_1868 Depth=2
	s_or_saveexec_b32 s26, s26
	v_mov_b32_e32 v42, 0x7f800001
	s_xor_b32 exec_lo, exec_lo, s26
	s_cbranch_execz .LBB4_2072
.LBB4_2547:                             ;   in Loop: Header=BB4_1868 Depth=2
	v_cmp_ne_u16_e32 vcc_lo, 0, v43
	v_mov_b32_e32 v42, 0
	s_andn2_b32 s12, s12, exec_lo
	s_and_b32 s27, vcc_lo, exec_lo
	s_or_b32 s12, s12, s27
	s_or_b32 exec_lo, exec_lo, s26
	s_and_saveexec_b32 s26, s12
	s_cbranch_execnz .LBB4_2073
	s_branch .LBB4_2074
.LBB4_2548:                             ;   in Loop: Header=BB4_1868 Depth=2
	s_or_saveexec_b32 s26, s26
	v_mov_b32_e32 v43, 0x7f800001
	s_xor_b32 exec_lo, exec_lo, s26
	s_cbranch_execz .LBB4_2078
.LBB4_2549:                             ;   in Loop: Header=BB4_1868 Depth=2
	v_cmp_ne_u16_e32 vcc_lo, 0, v44
	v_mov_b32_e32 v43, 0
	s_andn2_b32 s12, s12, exec_lo
	s_and_b32 s27, vcc_lo, exec_lo
	s_or_b32 s12, s12, s27
	s_or_b32 exec_lo, exec_lo, s26
	s_and_saveexec_b32 s26, s12
	s_cbranch_execnz .LBB4_2079
	s_branch .LBB4_2080
.LBB4_2550:                             ;   in Loop: Header=BB4_1868 Depth=2
	s_or_saveexec_b32 s26, s26
	v_mov_b32_e32 v43, 0x7f800001
	s_xor_b32 exec_lo, exec_lo, s26
	s_cbranch_execz .LBB4_2092
.LBB4_2551:                             ;   in Loop: Header=BB4_1868 Depth=2
	v_cmp_ne_u16_sdwa s27, v24, v51 src0_sel:BYTE_3 src1_sel:DWORD
	v_mov_b32_e32 v43, 0
	s_andn2_b32 s12, s12, exec_lo
	s_and_b32 s27, s27, exec_lo
	s_or_b32 s12, s12, s27
	s_or_b32 exec_lo, exec_lo, s26
	s_and_saveexec_b32 s26, s12
	s_cbranch_execnz .LBB4_2093
	s_branch .LBB4_2094
.LBB4_2552:                             ;   in Loop: Header=BB4_1868 Depth=2
	s_or_saveexec_b32 s26, s26
	v_mov_b32_e32 v24, 0x7f800001
	s_xor_b32 exec_lo, exec_lo, s26
	s_cbranch_execz .LBB4_2098
.LBB4_2553:                             ;   in Loop: Header=BB4_1868 Depth=2
	v_cmp_ne_u16_sdwa s27, v20, v51 src0_sel:BYTE_3 src1_sel:DWORD
	v_mov_b32_e32 v24, 0
	s_andn2_b32 s12, s12, exec_lo
	s_and_b32 s27, s27, exec_lo
	s_or_b32 s12, s12, s27
	s_or_b32 exec_lo, exec_lo, s26
	s_and_saveexec_b32 s26, s12
	s_cbranch_execnz .LBB4_2099
	s_branch .LBB4_2100
.LBB4_2554:                             ;   in Loop: Header=BB4_1868 Depth=2
	s_or_saveexec_b32 s26, s26
	v_mov_b32_e32 v24, 0x7f800001
	s_xor_b32 exec_lo, exec_lo, s26
	s_cbranch_execz .LBB4_2112
.LBB4_2555:                             ;   in Loop: Header=BB4_1868 Depth=2
	v_cmp_ne_u16_sdwa s27, v25, v51 src0_sel:BYTE_0 src1_sel:DWORD
	v_mov_b32_e32 v24, 0
	s_andn2_b32 s12, s12, exec_lo
	s_and_b32 s27, s27, exec_lo
	s_or_b32 s12, s12, s27
	s_or_b32 exec_lo, exec_lo, s26
	s_and_saveexec_b32 s26, s12
	s_cbranch_execnz .LBB4_2113
	s_branch .LBB4_2114
.LBB4_2556:                             ;   in Loop: Header=BB4_1868 Depth=2
	s_or_saveexec_b32 s26, s26
	v_mov_b32_e32 v43, 0x7f800001
	s_xor_b32 exec_lo, exec_lo, s26
	s_cbranch_execz .LBB4_2118
.LBB4_2557:                             ;   in Loop: Header=BB4_1868 Depth=2
	v_cmp_ne_u16_sdwa s27, v21, v51 src0_sel:BYTE_0 src1_sel:DWORD
	v_mov_b32_e32 v43, 0
	s_andn2_b32 s12, s12, exec_lo
	s_and_b32 s27, s27, exec_lo
	s_or_b32 s12, s12, s27
	s_or_b32 exec_lo, exec_lo, s26
	s_and_saveexec_b32 s26, s12
	s_cbranch_execnz .LBB4_2119
	s_branch .LBB4_2120
.LBB4_2558:                             ;   in Loop: Header=BB4_1868 Depth=2
	s_or_saveexec_b32 s26, s26
	v_mov_b32_e32 v43, 0x7f800001
	s_xor_b32 exec_lo, exec_lo, s26
	s_cbranch_execz .LBB4_2132
.LBB4_2559:                             ;   in Loop: Header=BB4_1868 Depth=2
	v_cmp_ne_u16_sdwa s27, v25, v51 src0_sel:BYTE_1 src1_sel:DWORD
	v_mov_b32_e32 v43, 0
	s_andn2_b32 s12, s12, exec_lo
	s_and_b32 s27, s27, exec_lo
	s_or_b32 s12, s12, s27
	s_or_b32 exec_lo, exec_lo, s26
	s_and_saveexec_b32 s26, s12
	s_cbranch_execnz .LBB4_2133
	s_branch .LBB4_2134
.LBB4_2560:                             ;   in Loop: Header=BB4_1868 Depth=2
	s_or_saveexec_b32 s26, s26
	v_mov_b32_e32 v44, 0x7f800001
	s_xor_b32 exec_lo, exec_lo, s26
	s_cbranch_execz .LBB4_2138
.LBB4_2561:                             ;   in Loop: Header=BB4_1868 Depth=2
	v_cmp_ne_u16_sdwa s27, v21, v51 src0_sel:BYTE_1 src1_sel:DWORD
	v_mov_b32_e32 v44, 0
	s_andn2_b32 s12, s12, exec_lo
	s_and_b32 s27, s27, exec_lo
	s_or_b32 s12, s12, s27
	s_or_b32 exec_lo, exec_lo, s26
	s_and_saveexec_b32 s26, s12
	s_cbranch_execnz .LBB4_2139
	s_branch .LBB4_2140
.LBB4_2562:                             ;   in Loop: Header=BB4_1868 Depth=2
	s_or_saveexec_b32 s26, s26
	v_mov_b32_e32 v44, 0x7f800001
	s_xor_b32 exec_lo, exec_lo, s26
	s_cbranch_execz .LBB4_2152
.LBB4_2563:                             ;   in Loop: Header=BB4_1868 Depth=2
	v_cmp_ne_u16_e32 vcc_lo, 0, v45
	v_mov_b32_e32 v44, 0
	s_andn2_b32 s12, s12, exec_lo
	s_and_b32 s27, vcc_lo, exec_lo
	s_or_b32 s12, s12, s27
	s_or_b32 exec_lo, exec_lo, s26
	s_and_saveexec_b32 s26, s12
	s_cbranch_execnz .LBB4_2153
	s_branch .LBB4_2154
.LBB4_2564:                             ;   in Loop: Header=BB4_1868 Depth=2
	s_or_saveexec_b32 s26, s26
	v_mov_b32_e32 v45, 0x7f800001
	s_xor_b32 exec_lo, exec_lo, s26
	s_cbranch_execz .LBB4_2158
.LBB4_2565:                             ;   in Loop: Header=BB4_1868 Depth=2
	v_cmp_ne_u16_e32 vcc_lo, 0, v46
	v_mov_b32_e32 v45, 0
	s_andn2_b32 s12, s12, exec_lo
	s_and_b32 s27, vcc_lo, exec_lo
	s_or_b32 s12, s12, s27
	s_or_b32 exec_lo, exec_lo, s26
	s_and_saveexec_b32 s26, s12
	s_cbranch_execnz .LBB4_2159
	s_branch .LBB4_2160
.LBB4_2566:                             ;   in Loop: Header=BB4_1868 Depth=2
	s_or_saveexec_b32 s26, s26
	v_mov_b32_e32 v45, 0x7f800001
	s_xor_b32 exec_lo, exec_lo, s26
	s_cbranch_execz .LBB4_2172
.LBB4_2567:                             ;   in Loop: Header=BB4_1868 Depth=2
	v_cmp_ne_u16_sdwa s27, v25, v51 src0_sel:BYTE_3 src1_sel:DWORD
	v_mov_b32_e32 v45, 0
	s_andn2_b32 s12, s12, exec_lo
	s_and_b32 s27, s27, exec_lo
	s_or_b32 s12, s12, s27
	s_or_b32 exec_lo, exec_lo, s26
	s_and_saveexec_b32 s26, s12
	s_cbranch_execnz .LBB4_2173
	s_branch .LBB4_2174
.LBB4_2568:                             ;   in Loop: Header=BB4_1868 Depth=2
	s_or_saveexec_b32 s26, s26
	v_mov_b32_e32 v25, 0x7f800001
	s_xor_b32 exec_lo, exec_lo, s26
	s_cbranch_execz .LBB4_2178
.LBB4_2569:                             ;   in Loop: Header=BB4_1868 Depth=2
	v_cmp_ne_u16_sdwa s27, v21, v51 src0_sel:BYTE_3 src1_sel:DWORD
	v_mov_b32_e32 v25, 0
	s_andn2_b32 s12, s12, exec_lo
	s_and_b32 s27, s27, exec_lo
	s_or_b32 s12, s12, s27
	s_or_b32 exec_lo, exec_lo, s26
	s_and_saveexec_b32 s26, s12
	s_cbranch_execnz .LBB4_2179
	s_branch .LBB4_2180
.LBB4_2570:                             ;   in Loop: Header=BB4_1868 Depth=2
	s_or_saveexec_b32 s26, s26
	v_mov_b32_e32 v25, 0x7f800001
	s_xor_b32 exec_lo, exec_lo, s26
	s_cbranch_execz .LBB4_2192
.LBB4_2571:                             ;   in Loop: Header=BB4_1868 Depth=2
	v_cmp_ne_u16_sdwa s27, v14, v51 src0_sel:BYTE_0 src1_sel:DWORD
	v_mov_b32_e32 v25, 0
	s_andn2_b32 s12, s12, exec_lo
	s_and_b32 s27, s27, exec_lo
	s_or_b32 s12, s12, s27
	s_or_b32 exec_lo, exec_lo, s26
	s_and_saveexec_b32 s26, s12
	s_cbranch_execnz .LBB4_2193
	s_branch .LBB4_2194
.LBB4_2572:                             ;   in Loop: Header=BB4_1868 Depth=2
	s_or_saveexec_b32 s26, s26
	v_mov_b32_e32 v45, 0x7f800001
	s_xor_b32 exec_lo, exec_lo, s26
	s_cbranch_execz .LBB4_2198
.LBB4_2573:                             ;   in Loop: Header=BB4_1868 Depth=2
	v_cmp_ne_u16_sdwa s27, v10, v51 src0_sel:BYTE_0 src1_sel:DWORD
	v_mov_b32_e32 v45, 0
	s_andn2_b32 s12, s12, exec_lo
	s_and_b32 s27, s27, exec_lo
	s_or_b32 s12, s12, s27
	s_or_b32 exec_lo, exec_lo, s26
	s_and_saveexec_b32 s26, s12
	s_cbranch_execnz .LBB4_2199
	s_branch .LBB4_2200
.LBB4_2574:                             ;   in Loop: Header=BB4_1868 Depth=2
	s_or_saveexec_b32 s26, s26
	v_mov_b32_e32 v45, 0x7f800001
	s_xor_b32 exec_lo, exec_lo, s26
	s_cbranch_execz .LBB4_2212
.LBB4_2575:                             ;   in Loop: Header=BB4_1868 Depth=2
	v_cmp_ne_u16_sdwa s27, v14, v51 src0_sel:BYTE_1 src1_sel:DWORD
	v_mov_b32_e32 v45, 0
	s_andn2_b32 s12, s12, exec_lo
	s_and_b32 s27, s27, exec_lo
	s_or_b32 s12, s12, s27
	s_or_b32 exec_lo, exec_lo, s26
	s_and_saveexec_b32 s26, s12
	s_cbranch_execnz .LBB4_2213
	s_branch .LBB4_2214
.LBB4_2576:                             ;   in Loop: Header=BB4_1868 Depth=2
	s_or_saveexec_b32 s26, s26
	v_mov_b32_e32 v46, 0x7f800001
	s_xor_b32 exec_lo, exec_lo, s26
	s_cbranch_execz .LBB4_2218
.LBB4_2577:                             ;   in Loop: Header=BB4_1868 Depth=2
	v_cmp_ne_u16_sdwa s27, v10, v51 src0_sel:BYTE_1 src1_sel:DWORD
	v_mov_b32_e32 v46, 0
	s_andn2_b32 s12, s12, exec_lo
	s_and_b32 s27, s27, exec_lo
	s_or_b32 s12, s12, s27
	s_or_b32 exec_lo, exec_lo, s26
	s_and_saveexec_b32 s26, s12
	s_cbranch_execnz .LBB4_2219
	s_branch .LBB4_2220
.LBB4_2578:                             ;   in Loop: Header=BB4_1868 Depth=2
	s_or_saveexec_b32 s26, s26
	v_mov_b32_e32 v46, 0x7f800001
	s_xor_b32 exec_lo, exec_lo, s26
	s_cbranch_execz .LBB4_2232
.LBB4_2579:                             ;   in Loop: Header=BB4_1868 Depth=2
	v_cmp_ne_u16_e32 vcc_lo, 0, v47
	v_mov_b32_e32 v46, 0
	s_andn2_b32 s12, s12, exec_lo
	s_and_b32 s27, vcc_lo, exec_lo
	s_or_b32 s12, s12, s27
	s_or_b32 exec_lo, exec_lo, s26
	s_and_saveexec_b32 s26, s12
	s_cbranch_execnz .LBB4_2233
	s_branch .LBB4_2234
.LBB4_2580:                             ;   in Loop: Header=BB4_1868 Depth=2
	s_or_saveexec_b32 s26, s26
	v_mov_b32_e32 v47, 0x7f800001
	s_xor_b32 exec_lo, exec_lo, s26
	s_cbranch_execz .LBB4_2238
.LBB4_2581:                             ;   in Loop: Header=BB4_1868 Depth=2
	v_cmp_ne_u16_e32 vcc_lo, 0, v56
	v_mov_b32_e32 v47, 0
	s_andn2_b32 s12, s12, exec_lo
	s_and_b32 s27, vcc_lo, exec_lo
	s_or_b32 s12, s12, s27
	s_or_b32 exec_lo, exec_lo, s26
	s_and_saveexec_b32 s26, s12
	s_cbranch_execnz .LBB4_2239
	s_branch .LBB4_2240
.LBB4_2582:                             ;   in Loop: Header=BB4_1868 Depth=2
	s_or_saveexec_b32 s26, s26
	v_mov_b32_e32 v47, 0x7f800001
	s_xor_b32 exec_lo, exec_lo, s26
	s_cbranch_execz .LBB4_2252
.LBB4_2583:                             ;   in Loop: Header=BB4_1868 Depth=2
	v_cmp_ne_u16_sdwa s27, v14, v51 src0_sel:BYTE_3 src1_sel:DWORD
	v_mov_b32_e32 v47, 0
	s_andn2_b32 s12, s12, exec_lo
	s_and_b32 s27, s27, exec_lo
	s_or_b32 s12, s12, s27
	s_or_b32 exec_lo, exec_lo, s26
	s_and_saveexec_b32 s26, s12
	s_cbranch_execnz .LBB4_2253
	s_branch .LBB4_2254
.LBB4_2584:                             ;   in Loop: Header=BB4_1868 Depth=2
	s_or_saveexec_b32 s26, s26
	v_mov_b32_e32 v14, 0x7f800001
	s_xor_b32 exec_lo, exec_lo, s26
	s_cbranch_execz .LBB4_2258
.LBB4_2585:                             ;   in Loop: Header=BB4_1868 Depth=2
	v_cmp_ne_u16_sdwa s27, v10, v51 src0_sel:BYTE_3 src1_sel:DWORD
	v_mov_b32_e32 v14, 0
	s_andn2_b32 s12, s12, exec_lo
	s_and_b32 s27, s27, exec_lo
	s_or_b32 s12, s12, s27
	s_or_b32 exec_lo, exec_lo, s26
	s_and_saveexec_b32 s26, s12
	s_cbranch_execnz .LBB4_2259
	s_branch .LBB4_2260
.LBB4_2586:                             ;   in Loop: Header=BB4_1868 Depth=2
	s_or_saveexec_b32 s26, s26
	v_mov_b32_e32 v14, 0x7f800001
	s_xor_b32 exec_lo, exec_lo, s26
	s_cbranch_execz .LBB4_2272
.LBB4_2587:                             ;   in Loop: Header=BB4_1868 Depth=2
	v_cmp_ne_u16_sdwa s27, v15, v51 src0_sel:BYTE_0 src1_sel:DWORD
	v_mov_b32_e32 v14, 0
	s_andn2_b32 s12, s12, exec_lo
	s_and_b32 s27, s27, exec_lo
	s_or_b32 s12, s12, s27
	s_or_b32 exec_lo, exec_lo, s26
	s_and_saveexec_b32 s26, s12
	s_cbranch_execnz .LBB4_2273
	s_branch .LBB4_2274
.LBB4_2588:                             ;   in Loop: Header=BB4_1868 Depth=2
	s_or_saveexec_b32 s26, s26
	v_mov_b32_e32 v47, 0x7f800001
	s_xor_b32 exec_lo, exec_lo, s26
	s_cbranch_execz .LBB4_2278
.LBB4_2589:                             ;   in Loop: Header=BB4_1868 Depth=2
	v_cmp_ne_u16_sdwa s27, v11, v51 src0_sel:BYTE_0 src1_sel:DWORD
	v_mov_b32_e32 v47, 0
	s_andn2_b32 s12, s12, exec_lo
	s_and_b32 s27, s27, exec_lo
	s_or_b32 s12, s12, s27
	s_or_b32 exec_lo, exec_lo, s26
	s_and_saveexec_b32 s26, s12
	s_cbranch_execnz .LBB4_2279
	s_branch .LBB4_2280
.LBB4_2590:                             ;   in Loop: Header=BB4_1868 Depth=2
	s_or_saveexec_b32 s26, s26
	v_mov_b32_e32 v47, 0x7f800001
	s_xor_b32 exec_lo, exec_lo, s26
	s_cbranch_execz .LBB4_2292
.LBB4_2591:                             ;   in Loop: Header=BB4_1868 Depth=2
	v_cmp_ne_u16_sdwa s27, v15, v51 src0_sel:BYTE_1 src1_sel:DWORD
	v_mov_b32_e32 v47, 0
	s_andn2_b32 s12, s12, exec_lo
	s_and_b32 s27, s27, exec_lo
	s_or_b32 s12, s12, s27
	s_or_b32 exec_lo, exec_lo, s26
	s_and_saveexec_b32 s26, s12
	s_cbranch_execnz .LBB4_2293
	s_branch .LBB4_2294
.LBB4_2592:                             ;   in Loop: Header=BB4_1868 Depth=2
	s_or_saveexec_b32 s26, s26
	v_mov_b32_e32 v56, 0x7f800001
	s_xor_b32 exec_lo, exec_lo, s26
	s_cbranch_execz .LBB4_2298
.LBB4_2593:                             ;   in Loop: Header=BB4_1868 Depth=2
	v_cmp_ne_u16_sdwa s27, v11, v51 src0_sel:BYTE_1 src1_sel:DWORD
	v_mov_b32_e32 v56, 0
	s_andn2_b32 s12, s12, exec_lo
	s_and_b32 s27, s27, exec_lo
	s_or_b32 s12, s12, s27
	s_or_b32 exec_lo, exec_lo, s26
	s_and_saveexec_b32 s26, s12
	s_cbranch_execnz .LBB4_2299
	s_branch .LBB4_2300
.LBB4_2594:                             ;   in Loop: Header=BB4_1868 Depth=2
	s_or_saveexec_b32 s26, s26
	v_mov_b32_e32 v56, 0x7f800001
	s_xor_b32 exec_lo, exec_lo, s26
	s_cbranch_execz .LBB4_2312
.LBB4_2595:                             ;   in Loop: Header=BB4_1868 Depth=2
	v_cmp_ne_u16_e32 vcc_lo, 0, v57
	v_mov_b32_e32 v56, 0
	s_andn2_b32 s12, s12, exec_lo
	s_and_b32 s27, vcc_lo, exec_lo
	s_or_b32 s12, s12, s27
	s_or_b32 exec_lo, exec_lo, s26
	s_and_saveexec_b32 s26, s12
	s_cbranch_execnz .LBB4_2313
	s_branch .LBB4_2314
.LBB4_2596:                             ;   in Loop: Header=BB4_1868 Depth=2
	s_or_saveexec_b32 s26, s26
	v_mov_b32_e32 v57, 0x7f800001
	s_xor_b32 exec_lo, exec_lo, s26
	s_cbranch_execz .LBB4_2318
.LBB4_2597:                             ;   in Loop: Header=BB4_1868 Depth=2
	v_cmp_ne_u16_e32 vcc_lo, 0, v58
	v_mov_b32_e32 v57, 0
	s_andn2_b32 s12, s12, exec_lo
	s_and_b32 s27, vcc_lo, exec_lo
	s_or_b32 s12, s12, s27
	s_or_b32 exec_lo, exec_lo, s26
	s_and_saveexec_b32 s26, s12
	s_cbranch_execnz .LBB4_2319
	s_branch .LBB4_2320
.LBB4_2598:                             ;   in Loop: Header=BB4_1868 Depth=2
	s_or_saveexec_b32 s26, s26
	v_mov_b32_e32 v57, 0x7f800001
	s_xor_b32 exec_lo, exec_lo, s26
	s_cbranch_execz .LBB4_2332
.LBB4_2599:                             ;   in Loop: Header=BB4_1868 Depth=2
	v_cmp_ne_u16_sdwa s27, v15, v51 src0_sel:BYTE_3 src1_sel:DWORD
	v_mov_b32_e32 v57, 0
	s_andn2_b32 s12, s12, exec_lo
	s_and_b32 s27, s27, exec_lo
	s_or_b32 s12, s12, s27
	s_or_b32 exec_lo, exec_lo, s26
	s_and_saveexec_b32 s26, s12
	s_cbranch_execnz .LBB4_2333
	s_branch .LBB4_2334
.LBB4_2600:                             ;   in Loop: Header=BB4_1868 Depth=2
	s_or_saveexec_b32 s26, s26
	v_mov_b32_e32 v15, 0x7f800001
	s_xor_b32 exec_lo, exec_lo, s26
	s_cbranch_execz .LBB4_2338
.LBB4_2601:                             ;   in Loop: Header=BB4_1868 Depth=2
	v_cmp_ne_u16_sdwa s27, v11, v51 src0_sel:BYTE_3 src1_sel:DWORD
	v_mov_b32_e32 v15, 0
	s_andn2_b32 s12, s12, exec_lo
	s_and_b32 s27, s27, exec_lo
	s_or_b32 s12, s12, s27
	s_or_b32 exec_lo, exec_lo, s26
	s_and_saveexec_b32 s26, s12
	s_cbranch_execnz .LBB4_2339
	s_branch .LBB4_2340
.LBB4_2602:                             ;   in Loop: Header=BB4_1868 Depth=2
	s_or_saveexec_b32 s26, s26
	v_mov_b32_e32 v15, 0x7f800001
	s_xor_b32 exec_lo, exec_lo, s26
	s_cbranch_execz .LBB4_2352
.LBB4_2603:                             ;   in Loop: Header=BB4_1868 Depth=2
	v_cmp_ne_u16_sdwa s27, v16, v51 src0_sel:BYTE_0 src1_sel:DWORD
	v_mov_b32_e32 v15, 0
	s_andn2_b32 s12, s12, exec_lo
	s_and_b32 s27, s27, exec_lo
	s_or_b32 s12, s12, s27
	s_or_b32 exec_lo, exec_lo, s26
	s_and_saveexec_b32 s26, s12
	s_cbranch_execnz .LBB4_2353
	s_branch .LBB4_2354
.LBB4_2604:                             ;   in Loop: Header=BB4_1868 Depth=2
	s_or_saveexec_b32 s26, s26
	v_mov_b32_e32 v57, 0x7f800001
	s_xor_b32 exec_lo, exec_lo, s26
	s_cbranch_execz .LBB4_2358
.LBB4_2605:                             ;   in Loop: Header=BB4_1868 Depth=2
	v_cmp_ne_u16_sdwa s27, v12, v51 src0_sel:BYTE_0 src1_sel:DWORD
	v_mov_b32_e32 v57, 0
	s_andn2_b32 s12, s12, exec_lo
	s_and_b32 s27, s27, exec_lo
	s_or_b32 s12, s12, s27
	s_or_b32 exec_lo, exec_lo, s26
	s_and_saveexec_b32 s26, s12
	s_cbranch_execnz .LBB4_2359
	s_branch .LBB4_2360
.LBB4_2606:                             ;   in Loop: Header=BB4_1868 Depth=2
	s_or_saveexec_b32 s26, s26
	v_mov_b32_e32 v57, 0x7f800001
	s_xor_b32 exec_lo, exec_lo, s26
	s_cbranch_execz .LBB4_2372
.LBB4_2607:                             ;   in Loop: Header=BB4_1868 Depth=2
	v_cmp_ne_u16_sdwa s27, v16, v51 src0_sel:BYTE_1 src1_sel:DWORD
	v_mov_b32_e32 v57, 0
	s_andn2_b32 s12, s12, exec_lo
	s_and_b32 s27, s27, exec_lo
	s_or_b32 s12, s12, s27
	s_or_b32 exec_lo, exec_lo, s26
	s_and_saveexec_b32 s26, s12
	s_cbranch_execnz .LBB4_2373
	s_branch .LBB4_2374
.LBB4_2608:                             ;   in Loop: Header=BB4_1868 Depth=2
	s_or_saveexec_b32 s26, s26
	v_mov_b32_e32 v58, 0x7f800001
	s_xor_b32 exec_lo, exec_lo, s26
	s_cbranch_execz .LBB4_2378
.LBB4_2609:                             ;   in Loop: Header=BB4_1868 Depth=2
	v_cmp_ne_u16_sdwa s27, v12, v51 src0_sel:BYTE_1 src1_sel:DWORD
	v_mov_b32_e32 v58, 0
	s_andn2_b32 s12, s12, exec_lo
	s_and_b32 s27, s27, exec_lo
	s_or_b32 s12, s12, s27
	s_or_b32 exec_lo, exec_lo, s26
	s_and_saveexec_b32 s26, s12
	s_cbranch_execnz .LBB4_2379
	s_branch .LBB4_2380
.LBB4_2610:                             ;   in Loop: Header=BB4_1868 Depth=2
	s_or_saveexec_b32 s26, s26
	v_mov_b32_e32 v58, 0x7f800001
	s_xor_b32 exec_lo, exec_lo, s26
	s_cbranch_execz .LBB4_2392
.LBB4_2611:                             ;   in Loop: Header=BB4_1868 Depth=2
	v_cmp_ne_u16_e32 vcc_lo, 0, v59
	v_mov_b32_e32 v58, 0
	s_andn2_b32 s12, s12, exec_lo
	s_and_b32 s27, vcc_lo, exec_lo
	s_or_b32 s12, s12, s27
	s_or_b32 exec_lo, exec_lo, s26
	s_and_saveexec_b32 s26, s12
	s_cbranch_execnz .LBB4_2393
	s_branch .LBB4_2394
.LBB4_2612:                             ;   in Loop: Header=BB4_1868 Depth=2
	s_or_saveexec_b32 s26, s26
	v_mov_b32_e32 v59, 0x7f800001
	s_xor_b32 exec_lo, exec_lo, s26
	s_cbranch_execz .LBB4_2398
.LBB4_2613:                             ;   in Loop: Header=BB4_1868 Depth=2
	v_cmp_ne_u16_e32 vcc_lo, 0, v60
	v_mov_b32_e32 v59, 0
	s_andn2_b32 s12, s12, exec_lo
	s_and_b32 s27, vcc_lo, exec_lo
	s_or_b32 s12, s12, s27
	s_or_b32 exec_lo, exec_lo, s26
	s_and_saveexec_b32 s26, s12
	s_cbranch_execnz .LBB4_2399
	s_branch .LBB4_2400
.LBB4_2614:                             ;   in Loop: Header=BB4_1868 Depth=2
	s_or_saveexec_b32 s26, s26
	v_mov_b32_e32 v59, 0x7f800001
	s_xor_b32 exec_lo, exec_lo, s26
	s_cbranch_execz .LBB4_2412
.LBB4_2615:                             ;   in Loop: Header=BB4_1868 Depth=2
	v_cmp_ne_u16_sdwa s27, v16, v51 src0_sel:BYTE_3 src1_sel:DWORD
	v_mov_b32_e32 v59, 0
	s_andn2_b32 s12, s12, exec_lo
	s_and_b32 s27, s27, exec_lo
	s_or_b32 s12, s12, s27
	s_or_b32 exec_lo, exec_lo, s26
	s_and_saveexec_b32 s26, s12
	s_cbranch_execnz .LBB4_2413
	s_branch .LBB4_2414
.LBB4_2616:                             ;   in Loop: Header=BB4_1868 Depth=2
	s_or_saveexec_b32 s26, s26
	v_mov_b32_e32 v16, 0x7f800001
	s_xor_b32 exec_lo, exec_lo, s26
	s_cbranch_execz .LBB4_2418
.LBB4_2617:                             ;   in Loop: Header=BB4_1868 Depth=2
	v_cmp_ne_u16_sdwa s27, v12, v51 src0_sel:BYTE_3 src1_sel:DWORD
	v_mov_b32_e32 v16, 0
	s_andn2_b32 s12, s12, exec_lo
	s_and_b32 s27, s27, exec_lo
	s_or_b32 s12, s12, s27
	s_or_b32 exec_lo, exec_lo, s26
	s_and_saveexec_b32 s26, s12
	s_cbranch_execnz .LBB4_2419
	s_branch .LBB4_2420
.LBB4_2618:                             ;   in Loop: Header=BB4_1868 Depth=2
	s_or_saveexec_b32 s26, s26
	v_mov_b32_e32 v16, 0x7f800001
	s_xor_b32 exec_lo, exec_lo, s26
	s_cbranch_execz .LBB4_2432
.LBB4_2619:                             ;   in Loop: Header=BB4_1868 Depth=2
	v_cmp_ne_u16_sdwa s27, v17, v51 src0_sel:BYTE_0 src1_sel:DWORD
	v_mov_b32_e32 v16, 0
	s_andn2_b32 s12, s12, exec_lo
	s_and_b32 s27, s27, exec_lo
	s_or_b32 s12, s12, s27
	s_or_b32 exec_lo, exec_lo, s26
	s_and_saveexec_b32 s26, s12
	s_cbranch_execnz .LBB4_2433
	s_branch .LBB4_2434
.LBB4_2620:                             ;   in Loop: Header=BB4_1868 Depth=2
	s_or_saveexec_b32 s26, s26
	v_mov_b32_e32 v59, 0x7f800001
	s_xor_b32 exec_lo, exec_lo, s26
	s_cbranch_execz .LBB4_2438
.LBB4_2621:                             ;   in Loop: Header=BB4_1868 Depth=2
	v_cmp_ne_u16_sdwa s27, v13, v51 src0_sel:BYTE_0 src1_sel:DWORD
	v_mov_b32_e32 v59, 0
	s_andn2_b32 s12, s12, exec_lo
	s_and_b32 s27, s27, exec_lo
	s_or_b32 s12, s12, s27
	s_or_b32 exec_lo, exec_lo, s26
	s_and_saveexec_b32 s26, s12
	s_cbranch_execnz .LBB4_2439
	s_branch .LBB4_2440
.LBB4_2622:                             ;   in Loop: Header=BB4_1868 Depth=2
	s_or_saveexec_b32 s26, s26
	v_mov_b32_e32 v59, 0x7f800001
	s_xor_b32 exec_lo, exec_lo, s26
	s_cbranch_execz .LBB4_2452
.LBB4_2623:                             ;   in Loop: Header=BB4_1868 Depth=2
	v_cmp_ne_u16_sdwa s27, v17, v51 src0_sel:BYTE_1 src1_sel:DWORD
	v_mov_b32_e32 v59, 0
	s_andn2_b32 s12, s12, exec_lo
	s_and_b32 s27, s27, exec_lo
	s_or_b32 s12, s12, s27
	s_or_b32 exec_lo, exec_lo, s26
	s_and_saveexec_b32 s26, s12
	s_cbranch_execnz .LBB4_2453
	s_branch .LBB4_2454
.LBB4_2624:                             ;   in Loop: Header=BB4_1868 Depth=2
	s_or_saveexec_b32 s26, s26
	v_mov_b32_e32 v60, 0x7f800001
	s_xor_b32 exec_lo, exec_lo, s26
	s_cbranch_execz .LBB4_2458
.LBB4_2625:                             ;   in Loop: Header=BB4_1868 Depth=2
	v_cmp_ne_u16_sdwa s27, v13, v51 src0_sel:BYTE_1 src1_sel:DWORD
	v_mov_b32_e32 v60, 0
	s_andn2_b32 s12, s12, exec_lo
	s_and_b32 s27, s27, exec_lo
	s_or_b32 s12, s12, s27
	s_or_b32 exec_lo, exec_lo, s26
	s_and_saveexec_b32 s26, s12
	s_cbranch_execnz .LBB4_2459
	s_branch .LBB4_2460
.LBB4_2626:                             ;   in Loop: Header=BB4_1868 Depth=2
	s_or_saveexec_b32 s26, s26
	v_mov_b32_e32 v60, 0x7f800001
	s_xor_b32 exec_lo, exec_lo, s26
	s_cbranch_execz .LBB4_2472
.LBB4_2627:                             ;   in Loop: Header=BB4_1868 Depth=2
	v_cmp_ne_u16_e32 vcc_lo, 0, v61
	v_mov_b32_e32 v60, 0
	s_andn2_b32 s12, s12, exec_lo
	s_and_b32 s27, vcc_lo, exec_lo
	s_or_b32 s12, s12, s27
	s_or_b32 exec_lo, exec_lo, s26
	s_and_saveexec_b32 s26, s12
	s_cbranch_execnz .LBB4_2473
	s_branch .LBB4_2474
.LBB4_2628:                             ;   in Loop: Header=BB4_1868 Depth=2
	s_or_saveexec_b32 s26, s26
	v_mov_b32_e32 v61, 0x7f800001
	s_xor_b32 exec_lo, exec_lo, s26
	s_cbranch_execz .LBB4_2478
.LBB4_2629:                             ;   in Loop: Header=BB4_1868 Depth=2
	v_cmp_ne_u16_e32 vcc_lo, 0, v62
	v_mov_b32_e32 v61, 0
	s_andn2_b32 s12, s12, exec_lo
	s_and_b32 s27, vcc_lo, exec_lo
	s_or_b32 s12, s12, s27
	s_or_b32 exec_lo, exec_lo, s26
	s_and_saveexec_b32 s26, s12
	s_cbranch_execnz .LBB4_2479
	s_branch .LBB4_2480
.LBB4_2630:                             ;   in Loop: Header=BB4_1868 Depth=2
	s_or_saveexec_b32 s26, s26
	v_mov_b32_e32 v61, 0x7f800001
	s_xor_b32 exec_lo, exec_lo, s26
	s_cbranch_execz .LBB4_2492
.LBB4_2631:                             ;   in Loop: Header=BB4_1868 Depth=2
	v_cmp_ne_u16_sdwa s27, v17, v51 src0_sel:BYTE_3 src1_sel:DWORD
	v_mov_b32_e32 v61, 0
	s_andn2_b32 s12, s12, exec_lo
	s_and_b32 s27, s27, exec_lo
	s_or_b32 s12, s12, s27
	s_or_b32 exec_lo, exec_lo, s26
	s_and_saveexec_b32 s26, s12
	s_cbranch_execnz .LBB4_2493
	s_branch .LBB4_2494
.LBB4_2632:                             ;   in Loop: Header=BB4_1868 Depth=2
	s_or_saveexec_b32 s26, s26
	v_mov_b32_e32 v17, 0x7f800001
	s_xor_b32 exec_lo, exec_lo, s26
	s_cbranch_execz .LBB4_2498
.LBB4_2633:                             ;   in Loop: Header=BB4_1868 Depth=2
	v_cmp_ne_u16_sdwa s27, v13, v51 src0_sel:BYTE_3 src1_sel:DWORD
	v_mov_b32_e32 v17, 0
	s_andn2_b32 s12, s12, exec_lo
	s_and_b32 s27, s27, exec_lo
	s_or_b32 s12, s12, s27
	s_or_b32 exec_lo, exec_lo, s26
	s_and_saveexec_b32 s26, s12
	s_cbranch_execnz .LBB4_2499
	s_branch .LBB4_2500
.LBB4_2634:                             ;   in Loop: Header=BB4_1791 Depth=1
	s_or_b32 exec_lo, exec_lo, s25
.LBB4_2635:                             ;   in Loop: Header=BB4_1791 Depth=1
	s_or_b32 exec_lo, exec_lo, s13
	v_and_b32_e32 v11, 0x3ffffc00, v50
	v_mov_b32_e32 v16, 0
	s_mov_b32 s12, 0
	s_mov_b32 s25, exec_lo
                                        ; implicit-def: $vgpr17
                                        ; implicit-def: $vgpr18
                                        ; implicit-def: $vgpr10
	v_cmpx_ne_u32_e64 v50, v11
	s_cbranch_execz .LBB4_3027
; %bb.2636:                             ;   in Loop: Header=BB4_1791 Depth=1
	v_lshlrev_b32_e32 v10, 5, v115
	v_and_b32_e32 v68, 0x1ff, v50
	v_bfe_u32 v14, v50, 9, 1
	s_mov_b32 s26, exec_lo
	v_sub_nc_u32_e32 v10, v99, v10
	v_cmp_lt_u32_e32 vcc_lo, 15, v68
	v_ashrrev_i32_e32 v12, 31, v10
	v_add_co_ci_u32_e64 v14, null, 0, v14, vcc_lo
	v_lshrrev_b32_e32 v12, 27, v12
	v_add_nc_u32_e32 v12, v10, v12
	v_and_b32_e32 v13, 0xffffffe0, v12
	v_ashrrev_i32_e32 v12, 5, v12
	v_sub_nc_u32_e32 v24, v10, v13
	v_and_b32_e32 v13, 0x3ff, v50
	v_sub_nc_u32_e32 v25, v14, v12
	v_lshlrev_b32_e32 v10, 4, v24
	v_lshl_add_u32 v10, v12, 9, v10
	v_sub_nc_u32_e32 v69, v13, v10
	v_cmpx_lt_i32_e32 15, v69
	s_cbranch_execz .LBB4_3024
; %bb.2637:                             ;   in Loop: Header=BB4_1791 Depth=1
	s_trap 2
	ds_read_b64 v[12:13], v0
	v_add_nc_u32_e32 v10, v10, v11
	s_mov_b32 s27, 0
	v_ashrrev_i32_e32 v11, 31, v10
	v_add_co_u32 v18, s12, v10, v64
	v_add_co_ci_u32_e64 v19, null, v11, v65, s12
	s_waitcnt lgkmcnt(0)
	v_add_co_u32 v20, s12, v12, v10
	v_add_co_ci_u32_e64 v21, null, v13, v11, s12
	v_add_co_u32 v22, s12, v10, v66
	v_add_co_ci_u32_e64 v23, null, v11, v67, s12
	s_branch .LBB4_2641
.LBB4_2638:                             ;   in Loop: Header=BB4_2641 Depth=2
	s_or_b32 exec_lo, exec_lo, s12
	v_lshrrev_b32_e32 v40, 20, v40
	v_min_i32_e32 v41, 15, v17
	v_cmp_gt_i32_e64 s12, 16, v17
	v_and_b32_sdwa v13, v13, v97 dst_sel:DWORD dst_unused:UNUSED_PAD src0_sel:BYTE_3 src1_sel:DWORD
	v_lshlrev_b32_e32 v41, 3, v41
	v_cndmask_b32_e64 v40, 7, v40, s12
	v_and_b32_e32 v41, 0xf8, v41
	v_and_b32_e32 v42, 7, v40
	v_or_b32_e32 v17, v17, v40
	v_or3_b32 v13, v13, v41, v42
	v_cmp_ne_u32_e64 s12, 0, v17
	v_lshlrev_b32_e32 v13, 8, v13
	v_cndmask_b32_e64 v17, 0, v13, s12
.LBB4_2639:                             ;   in Loop: Header=BB4_2641 Depth=2
	s_or_b32 exec_lo, exec_lo, s29
.LBB4_2640:                             ;   in Loop: Header=BB4_2641 Depth=2
	s_or_b32 exec_lo, exec_lo, s28
	v_or_b32_sdwa v11, v11, v115 dst_sel:WORD_1 dst_unused:UNUSED_PAD src0_sel:DWORD src1_sel:DWORD
	v_or_b32_sdwa v10, v10, v80 dst_sel:WORD_1 dst_unused:UNUSED_PAD src0_sel:DWORD src1_sel:DWORD
	;; [unrolled: 1-line block ×4, first 2 shown]
	v_sub_nc_u32_e32 v69, v69, v103
	v_or3_b32 v11, v81, v14, v11
	v_or3_b32 v10, v71, v70, v10
	;; [unrolled: 1-line block ×4, first 2 shown]
	v_add_co_u32 v18, s12, v18, v103
	v_add_co_ci_u32_e64 v19, null, 0, v19, s12
	v_add_co_u32 v20, s12, v20, v103
	global_store_dwordx4 v[22:23], v[10:13], off glc slc
	v_add_co_ci_u32_e64 v21, null, 0, v21, s12
	v_cmp_gt_i32_e64 s12, 16, v69
	v_add_co_u32 v22, s13, v22, v103
	v_add_co_ci_u32_e64 v23, null, 0, v23, s13
	v_sub_nc_u32_e32 v25, v25, v82
	s_or_b32 s27, s12, s27
	s_andn2_b32 exec_lo, exec_lo, s27
	s_cbranch_execz .LBB4_3023
.LBB4_2641:                             ;   Parent Loop BB4_1791 Depth=1
                                        ; =>  This Inner Loop Header: Depth=2
	global_load_dwordx4 v[14:17], v[18:19], off slc
	global_load_dwordx4 v[10:13], v[20:21], off slc
	s_mov_b32 s12, 0
	s_waitcnt vmcnt(1)
	v_cmp_gt_i16_sdwa s13, v14, v96 src0_sel:BYTE_0 src1_sel:DWORD
	s_and_saveexec_b32 s28, s13
	s_xor_b32 s13, exec_lo, s28
	s_cbranch_execz .LBB4_2959
; %bb.2642:                             ;   in Loop: Header=BB4_2641 Depth=2
	v_cmp_eq_u16_sdwa s29, v14, v97 src0_sel:BYTE_0 src1_sel:DWORD
	s_mov_b32 s12, -1
	s_and_saveexec_b32 s28, s29
; %bb.2643:                             ;   in Loop: Header=BB4_2641 Depth=2
	s_xor_b32 s12, exec_lo, -1
; %bb.2644:                             ;   in Loop: Header=BB4_2641 Depth=2
	s_or_b32 exec_lo, exec_lo, s28
	s_and_b32 s12, s12, exec_lo
	s_or_saveexec_b32 s13, s13
	v_mov_b32_e32 v70, 0x7f800001
	s_xor_b32 exec_lo, exec_lo, s13
	s_cbranch_execnz .LBB4_2960
.LBB4_2645:                             ;   in Loop: Header=BB4_2641 Depth=2
	s_or_b32 exec_lo, exec_lo, s13
	s_and_saveexec_b32 s13, s12
	s_cbranch_execz .LBB4_2647
.LBB4_2646:                             ;   in Loop: Header=BB4_2641 Depth=2
	v_and_b32_e32 v70, 7, v14
	v_bfe_u32 v81, v14, 3, 4
	v_lshlrev_b32_e32 v115, 24, v14
	v_ffbh_u32_e32 v71, v70
	v_cmp_eq_u32_e64 s12, 0, v81
	v_min_u32_e32 v71, 32, v71
	v_subrev_nc_u32_e32 v80, 28, v71
	v_sub_nc_u32_e32 v71, 29, v71
	v_lshlrev_b32_e32 v80, v80, v14
	v_cndmask_b32_e64 v71, v81, v71, s12
	v_and_b32_e32 v80, 7, v80
	v_lshl_add_u32 v71, v71, 23, 0x3b800000
	v_cndmask_b32_e64 v70, v70, v80, s12
	v_and_b32_e32 v80, 0x80000000, v115
	v_lshlrev_b32_e32 v70, 20, v70
	v_or3_b32 v70, v80, v71, v70
.LBB4_2647:                             ;   in Loop: Header=BB4_2641 Depth=2
	s_or_b32 exec_lo, exec_lo, s13
	s_waitcnt vmcnt(0)
	v_cmp_gt_i16_sdwa s13, v10, v96 src0_sel:BYTE_0 src1_sel:DWORD
	s_mov_b32 s12, 0
	s_and_saveexec_b32 s28, s13
	s_xor_b32 s13, exec_lo, s28
	s_cbranch_execz .LBB4_2961
; %bb.2648:                             ;   in Loop: Header=BB4_2641 Depth=2
	v_cmp_eq_u16_sdwa s29, v10, v97 src0_sel:BYTE_0 src1_sel:DWORD
	s_mov_b32 s12, -1
	s_and_saveexec_b32 s28, s29
; %bb.2649:                             ;   in Loop: Header=BB4_2641 Depth=2
	s_xor_b32 s12, exec_lo, -1
; %bb.2650:                             ;   in Loop: Header=BB4_2641 Depth=2
	s_or_b32 exec_lo, exec_lo, s28
	s_and_b32 s12, s12, exec_lo
	s_or_saveexec_b32 s13, s13
	v_mov_b32_e32 v71, 0x7f800001
	s_xor_b32 exec_lo, exec_lo, s13
	s_cbranch_execnz .LBB4_2962
.LBB4_2651:                             ;   in Loop: Header=BB4_2641 Depth=2
	s_or_b32 exec_lo, exec_lo, s13
	s_and_saveexec_b32 s13, s12
	s_cbranch_execz .LBB4_2653
.LBB4_2652:                             ;   in Loop: Header=BB4_2641 Depth=2
	v_and_b32_e32 v71, 7, v10
	v_bfe_u32 v115, v10, 3, 4
	v_lshlrev_b32_e32 v116, 24, v10
	v_ffbh_u32_e32 v80, v71
	v_cmp_eq_u32_e64 s12, 0, v115
	v_min_u32_e32 v80, 32, v80
	v_subrev_nc_u32_e32 v81, 28, v80
	v_sub_nc_u32_e32 v80, 29, v80
	v_lshlrev_b32_e32 v81, v81, v10
	v_cndmask_b32_e64 v80, v115, v80, s12
	v_and_b32_e32 v81, 7, v81
	v_lshl_add_u32 v80, v80, 23, 0x3b800000
	v_cndmask_b32_e64 v71, v71, v81, s12
	v_and_b32_e32 v81, 0x80000000, v116
	v_lshlrev_b32_e32 v71, 20, v71
	v_or3_b32 v71, v81, v80, v71
.LBB4_2653:                             ;   in Loop: Header=BB4_2641 Depth=2
	s_or_b32 exec_lo, exec_lo, s13
	v_add_f32_e32 v71, v70, v71
	v_and_b32_e32 v70, 0x7f800000, v71
	v_cmp_ne_u32_e64 s12, 0x7f800000, v70
	v_mov_b32_e32 v70, 0x80
	s_and_saveexec_b32 s28, s12
	s_cbranch_execz .LBB4_2661
; %bb.2654:                             ;   in Loop: Header=BB4_2641 Depth=2
	v_mov_b32_e32 v70, 0
	s_mov_b32 s29, exec_lo
	v_cmpx_ne_u32_e32 0, v71
	s_cbranch_execz .LBB4_2660
; %bb.2655:                             ;   in Loop: Header=BB4_2641 Depth=2
	v_bfe_u32 v70, v71, 23, 8
	v_and_b32_e32 v80, 0x7fffff, v71
	v_sub_nc_u32_e32 v81, 0x78, v70
	v_cmp_gt_u32_e64 s12, 0x79, v70
	v_or_b32_e32 v115, 0x800000, v80
	v_cndmask_b32_e64 v81, 0, v81, s12
	v_cmp_eq_u32_e64 s12, 0, v70
	v_add_nc_u32_e32 v70, 0xffffff89, v70
	v_cndmask_b32_e64 v81, v81, 0x77, s12
	v_cndmask_b32_e64 v80, v115, v80, s12
	;; [unrolled: 1-line block ×3, first 2 shown]
	v_lshl_add_u32 v115, 0x100000, v81, -1
	v_lshrrev_b32_e32 v116, v81, v80
	v_lshlrev_b32_e64 v118, v81, 0x80000
	v_add_nc_u32_e32 v81, v81, v70
	v_and_b32_e32 v80, v115, v80
	v_bfe_u32 v117, v116, 20, 1
	v_cmp_eq_u32_e64 s13, v80, v118
	v_add_nc_u32_e32 v115, -1, v117
	v_cndmask_b32_e64 v80, 0, v115, s13
	v_lshrrev_b32_e32 v115, 23, v116
	s_mov_b32 s13, exec_lo
	v_add_nc_u32_e32 v80, v80, v116
	v_xor_b32_e32 v115, 1, v115
	v_and_b32_e32 v70, 0xfffff, v80
	v_add_nc_u32_e32 v80, v70, v116
                                        ; implicit-def: $vgpr70
	v_cmpx_ne_u32_e64 v81, v115
	s_xor_b32 s13, exec_lo, s13
; %bb.2656:                             ;   in Loop: Header=BB4_2641 Depth=2
	v_cmp_lt_u32_e64 s12, 0xffffff, v80
	v_sub_nc_u32_e32 v70, v81, v115
	v_cndmask_b32_e64 v81, 0, 1, s12
	v_add_co_ci_u32_e64 v70, null, 0, v70, s12
	v_lshrrev_b32_e32 v80, v81, v80
; %bb.2657:                             ;   in Loop: Header=BB4_2641 Depth=2
	s_andn2_saveexec_b32 s12, s13
; %bb.2658:                             ;   in Loop: Header=BB4_2641 Depth=2
	v_bfe_u32 v70, v80, 23, 1
; %bb.2659:                             ;   in Loop: Header=BB4_2641 Depth=2
	s_or_b32 exec_lo, exec_lo, s12
	v_lshrrev_b32_e32 v80, 20, v80
	v_min_i32_e32 v81, 15, v70
	v_cmp_gt_i32_e64 s12, 16, v70
	v_and_b32_sdwa v71, v71, v97 dst_sel:DWORD dst_unused:UNUSED_PAD src0_sel:BYTE_3 src1_sel:DWORD
	v_lshlrev_b32_e32 v81, 3, v81
	v_cndmask_b32_e64 v80, 7, v80, s12
	v_and_b32_e32 v81, 0xf8, v81
	v_and_b32_e32 v115, 7, v80
	v_or_b32_e32 v70, v70, v80
	v_or3_b32 v71, v81, v71, v115
	v_cmp_ne_u32_e64 s12, 0, v70
	v_cndmask_b32_e64 v70, 0, v71, s12
.LBB4_2660:                             ;   in Loop: Header=BB4_2641 Depth=2
	s_or_b32 exec_lo, exec_lo, s29
.LBB4_2661:                             ;   in Loop: Header=BB4_2641 Depth=2
	s_or_b32 exec_lo, exec_lo, s28
	v_cmp_gt_i16_sdwa s13, v14, v96 src0_sel:BYTE_1 src1_sel:DWORD
	s_mov_b32 s12, 0
	s_and_saveexec_b32 s28, s13
	s_xor_b32 s13, exec_lo, s28
	s_cbranch_execz .LBB4_2963
; %bb.2662:                             ;   in Loop: Header=BB4_2641 Depth=2
	v_cmp_eq_u16_sdwa s29, v14, v97 src0_sel:BYTE_1 src1_sel:DWORD
	s_mov_b32 s12, -1
	s_and_saveexec_b32 s28, s29
; %bb.2663:                             ;   in Loop: Header=BB4_2641 Depth=2
	s_xor_b32 s12, exec_lo, -1
; %bb.2664:                             ;   in Loop: Header=BB4_2641 Depth=2
	s_or_b32 exec_lo, exec_lo, s28
	s_and_b32 s12, s12, exec_lo
	s_or_saveexec_b32 s13, s13
	v_mov_b32_e32 v71, 0x7f800001
	s_xor_b32 exec_lo, exec_lo, s13
	s_cbranch_execnz .LBB4_2964
.LBB4_2665:                             ;   in Loop: Header=BB4_2641 Depth=2
	s_or_b32 exec_lo, exec_lo, s13
	s_and_saveexec_b32 s13, s12
	s_cbranch_execz .LBB4_2667
.LBB4_2666:                             ;   in Loop: Header=BB4_2641 Depth=2
	v_and_b32_sdwa v71, v98, v14 dst_sel:DWORD dst_unused:UNUSED_PAD src0_sel:DWORD src1_sel:BYTE_1
	v_and_b32_e32 v80, 7, v71
	v_bfe_u32 v116, v71, 3, 4
	v_ffbh_u32_e32 v81, v80
	v_cmp_eq_u32_e64 s12, 0, v116
	v_min_u32_e32 v81, 32, v81
	v_subrev_nc_u32_e32 v115, 28, v81
	v_sub_nc_u32_e32 v81, 29, v81
	v_lshlrev_b32_e32 v71, v115, v71
	v_lshlrev_b32_sdwa v115, v100, v14 dst_sel:DWORD dst_unused:UNUSED_PAD src0_sel:DWORD src1_sel:BYTE_1
	v_cndmask_b32_e64 v81, v116, v81, s12
	v_and_b32_e32 v71, 7, v71
	v_lshl_add_u32 v81, v81, 23, 0x3b800000
	v_cndmask_b32_e64 v71, v80, v71, s12
	v_and_b32_e32 v80, 0x80000000, v115
	v_lshlrev_b32_e32 v71, 20, v71
	v_or3_b32 v71, v80, v81, v71
.LBB4_2667:                             ;   in Loop: Header=BB4_2641 Depth=2
	s_or_b32 exec_lo, exec_lo, s13
	v_cmp_gt_i16_sdwa s13, v10, v96 src0_sel:BYTE_1 src1_sel:DWORD
	s_mov_b32 s12, 0
	s_and_saveexec_b32 s28, s13
	s_xor_b32 s13, exec_lo, s28
	s_cbranch_execz .LBB4_2965
; %bb.2668:                             ;   in Loop: Header=BB4_2641 Depth=2
	v_cmp_eq_u16_sdwa s29, v10, v97 src0_sel:BYTE_1 src1_sel:DWORD
	s_mov_b32 s12, -1
	s_and_saveexec_b32 s28, s29
; %bb.2669:                             ;   in Loop: Header=BB4_2641 Depth=2
	s_xor_b32 s12, exec_lo, -1
; %bb.2670:                             ;   in Loop: Header=BB4_2641 Depth=2
	s_or_b32 exec_lo, exec_lo, s28
	s_and_b32 s12, s12, exec_lo
	s_or_saveexec_b32 s13, s13
	v_mov_b32_e32 v80, 0x7f800001
	s_xor_b32 exec_lo, exec_lo, s13
	s_cbranch_execnz .LBB4_2966
.LBB4_2671:                             ;   in Loop: Header=BB4_2641 Depth=2
	s_or_b32 exec_lo, exec_lo, s13
	s_and_saveexec_b32 s13, s12
	s_cbranch_execz .LBB4_2673
.LBB4_2672:                             ;   in Loop: Header=BB4_2641 Depth=2
	v_and_b32_sdwa v80, v98, v10 dst_sel:DWORD dst_unused:UNUSED_PAD src0_sel:DWORD src1_sel:BYTE_1
	v_and_b32_e32 v81, 7, v80
	v_bfe_u32 v117, v80, 3, 4
	v_ffbh_u32_e32 v115, v81
	v_cmp_eq_u32_e64 s12, 0, v117
	v_min_u32_e32 v115, 32, v115
	v_subrev_nc_u32_e32 v116, 28, v115
	v_sub_nc_u32_e32 v115, 29, v115
	v_lshlrev_b32_e32 v80, v116, v80
	v_lshlrev_b32_sdwa v116, v100, v10 dst_sel:DWORD dst_unused:UNUSED_PAD src0_sel:DWORD src1_sel:BYTE_1
	v_cndmask_b32_e64 v115, v117, v115, s12
	v_and_b32_e32 v80, 7, v80
	v_lshl_add_u32 v115, v115, 23, 0x3b800000
	v_cndmask_b32_e64 v80, v81, v80, s12
	v_and_b32_e32 v81, 0x80000000, v116
	v_lshlrev_b32_e32 v80, 20, v80
	v_or3_b32 v80, v81, v115, v80
.LBB4_2673:                             ;   in Loop: Header=BB4_2641 Depth=2
	s_or_b32 exec_lo, exec_lo, s13
	v_add_f32_e32 v80, v71, v80
	v_and_b32_e32 v71, 0x7f800000, v80
	v_cmp_ne_u32_e64 s12, 0x7f800000, v71
	v_mov_b32_e32 v71, 0x8000
	s_and_saveexec_b32 s28, s12
	s_cbranch_execz .LBB4_2681
; %bb.2674:                             ;   in Loop: Header=BB4_2641 Depth=2
	v_mov_b32_e32 v71, 0
	s_mov_b32 s29, exec_lo
	v_cmpx_ne_u32_e32 0, v80
	s_cbranch_execz .LBB4_2680
; %bb.2675:                             ;   in Loop: Header=BB4_2641 Depth=2
	v_bfe_u32 v71, v80, 23, 8
	v_and_b32_e32 v81, 0x7fffff, v80
	v_sub_nc_u32_e32 v115, 0x78, v71
	v_cmp_gt_u32_e64 s12, 0x79, v71
	v_or_b32_e32 v116, 0x800000, v81
	v_cndmask_b32_e64 v115, 0, v115, s12
	v_cmp_eq_u32_e64 s12, 0, v71
	v_add_nc_u32_e32 v71, 0xffffff89, v71
	v_cndmask_b32_e64 v115, v115, 0x77, s12
	v_cndmask_b32_e64 v81, v116, v81, s12
	;; [unrolled: 1-line block ×3, first 2 shown]
	v_lshl_add_u32 v116, 0x100000, v115, -1
	v_lshrrev_b32_e32 v117, v115, v81
	v_lshlrev_b32_e64 v119, v115, 0x80000
	v_add_nc_u32_e32 v115, v115, v71
	v_and_b32_e32 v81, v116, v81
	v_bfe_u32 v118, v117, 20, 1
	v_cmp_eq_u32_e64 s13, v81, v119
	v_add_nc_u32_e32 v116, -1, v118
	v_cndmask_b32_e64 v81, 0, v116, s13
	v_lshrrev_b32_e32 v116, 23, v117
	s_mov_b32 s13, exec_lo
	v_add_nc_u32_e32 v81, v81, v117
	v_xor_b32_e32 v116, 1, v116
	v_and_b32_e32 v71, 0xfffff, v81
	v_add_nc_u32_e32 v81, v71, v117
                                        ; implicit-def: $vgpr71
	v_cmpx_ne_u32_e64 v115, v116
	s_xor_b32 s13, exec_lo, s13
; %bb.2676:                             ;   in Loop: Header=BB4_2641 Depth=2
	v_cmp_lt_u32_e64 s12, 0xffffff, v81
	v_sub_nc_u32_e32 v71, v115, v116
	v_cndmask_b32_e64 v115, 0, 1, s12
	v_add_co_ci_u32_e64 v71, null, 0, v71, s12
	v_lshrrev_b32_e32 v81, v115, v81
; %bb.2677:                             ;   in Loop: Header=BB4_2641 Depth=2
	s_andn2_saveexec_b32 s12, s13
; %bb.2678:                             ;   in Loop: Header=BB4_2641 Depth=2
	v_bfe_u32 v71, v81, 23, 1
; %bb.2679:                             ;   in Loop: Header=BB4_2641 Depth=2
	s_or_b32 exec_lo, exec_lo, s12
	v_lshrrev_b32_e32 v81, 20, v81
	v_min_i32_e32 v115, 15, v71
	v_cmp_gt_i32_e64 s12, 16, v71
	v_and_b32_sdwa v80, v80, v97 dst_sel:DWORD dst_unused:UNUSED_PAD src0_sel:BYTE_3 src1_sel:DWORD
	v_lshlrev_b32_e32 v115, 3, v115
	v_cndmask_b32_e64 v81, 7, v81, s12
	v_and_b32_e32 v115, 0xf8, v115
	v_and_b32_e32 v116, 7, v81
	v_or_b32_e32 v71, v71, v81
	v_or3_b32 v80, v80, v115, v116
	v_cmp_ne_u32_e64 s12, 0, v71
	v_lshlrev_b32_e32 v80, 8, v80
	v_cndmask_b32_e64 v71, 0, v80, s12
.LBB4_2680:                             ;   in Loop: Header=BB4_2641 Depth=2
	s_or_b32 exec_lo, exec_lo, s29
.LBB4_2681:                             ;   in Loop: Header=BB4_2641 Depth=2
	s_or_b32 exec_lo, exec_lo, s28
	v_and_b32_sdwa v81, v14, v113 dst_sel:DWORD dst_unused:UNUSED_PAD src0_sel:WORD_1 src1_sel:DWORD
	s_mov_b32 s13, 0
	s_mov_b32 s28, exec_lo
	v_cmpx_lt_i16_e32 0x7f, v81
	s_xor_b32 s28, exec_lo, s28
	s_cbranch_execz .LBB4_2967
; %bb.2682:                             ;   in Loop: Header=BB4_2641 Depth=2
	s_mov_b32 s13, -1
	s_mov_b32 s29, exec_lo
	v_cmpx_eq_u16_e32 0x80, v81
; %bb.2683:                             ;   in Loop: Header=BB4_2641 Depth=2
	s_xor_b32 s13, exec_lo, -1
; %bb.2684:                             ;   in Loop: Header=BB4_2641 Depth=2
	s_or_b32 exec_lo, exec_lo, s29
	s_and_b32 s13, s13, exec_lo
                                        ; implicit-def: $vgpr81
	s_or_saveexec_b32 s28, s28
	v_mov_b32_e32 v80, 0x7f800001
	s_xor_b32 exec_lo, exec_lo, s28
	s_cbranch_execnz .LBB4_2968
.LBB4_2685:                             ;   in Loop: Header=BB4_2641 Depth=2
	s_or_b32 exec_lo, exec_lo, s28
	s_and_saveexec_b32 s28, s13
	s_cbranch_execz .LBB4_2687
.LBB4_2686:                             ;   in Loop: Header=BB4_2641 Depth=2
	v_bfe_u32 v80, v14, 16, 3
	v_bfe_u32 v116, v14, 19, 4
	v_lshlrev_b32_e32 v117, 8, v14
	v_ffbh_u32_e32 v81, v80
	v_cmp_eq_u32_e64 s12, 0, v116
	v_min_u32_e32 v81, 32, v81
	v_subrev_nc_u32_e32 v115, 28, v81
	v_sub_nc_u32_e32 v81, 29, v81
	v_lshlrev_b32_sdwa v115, v115, v14 dst_sel:DWORD dst_unused:UNUSED_PAD src0_sel:DWORD src1_sel:WORD_1
	v_cndmask_b32_e64 v81, v116, v81, s12
	v_and_b32_e32 v115, 7, v115
	v_lshl_add_u32 v81, v81, 23, 0x3b800000
	v_cndmask_b32_e64 v80, v80, v115, s12
	v_and_b32_e32 v115, 0x80000000, v117
	v_lshlrev_b32_e32 v80, 20, v80
	v_or3_b32 v80, v115, v81, v80
.LBB4_2687:                             ;   in Loop: Header=BB4_2641 Depth=2
	s_or_b32 exec_lo, exec_lo, s28
	v_and_b32_sdwa v115, v10, v113 dst_sel:DWORD dst_unused:UNUSED_PAD src0_sel:WORD_1 src1_sel:DWORD
	s_mov_b32 s13, 0
	s_mov_b32 s28, exec_lo
	v_cmpx_lt_i16_e32 0x7f, v115
	s_xor_b32 s28, exec_lo, s28
	s_cbranch_execz .LBB4_2969
; %bb.2688:                             ;   in Loop: Header=BB4_2641 Depth=2
	s_mov_b32 s13, -1
	s_mov_b32 s29, exec_lo
	v_cmpx_eq_u16_e32 0x80, v115
; %bb.2689:                             ;   in Loop: Header=BB4_2641 Depth=2
	s_xor_b32 s13, exec_lo, -1
; %bb.2690:                             ;   in Loop: Header=BB4_2641 Depth=2
	s_or_b32 exec_lo, exec_lo, s29
	s_and_b32 s13, s13, exec_lo
                                        ; implicit-def: $vgpr115
	s_or_saveexec_b32 s28, s28
	v_mov_b32_e32 v81, 0x7f800001
	s_xor_b32 exec_lo, exec_lo, s28
	s_cbranch_execnz .LBB4_2970
.LBB4_2691:                             ;   in Loop: Header=BB4_2641 Depth=2
	s_or_b32 exec_lo, exec_lo, s28
	s_and_saveexec_b32 s28, s13
	s_cbranch_execz .LBB4_2693
.LBB4_2692:                             ;   in Loop: Header=BB4_2641 Depth=2
	v_and_b32_sdwa v81, v10, v114 dst_sel:DWORD dst_unused:UNUSED_PAD src0_sel:WORD_1 src1_sel:DWORD
	v_bfe_u32 v117, v10, 19, 4
	v_lshlrev_b32_sdwa v118, v100, v10 dst_sel:DWORD dst_unused:UNUSED_PAD src0_sel:DWORD src1_sel:WORD_1
	v_ffbh_u32_e32 v115, v81
	v_cmp_eq_u32_e64 s12, 0, v117
	v_min_u32_e32 v115, 32, v115
	v_subrev_nc_u32_e32 v116, 28, v115
	v_sub_nc_u32_e32 v115, 29, v115
	v_lshlrev_b32_sdwa v116, v116, v10 dst_sel:DWORD dst_unused:UNUSED_PAD src0_sel:DWORD src1_sel:WORD_1
	v_cndmask_b32_e64 v115, v117, v115, s12
	v_and_b32_e32 v116, 7, v116
	v_lshl_add_u32 v115, v115, 23, 0x3b800000
	v_cndmask_b32_e64 v81, v81, v116, s12
	v_and_b32_e32 v116, 0x80000000, v118
	v_lshlrev_b32_e32 v81, 20, v81
	v_or3_b32 v81, v116, v115, v81
.LBB4_2693:                             ;   in Loop: Header=BB4_2641 Depth=2
	s_or_b32 exec_lo, exec_lo, s28
	v_add_f32_e32 v81, v80, v81
	v_and_b32_e32 v80, 0x7f800000, v81
	v_cmp_ne_u32_e64 s12, 0x7f800000, v80
	v_mov_b32_e32 v80, 0x80
	s_and_saveexec_b32 s28, s12
	s_cbranch_execz .LBB4_2701
; %bb.2694:                             ;   in Loop: Header=BB4_2641 Depth=2
	v_mov_b32_e32 v80, 0
	s_mov_b32 s29, exec_lo
	v_cmpx_ne_u32_e32 0, v81
	s_cbranch_execz .LBB4_2700
; %bb.2695:                             ;   in Loop: Header=BB4_2641 Depth=2
	v_bfe_u32 v80, v81, 23, 8
	v_and_b32_e32 v115, 0x7fffff, v81
	v_sub_nc_u32_e32 v116, 0x78, v80
	v_cmp_gt_u32_e64 s12, 0x79, v80
	v_or_b32_e32 v117, 0x800000, v115
	v_cndmask_b32_e64 v116, 0, v116, s12
	v_cmp_eq_u32_e64 s12, 0, v80
	v_add_nc_u32_e32 v80, 0xffffff89, v80
	v_cndmask_b32_e64 v116, v116, 0x77, s12
	v_cndmask_b32_e64 v115, v117, v115, s12
	;; [unrolled: 1-line block ×3, first 2 shown]
	v_lshl_add_u32 v117, 0x100000, v116, -1
	v_lshrrev_b32_e32 v118, v116, v115
	v_lshlrev_b32_e64 v40, v116, 0x80000
	v_add_nc_u32_e32 v116, v116, v80
	v_and_b32_e32 v115, v117, v115
	v_bfe_u32 v119, v118, 20, 1
	v_cmp_eq_u32_e64 s13, v115, v40
	v_add_nc_u32_e32 v117, -1, v119
	v_cndmask_b32_e64 v115, 0, v117, s13
	v_lshrrev_b32_e32 v117, 23, v118
	s_mov_b32 s13, exec_lo
	v_add_nc_u32_e32 v115, v115, v118
	v_xor_b32_e32 v117, 1, v117
	v_and_b32_e32 v80, 0xfffff, v115
	v_add_nc_u32_e32 v115, v80, v118
                                        ; implicit-def: $vgpr80
	v_cmpx_ne_u32_e64 v116, v117
	s_xor_b32 s13, exec_lo, s13
; %bb.2696:                             ;   in Loop: Header=BB4_2641 Depth=2
	v_cmp_lt_u32_e64 s12, 0xffffff, v115
	v_sub_nc_u32_e32 v80, v116, v117
	v_cndmask_b32_e64 v116, 0, 1, s12
	v_add_co_ci_u32_e64 v80, null, 0, v80, s12
	v_lshrrev_b32_e32 v115, v116, v115
; %bb.2697:                             ;   in Loop: Header=BB4_2641 Depth=2
	s_andn2_saveexec_b32 s12, s13
; %bb.2698:                             ;   in Loop: Header=BB4_2641 Depth=2
	v_bfe_u32 v80, v115, 23, 1
; %bb.2699:                             ;   in Loop: Header=BB4_2641 Depth=2
	s_or_b32 exec_lo, exec_lo, s12
	v_lshrrev_b32_e32 v115, 20, v115
	v_min_i32_e32 v116, 15, v80
	v_cmp_gt_i32_e64 s12, 16, v80
	v_and_b32_sdwa v81, v81, v97 dst_sel:DWORD dst_unused:UNUSED_PAD src0_sel:BYTE_3 src1_sel:DWORD
	v_lshlrev_b32_e32 v116, 3, v116
	v_cndmask_b32_e64 v115, 7, v115, s12
	v_and_b32_e32 v116, 0xf8, v116
	v_and_b32_e32 v117, 7, v115
	v_or_b32_e32 v80, v80, v115
	v_or3_b32 v81, v116, v81, v117
	v_cmp_ne_u32_e64 s12, 0, v80
	v_cndmask_b32_e64 v80, 0, v81, s12
.LBB4_2700:                             ;   in Loop: Header=BB4_2641 Depth=2
	s_or_b32 exec_lo, exec_lo, s29
.LBB4_2701:                             ;   in Loop: Header=BB4_2641 Depth=2
	s_or_b32 exec_lo, exec_lo, s28
	v_cmp_gt_i16_sdwa s13, v14, v96 src0_sel:BYTE_3 src1_sel:DWORD
	s_mov_b32 s12, 0
	s_and_saveexec_b32 s28, s13
	s_xor_b32 s13, exec_lo, s28
	s_cbranch_execz .LBB4_2971
; %bb.2702:                             ;   in Loop: Header=BB4_2641 Depth=2
	v_cmp_eq_u16_sdwa s29, v14, v97 src0_sel:BYTE_3 src1_sel:DWORD
	s_mov_b32 s12, -1
	s_and_saveexec_b32 s28, s29
; %bb.2703:                             ;   in Loop: Header=BB4_2641 Depth=2
	s_xor_b32 s12, exec_lo, -1
; %bb.2704:                             ;   in Loop: Header=BB4_2641 Depth=2
	s_or_b32 exec_lo, exec_lo, s28
	s_and_b32 s12, s12, exec_lo
	s_or_saveexec_b32 s13, s13
	v_mov_b32_e32 v81, 0x7f800001
	s_xor_b32 exec_lo, exec_lo, s13
	s_cbranch_execnz .LBB4_2972
.LBB4_2705:                             ;   in Loop: Header=BB4_2641 Depth=2
	s_or_b32 exec_lo, exec_lo, s13
	s_and_saveexec_b32 s13, s12
	s_cbranch_execz .LBB4_2707
.LBB4_2706:                             ;   in Loop: Header=BB4_2641 Depth=2
	v_bfe_u32 v81, v14, 24, 3
	v_bfe_u32 v117, v14, 27, 4
	v_ffbh_u32_e32 v115, v81
	v_cmp_eq_u32_e64 s12, 0, v117
	v_min_u32_e32 v115, 32, v115
	v_subrev_nc_u32_e32 v116, 28, v115
	v_sub_nc_u32_e32 v115, 29, v115
	v_lshlrev_b32_sdwa v116, v116, v14 dst_sel:DWORD dst_unused:UNUSED_PAD src0_sel:DWORD src1_sel:BYTE_3
	v_cndmask_b32_e64 v115, v117, v115, s12
	v_and_b32_e32 v14, 0x80000000, v14
	v_and_b32_e32 v116, 7, v116
	v_lshl_add_u32 v115, v115, 23, 0x3b800000
	v_cndmask_b32_e64 v81, v81, v116, s12
	v_lshlrev_b32_e32 v81, 20, v81
	v_or3_b32 v81, v14, v115, v81
.LBB4_2707:                             ;   in Loop: Header=BB4_2641 Depth=2
	s_or_b32 exec_lo, exec_lo, s13
	v_cmp_gt_i16_sdwa s13, v10, v96 src0_sel:BYTE_3 src1_sel:DWORD
	s_mov_b32 s12, 0
	s_and_saveexec_b32 s28, s13
	s_xor_b32 s13, exec_lo, s28
	s_cbranch_execz .LBB4_2973
; %bb.2708:                             ;   in Loop: Header=BB4_2641 Depth=2
	v_cmp_eq_u16_sdwa s29, v10, v97 src0_sel:BYTE_3 src1_sel:DWORD
	s_mov_b32 s12, -1
	s_and_saveexec_b32 s28, s29
; %bb.2709:                             ;   in Loop: Header=BB4_2641 Depth=2
	s_xor_b32 s12, exec_lo, -1
; %bb.2710:                             ;   in Loop: Header=BB4_2641 Depth=2
	s_or_b32 exec_lo, exec_lo, s28
	s_and_b32 s12, s12, exec_lo
	s_or_saveexec_b32 s13, s13
	v_mov_b32_e32 v14, 0x7f800001
	s_xor_b32 exec_lo, exec_lo, s13
	s_cbranch_execnz .LBB4_2974
.LBB4_2711:                             ;   in Loop: Header=BB4_2641 Depth=2
	s_or_b32 exec_lo, exec_lo, s13
	s_and_saveexec_b32 s13, s12
	s_cbranch_execz .LBB4_2713
.LBB4_2712:                             ;   in Loop: Header=BB4_2641 Depth=2
	v_and_b32_sdwa v14, v10, v114 dst_sel:DWORD dst_unused:UNUSED_PAD src0_sel:BYTE_3 src1_sel:DWORD
	v_bfe_u32 v117, v10, 27, 4
	v_ffbh_u32_e32 v115, v14
	v_cmp_eq_u32_e64 s12, 0, v117
	v_min_u32_e32 v115, 32, v115
	v_subrev_nc_u32_e32 v116, 28, v115
	v_sub_nc_u32_e32 v115, 29, v115
	v_lshlrev_b32_sdwa v116, v116, v10 dst_sel:DWORD dst_unused:UNUSED_PAD src0_sel:DWORD src1_sel:BYTE_3
	v_cndmask_b32_e64 v115, v117, v115, s12
	v_and_b32_e32 v10, 0x80000000, v10
	v_and_b32_e32 v116, 7, v116
	v_lshl_add_u32 v115, v115, 23, 0x3b800000
	v_cndmask_b32_e64 v14, v14, v116, s12
	v_lshlrev_b32_e32 v14, 20, v14
	v_or3_b32 v14, v10, v115, v14
.LBB4_2713:                             ;   in Loop: Header=BB4_2641 Depth=2
	s_or_b32 exec_lo, exec_lo, s13
	v_add_f32_e32 v14, v81, v14
	v_and_b32_e32 v10, 0x7f800000, v14
	v_cmp_ne_u32_e64 s12, 0x7f800000, v10
	v_mov_b32_e32 v10, 0x8000
	s_and_saveexec_b32 s28, s12
	s_cbranch_execz .LBB4_2721
; %bb.2714:                             ;   in Loop: Header=BB4_2641 Depth=2
	v_mov_b32_e32 v10, 0
	s_mov_b32 s29, exec_lo
	v_cmpx_ne_u32_e32 0, v14
	s_cbranch_execz .LBB4_2720
; %bb.2715:                             ;   in Loop: Header=BB4_2641 Depth=2
	v_bfe_u32 v10, v14, 23, 8
	v_and_b32_e32 v81, 0x7fffff, v14
	v_sub_nc_u32_e32 v115, 0x78, v10
	v_cmp_gt_u32_e64 s12, 0x79, v10
	v_or_b32_e32 v116, 0x800000, v81
	v_cndmask_b32_e64 v115, 0, v115, s12
	v_cmp_eq_u32_e64 s12, 0, v10
	v_add_nc_u32_e32 v10, 0xffffff89, v10
	v_cndmask_b32_e64 v115, v115, 0x77, s12
	v_cndmask_b32_e64 v81, v116, v81, s12
	;; [unrolled: 1-line block ×3, first 2 shown]
	v_lshl_add_u32 v116, 0x100000, v115, -1
	v_lshrrev_b32_e32 v117, v115, v81
	v_lshlrev_b32_e64 v119, v115, 0x80000
	v_add_nc_u32_e32 v115, v115, v10
	v_and_b32_e32 v81, v116, v81
	v_bfe_u32 v118, v117, 20, 1
	v_cmp_eq_u32_e64 s13, v81, v119
	v_add_nc_u32_e32 v116, -1, v118
	v_cndmask_b32_e64 v81, 0, v116, s13
	v_lshrrev_b32_e32 v116, 23, v117
	s_mov_b32 s13, exec_lo
	v_add_nc_u32_e32 v81, v81, v117
	v_xor_b32_e32 v116, 1, v116
	v_and_b32_e32 v10, 0xfffff, v81
	v_add_nc_u32_e32 v81, v10, v117
                                        ; implicit-def: $vgpr10
	v_cmpx_ne_u32_e64 v115, v116
	s_xor_b32 s13, exec_lo, s13
; %bb.2716:                             ;   in Loop: Header=BB4_2641 Depth=2
	v_cmp_lt_u32_e64 s12, 0xffffff, v81
	v_sub_nc_u32_e32 v10, v115, v116
	v_cndmask_b32_e64 v115, 0, 1, s12
	v_add_co_ci_u32_e64 v10, null, 0, v10, s12
	v_lshrrev_b32_e32 v81, v115, v81
; %bb.2717:                             ;   in Loop: Header=BB4_2641 Depth=2
	s_andn2_saveexec_b32 s12, s13
; %bb.2718:                             ;   in Loop: Header=BB4_2641 Depth=2
	v_bfe_u32 v10, v81, 23, 1
; %bb.2719:                             ;   in Loop: Header=BB4_2641 Depth=2
	s_or_b32 exec_lo, exec_lo, s12
	v_lshrrev_b32_e32 v81, 20, v81
	v_min_i32_e32 v115, 15, v10
	v_cmp_gt_i32_e64 s12, 16, v10
	v_and_b32_sdwa v14, v14, v97 dst_sel:DWORD dst_unused:UNUSED_PAD src0_sel:BYTE_3 src1_sel:DWORD
	v_lshlrev_b32_e32 v115, 3, v115
	v_cndmask_b32_e64 v81, 7, v81, s12
	v_and_b32_e32 v115, 0xf8, v115
	v_and_b32_e32 v116, 7, v81
	v_or_b32_e32 v10, v10, v81
	v_or3_b32 v14, v14, v115, v116
	v_cmp_ne_u32_e64 s12, 0, v10
	v_lshlrev_b32_e32 v14, 8, v14
	v_cndmask_b32_e64 v10, 0, v14, s12
.LBB4_2720:                             ;   in Loop: Header=BB4_2641 Depth=2
	s_or_b32 exec_lo, exec_lo, s29
.LBB4_2721:                             ;   in Loop: Header=BB4_2641 Depth=2
	s_or_b32 exec_lo, exec_lo, s28
	v_cmp_gt_i16_sdwa s13, v15, v96 src0_sel:BYTE_0 src1_sel:DWORD
	s_mov_b32 s12, 0
	s_and_saveexec_b32 s28, s13
	s_xor_b32 s13, exec_lo, s28
	s_cbranch_execz .LBB4_2975
; %bb.2722:                             ;   in Loop: Header=BB4_2641 Depth=2
	v_cmp_eq_u16_sdwa s29, v15, v97 src0_sel:BYTE_0 src1_sel:DWORD
	s_mov_b32 s12, -1
	s_and_saveexec_b32 s28, s29
; %bb.2723:                             ;   in Loop: Header=BB4_2641 Depth=2
	s_xor_b32 s12, exec_lo, -1
; %bb.2724:                             ;   in Loop: Header=BB4_2641 Depth=2
	s_or_b32 exec_lo, exec_lo, s28
	s_and_b32 s12, s12, exec_lo
	s_or_saveexec_b32 s13, s13
	v_mov_b32_e32 v14, 0x7f800001
	s_xor_b32 exec_lo, exec_lo, s13
	s_cbranch_execnz .LBB4_2976
.LBB4_2725:                             ;   in Loop: Header=BB4_2641 Depth=2
	s_or_b32 exec_lo, exec_lo, s13
	s_and_saveexec_b32 s13, s12
	s_cbranch_execz .LBB4_2727
.LBB4_2726:                             ;   in Loop: Header=BB4_2641 Depth=2
	v_and_b32_e32 v14, 7, v15
	v_bfe_u32 v116, v15, 3, 4
	v_lshlrev_b32_e32 v117, 24, v15
	v_ffbh_u32_e32 v81, v14
	v_cmp_eq_u32_e64 s12, 0, v116
	v_min_u32_e32 v81, 32, v81
	v_subrev_nc_u32_e32 v115, 28, v81
	v_sub_nc_u32_e32 v81, 29, v81
	v_lshlrev_b32_e32 v115, v115, v15
	v_cndmask_b32_e64 v81, v116, v81, s12
	v_and_b32_e32 v115, 7, v115
	v_lshl_add_u32 v81, v81, 23, 0x3b800000
	v_cndmask_b32_e64 v14, v14, v115, s12
	v_and_b32_e32 v115, 0x80000000, v117
	v_lshlrev_b32_e32 v14, 20, v14
	v_or3_b32 v14, v115, v81, v14
.LBB4_2727:                             ;   in Loop: Header=BB4_2641 Depth=2
	s_or_b32 exec_lo, exec_lo, s13
	v_cmp_gt_i16_sdwa s13, v11, v96 src0_sel:BYTE_0 src1_sel:DWORD
	s_mov_b32 s12, 0
	s_and_saveexec_b32 s28, s13
	s_xor_b32 s13, exec_lo, s28
	s_cbranch_execz .LBB4_2977
; %bb.2728:                             ;   in Loop: Header=BB4_2641 Depth=2
	v_cmp_eq_u16_sdwa s29, v11, v97 src0_sel:BYTE_0 src1_sel:DWORD
	s_mov_b32 s12, -1
	s_and_saveexec_b32 s28, s29
; %bb.2729:                             ;   in Loop: Header=BB4_2641 Depth=2
	s_xor_b32 s12, exec_lo, -1
; %bb.2730:                             ;   in Loop: Header=BB4_2641 Depth=2
	s_or_b32 exec_lo, exec_lo, s28
	s_and_b32 s12, s12, exec_lo
	s_or_saveexec_b32 s13, s13
	v_mov_b32_e32 v81, 0x7f800001
	s_xor_b32 exec_lo, exec_lo, s13
	s_cbranch_execnz .LBB4_2978
.LBB4_2731:                             ;   in Loop: Header=BB4_2641 Depth=2
	s_or_b32 exec_lo, exec_lo, s13
	s_and_saveexec_b32 s13, s12
	s_cbranch_execz .LBB4_2733
.LBB4_2732:                             ;   in Loop: Header=BB4_2641 Depth=2
	v_and_b32_e32 v81, 7, v11
	v_bfe_u32 v117, v11, 3, 4
	v_lshlrev_b32_e32 v118, 24, v11
	v_ffbh_u32_e32 v115, v81
	v_cmp_eq_u32_e64 s12, 0, v117
	v_min_u32_e32 v115, 32, v115
	v_subrev_nc_u32_e32 v116, 28, v115
	v_sub_nc_u32_e32 v115, 29, v115
	v_lshlrev_b32_e32 v116, v116, v11
	v_cndmask_b32_e64 v115, v117, v115, s12
	v_and_b32_e32 v116, 7, v116
	v_lshl_add_u32 v115, v115, 23, 0x3b800000
	v_cndmask_b32_e64 v81, v81, v116, s12
	v_and_b32_e32 v116, 0x80000000, v118
	v_lshlrev_b32_e32 v81, 20, v81
	v_or3_b32 v81, v116, v115, v81
.LBB4_2733:                             ;   in Loop: Header=BB4_2641 Depth=2
	s_or_b32 exec_lo, exec_lo, s13
	v_add_f32_e32 v81, v14, v81
	v_and_b32_e32 v14, 0x7f800000, v81
	v_cmp_ne_u32_e64 s12, 0x7f800000, v14
	v_mov_b32_e32 v14, 0x80
	s_and_saveexec_b32 s28, s12
	s_cbranch_execz .LBB4_2741
; %bb.2734:                             ;   in Loop: Header=BB4_2641 Depth=2
	v_mov_b32_e32 v14, 0
	s_mov_b32 s29, exec_lo
	v_cmpx_ne_u32_e32 0, v81
	s_cbranch_execz .LBB4_2740
; %bb.2735:                             ;   in Loop: Header=BB4_2641 Depth=2
	v_bfe_u32 v14, v81, 23, 8
	v_and_b32_e32 v115, 0x7fffff, v81
	v_sub_nc_u32_e32 v116, 0x78, v14
	v_cmp_gt_u32_e64 s12, 0x79, v14
	v_or_b32_e32 v117, 0x800000, v115
	v_cndmask_b32_e64 v116, 0, v116, s12
	v_cmp_eq_u32_e64 s12, 0, v14
	v_add_nc_u32_e32 v14, 0xffffff89, v14
	v_cndmask_b32_e64 v116, v116, 0x77, s12
	v_cndmask_b32_e64 v115, v117, v115, s12
	;; [unrolled: 1-line block ×3, first 2 shown]
	v_lshl_add_u32 v117, 0x100000, v116, -1
	v_lshrrev_b32_e32 v118, v116, v115
	v_lshlrev_b32_e64 v40, v116, 0x80000
	v_add_nc_u32_e32 v116, v116, v14
	v_and_b32_e32 v115, v117, v115
	v_bfe_u32 v119, v118, 20, 1
	v_cmp_eq_u32_e64 s13, v115, v40
	v_add_nc_u32_e32 v117, -1, v119
	v_cndmask_b32_e64 v115, 0, v117, s13
	v_lshrrev_b32_e32 v117, 23, v118
	s_mov_b32 s13, exec_lo
	v_add_nc_u32_e32 v115, v115, v118
	v_xor_b32_e32 v117, 1, v117
	v_and_b32_e32 v14, 0xfffff, v115
	v_add_nc_u32_e32 v115, v14, v118
                                        ; implicit-def: $vgpr14
	v_cmpx_ne_u32_e64 v116, v117
	s_xor_b32 s13, exec_lo, s13
; %bb.2736:                             ;   in Loop: Header=BB4_2641 Depth=2
	v_cmp_lt_u32_e64 s12, 0xffffff, v115
	v_sub_nc_u32_e32 v14, v116, v117
	v_cndmask_b32_e64 v116, 0, 1, s12
	v_add_co_ci_u32_e64 v14, null, 0, v14, s12
	v_lshrrev_b32_e32 v115, v116, v115
; %bb.2737:                             ;   in Loop: Header=BB4_2641 Depth=2
	s_andn2_saveexec_b32 s12, s13
; %bb.2738:                             ;   in Loop: Header=BB4_2641 Depth=2
	v_bfe_u32 v14, v115, 23, 1
; %bb.2739:                             ;   in Loop: Header=BB4_2641 Depth=2
	s_or_b32 exec_lo, exec_lo, s12
	v_lshrrev_b32_e32 v115, 20, v115
	v_min_i32_e32 v116, 15, v14
	v_cmp_gt_i32_e64 s12, 16, v14
	v_and_b32_sdwa v81, v81, v97 dst_sel:DWORD dst_unused:UNUSED_PAD src0_sel:BYTE_3 src1_sel:DWORD
	v_lshlrev_b32_e32 v116, 3, v116
	v_cndmask_b32_e64 v115, 7, v115, s12
	v_and_b32_e32 v116, 0xf8, v116
	v_and_b32_e32 v117, 7, v115
	v_or_b32_e32 v14, v14, v115
	v_or3_b32 v81, v116, v81, v117
	v_cmp_ne_u32_e64 s12, 0, v14
	v_cndmask_b32_e64 v14, 0, v81, s12
.LBB4_2740:                             ;   in Loop: Header=BB4_2641 Depth=2
	s_or_b32 exec_lo, exec_lo, s29
.LBB4_2741:                             ;   in Loop: Header=BB4_2641 Depth=2
	s_or_b32 exec_lo, exec_lo, s28
	v_cmp_gt_i16_sdwa s13, v15, v96 src0_sel:BYTE_1 src1_sel:DWORD
	s_mov_b32 s12, 0
	s_and_saveexec_b32 s28, s13
	s_xor_b32 s13, exec_lo, s28
	s_cbranch_execz .LBB4_2979
; %bb.2742:                             ;   in Loop: Header=BB4_2641 Depth=2
	v_cmp_eq_u16_sdwa s29, v15, v97 src0_sel:BYTE_1 src1_sel:DWORD
	s_mov_b32 s12, -1
	s_and_saveexec_b32 s28, s29
; %bb.2743:                             ;   in Loop: Header=BB4_2641 Depth=2
	s_xor_b32 s12, exec_lo, -1
; %bb.2744:                             ;   in Loop: Header=BB4_2641 Depth=2
	s_or_b32 exec_lo, exec_lo, s28
	s_and_b32 s12, s12, exec_lo
	s_or_saveexec_b32 s13, s13
	v_mov_b32_e32 v81, 0x7f800001
	s_xor_b32 exec_lo, exec_lo, s13
	s_cbranch_execnz .LBB4_2980
.LBB4_2745:                             ;   in Loop: Header=BB4_2641 Depth=2
	s_or_b32 exec_lo, exec_lo, s13
	s_and_saveexec_b32 s13, s12
	s_cbranch_execz .LBB4_2747
.LBB4_2746:                             ;   in Loop: Header=BB4_2641 Depth=2
	v_and_b32_sdwa v81, v98, v15 dst_sel:DWORD dst_unused:UNUSED_PAD src0_sel:DWORD src1_sel:BYTE_1
	v_and_b32_e32 v115, 7, v81
	v_bfe_u32 v118, v81, 3, 4
	v_ffbh_u32_e32 v116, v115
	v_cmp_eq_u32_e64 s12, 0, v118
	v_min_u32_e32 v116, 32, v116
	v_subrev_nc_u32_e32 v117, 28, v116
	v_sub_nc_u32_e32 v116, 29, v116
	v_lshlrev_b32_e32 v81, v117, v81
	v_lshlrev_b32_sdwa v117, v100, v15 dst_sel:DWORD dst_unused:UNUSED_PAD src0_sel:DWORD src1_sel:BYTE_1
	v_cndmask_b32_e64 v116, v118, v116, s12
	v_and_b32_e32 v81, 7, v81
	v_lshl_add_u32 v116, v116, 23, 0x3b800000
	v_cndmask_b32_e64 v81, v115, v81, s12
	v_and_b32_e32 v115, 0x80000000, v117
	v_lshlrev_b32_e32 v81, 20, v81
	v_or3_b32 v81, v115, v116, v81
.LBB4_2747:                             ;   in Loop: Header=BB4_2641 Depth=2
	s_or_b32 exec_lo, exec_lo, s13
	v_cmp_gt_i16_sdwa s13, v11, v96 src0_sel:BYTE_1 src1_sel:DWORD
	s_mov_b32 s12, 0
	s_and_saveexec_b32 s28, s13
	s_xor_b32 s13, exec_lo, s28
	s_cbranch_execz .LBB4_2981
; %bb.2748:                             ;   in Loop: Header=BB4_2641 Depth=2
	v_cmp_eq_u16_sdwa s29, v11, v97 src0_sel:BYTE_1 src1_sel:DWORD
	s_mov_b32 s12, -1
	s_and_saveexec_b32 s28, s29
; %bb.2749:                             ;   in Loop: Header=BB4_2641 Depth=2
	s_xor_b32 s12, exec_lo, -1
; %bb.2750:                             ;   in Loop: Header=BB4_2641 Depth=2
	s_or_b32 exec_lo, exec_lo, s28
	s_and_b32 s12, s12, exec_lo
	s_or_saveexec_b32 s13, s13
	v_mov_b32_e32 v115, 0x7f800001
	s_xor_b32 exec_lo, exec_lo, s13
	s_cbranch_execnz .LBB4_2982
.LBB4_2751:                             ;   in Loop: Header=BB4_2641 Depth=2
	s_or_b32 exec_lo, exec_lo, s13
	s_and_saveexec_b32 s13, s12
	s_cbranch_execz .LBB4_2753
.LBB4_2752:                             ;   in Loop: Header=BB4_2641 Depth=2
	v_and_b32_sdwa v115, v98, v11 dst_sel:DWORD dst_unused:UNUSED_PAD src0_sel:DWORD src1_sel:BYTE_1
	v_and_b32_e32 v116, 7, v115
	v_bfe_u32 v119, v115, 3, 4
	v_ffbh_u32_e32 v117, v116
	v_cmp_eq_u32_e64 s12, 0, v119
	v_min_u32_e32 v117, 32, v117
	v_subrev_nc_u32_e32 v118, 28, v117
	v_sub_nc_u32_e32 v117, 29, v117
	v_lshlrev_b32_e32 v115, v118, v115
	v_lshlrev_b32_sdwa v118, v100, v11 dst_sel:DWORD dst_unused:UNUSED_PAD src0_sel:DWORD src1_sel:BYTE_1
	v_cndmask_b32_e64 v117, v119, v117, s12
	v_and_b32_e32 v115, 7, v115
	v_lshl_add_u32 v117, v117, 23, 0x3b800000
	v_cndmask_b32_e64 v115, v116, v115, s12
	v_and_b32_e32 v116, 0x80000000, v118
	v_lshlrev_b32_e32 v115, 20, v115
	v_or3_b32 v115, v116, v117, v115
.LBB4_2753:                             ;   in Loop: Header=BB4_2641 Depth=2
	s_or_b32 exec_lo, exec_lo, s13
	v_add_f32_e32 v115, v81, v115
	v_and_b32_e32 v81, 0x7f800000, v115
	v_cmp_ne_u32_e64 s12, 0x7f800000, v81
	v_mov_b32_e32 v81, 0x8000
	s_and_saveexec_b32 s28, s12
	s_cbranch_execz .LBB4_2761
; %bb.2754:                             ;   in Loop: Header=BB4_2641 Depth=2
	v_mov_b32_e32 v81, 0
	s_mov_b32 s29, exec_lo
	v_cmpx_ne_u32_e32 0, v115
	s_cbranch_execz .LBB4_2760
; %bb.2755:                             ;   in Loop: Header=BB4_2641 Depth=2
	v_bfe_u32 v81, v115, 23, 8
	v_and_b32_e32 v116, 0x7fffff, v115
	v_sub_nc_u32_e32 v117, 0x78, v81
	v_cmp_gt_u32_e64 s12, 0x79, v81
	v_or_b32_e32 v118, 0x800000, v116
	v_cndmask_b32_e64 v117, 0, v117, s12
	v_cmp_eq_u32_e64 s12, 0, v81
	v_add_nc_u32_e32 v81, 0xffffff89, v81
	v_cndmask_b32_e64 v117, v117, 0x77, s12
	v_cndmask_b32_e64 v116, v118, v116, s12
	;; [unrolled: 1-line block ×3, first 2 shown]
	v_lshl_add_u32 v118, 0x100000, v117, -1
	v_lshrrev_b32_e32 v119, v117, v116
	v_lshlrev_b32_e64 v41, v117, 0x80000
	v_add_nc_u32_e32 v117, v117, v81
	v_and_b32_e32 v116, v118, v116
	v_bfe_u32 v40, v119, 20, 1
	v_cmp_eq_u32_e64 s13, v116, v41
	v_add_nc_u32_e32 v118, -1, v40
	v_cndmask_b32_e64 v116, 0, v118, s13
	v_lshrrev_b32_e32 v118, 23, v119
	s_mov_b32 s13, exec_lo
	v_add_nc_u32_e32 v116, v116, v119
	v_xor_b32_e32 v118, 1, v118
	v_and_b32_e32 v81, 0xfffff, v116
	v_add_nc_u32_e32 v116, v81, v119
                                        ; implicit-def: $vgpr81
	v_cmpx_ne_u32_e64 v117, v118
	s_xor_b32 s13, exec_lo, s13
; %bb.2756:                             ;   in Loop: Header=BB4_2641 Depth=2
	v_cmp_lt_u32_e64 s12, 0xffffff, v116
	v_sub_nc_u32_e32 v81, v117, v118
	v_cndmask_b32_e64 v117, 0, 1, s12
	v_add_co_ci_u32_e64 v81, null, 0, v81, s12
	v_lshrrev_b32_e32 v116, v117, v116
; %bb.2757:                             ;   in Loop: Header=BB4_2641 Depth=2
	s_andn2_saveexec_b32 s12, s13
; %bb.2758:                             ;   in Loop: Header=BB4_2641 Depth=2
	v_bfe_u32 v81, v116, 23, 1
; %bb.2759:                             ;   in Loop: Header=BB4_2641 Depth=2
	s_or_b32 exec_lo, exec_lo, s12
	v_lshrrev_b32_e32 v116, 20, v116
	v_min_i32_e32 v117, 15, v81
	v_cmp_gt_i32_e64 s12, 16, v81
	v_and_b32_sdwa v115, v115, v97 dst_sel:DWORD dst_unused:UNUSED_PAD src0_sel:BYTE_3 src1_sel:DWORD
	v_lshlrev_b32_e32 v117, 3, v117
	v_cndmask_b32_e64 v116, 7, v116, s12
	v_and_b32_e32 v117, 0xf8, v117
	v_and_b32_e32 v118, 7, v116
	v_or_b32_e32 v81, v81, v116
	v_or3_b32 v115, v115, v117, v118
	v_cmp_ne_u32_e64 s12, 0, v81
	v_lshlrev_b32_e32 v115, 8, v115
	v_cndmask_b32_e64 v81, 0, v115, s12
.LBB4_2760:                             ;   in Loop: Header=BB4_2641 Depth=2
	s_or_b32 exec_lo, exec_lo, s29
.LBB4_2761:                             ;   in Loop: Header=BB4_2641 Depth=2
	s_or_b32 exec_lo, exec_lo, s28
	v_and_b32_sdwa v116, v15, v113 dst_sel:DWORD dst_unused:UNUSED_PAD src0_sel:WORD_1 src1_sel:DWORD
	s_mov_b32 s13, 0
	s_mov_b32 s28, exec_lo
	v_cmpx_lt_i16_e32 0x7f, v116
	s_xor_b32 s28, exec_lo, s28
	s_cbranch_execz .LBB4_2983
; %bb.2762:                             ;   in Loop: Header=BB4_2641 Depth=2
	s_mov_b32 s13, -1
	s_mov_b32 s29, exec_lo
	v_cmpx_eq_u16_e32 0x80, v116
; %bb.2763:                             ;   in Loop: Header=BB4_2641 Depth=2
	s_xor_b32 s13, exec_lo, -1
; %bb.2764:                             ;   in Loop: Header=BB4_2641 Depth=2
	s_or_b32 exec_lo, exec_lo, s29
	s_and_b32 s13, s13, exec_lo
                                        ; implicit-def: $vgpr116
	s_or_saveexec_b32 s28, s28
	v_mov_b32_e32 v115, 0x7f800001
	s_xor_b32 exec_lo, exec_lo, s28
	s_cbranch_execnz .LBB4_2984
.LBB4_2765:                             ;   in Loop: Header=BB4_2641 Depth=2
	s_or_b32 exec_lo, exec_lo, s28
	s_and_saveexec_b32 s28, s13
	s_cbranch_execz .LBB4_2767
.LBB4_2766:                             ;   in Loop: Header=BB4_2641 Depth=2
	v_bfe_u32 v115, v15, 16, 3
	v_bfe_u32 v118, v15, 19, 4
	v_lshlrev_b32_e32 v119, 8, v15
	v_ffbh_u32_e32 v116, v115
	v_cmp_eq_u32_e64 s12, 0, v118
	v_min_u32_e32 v116, 32, v116
	v_subrev_nc_u32_e32 v117, 28, v116
	v_sub_nc_u32_e32 v116, 29, v116
	v_lshlrev_b32_sdwa v117, v117, v15 dst_sel:DWORD dst_unused:UNUSED_PAD src0_sel:DWORD src1_sel:WORD_1
	v_cndmask_b32_e64 v116, v118, v116, s12
	v_and_b32_e32 v117, 7, v117
	v_lshl_add_u32 v116, v116, 23, 0x3b800000
	v_cndmask_b32_e64 v115, v115, v117, s12
	v_and_b32_e32 v117, 0x80000000, v119
	v_lshlrev_b32_e32 v115, 20, v115
	v_or3_b32 v115, v117, v116, v115
.LBB4_2767:                             ;   in Loop: Header=BB4_2641 Depth=2
	s_or_b32 exec_lo, exec_lo, s28
	v_and_b32_sdwa v117, v11, v113 dst_sel:DWORD dst_unused:UNUSED_PAD src0_sel:WORD_1 src1_sel:DWORD
	s_mov_b32 s13, 0
	s_mov_b32 s28, exec_lo
	v_cmpx_lt_i16_e32 0x7f, v117
	s_xor_b32 s28, exec_lo, s28
	s_cbranch_execz .LBB4_2985
; %bb.2768:                             ;   in Loop: Header=BB4_2641 Depth=2
	s_mov_b32 s13, -1
	s_mov_b32 s29, exec_lo
	v_cmpx_eq_u16_e32 0x80, v117
; %bb.2769:                             ;   in Loop: Header=BB4_2641 Depth=2
	s_xor_b32 s13, exec_lo, -1
; %bb.2770:                             ;   in Loop: Header=BB4_2641 Depth=2
	s_or_b32 exec_lo, exec_lo, s29
	s_and_b32 s13, s13, exec_lo
                                        ; implicit-def: $vgpr117
	s_or_saveexec_b32 s28, s28
	v_mov_b32_e32 v116, 0x7f800001
	s_xor_b32 exec_lo, exec_lo, s28
	s_cbranch_execnz .LBB4_2986
.LBB4_2771:                             ;   in Loop: Header=BB4_2641 Depth=2
	s_or_b32 exec_lo, exec_lo, s28
	s_and_saveexec_b32 s28, s13
	s_cbranch_execz .LBB4_2773
.LBB4_2772:                             ;   in Loop: Header=BB4_2641 Depth=2
	v_and_b32_sdwa v116, v11, v114 dst_sel:DWORD dst_unused:UNUSED_PAD src0_sel:WORD_1 src1_sel:DWORD
	v_bfe_u32 v119, v11, 19, 4
	v_lshlrev_b32_sdwa v40, v100, v11 dst_sel:DWORD dst_unused:UNUSED_PAD src0_sel:DWORD src1_sel:WORD_1
	v_ffbh_u32_e32 v117, v116
	v_cmp_eq_u32_e64 s12, 0, v119
	v_min_u32_e32 v117, 32, v117
	v_subrev_nc_u32_e32 v118, 28, v117
	v_sub_nc_u32_e32 v117, 29, v117
	v_lshlrev_b32_sdwa v118, v118, v11 dst_sel:DWORD dst_unused:UNUSED_PAD src0_sel:DWORD src1_sel:WORD_1
	v_cndmask_b32_e64 v117, v119, v117, s12
	v_and_b32_e32 v118, 7, v118
	v_lshl_add_u32 v117, v117, 23, 0x3b800000
	v_cndmask_b32_e64 v116, v116, v118, s12
	v_and_b32_e32 v118, 0x80000000, v40
	v_lshlrev_b32_e32 v116, 20, v116
	v_or3_b32 v116, v118, v117, v116
.LBB4_2773:                             ;   in Loop: Header=BB4_2641 Depth=2
	s_or_b32 exec_lo, exec_lo, s28
	v_add_f32_e32 v116, v115, v116
	v_and_b32_e32 v115, 0x7f800000, v116
	v_cmp_ne_u32_e64 s12, 0x7f800000, v115
	v_mov_b32_e32 v115, 0x80
	s_and_saveexec_b32 s28, s12
	s_cbranch_execz .LBB4_2781
; %bb.2774:                             ;   in Loop: Header=BB4_2641 Depth=2
	v_mov_b32_e32 v115, 0
	s_mov_b32 s29, exec_lo
	v_cmpx_ne_u32_e32 0, v116
	s_cbranch_execz .LBB4_2780
; %bb.2775:                             ;   in Loop: Header=BB4_2641 Depth=2
	v_bfe_u32 v115, v116, 23, 8
	v_and_b32_e32 v117, 0x7fffff, v116
	v_sub_nc_u32_e32 v118, 0x78, v115
	v_cmp_gt_u32_e64 s12, 0x79, v115
	v_or_b32_e32 v119, 0x800000, v117
	v_cndmask_b32_e64 v118, 0, v118, s12
	v_cmp_eq_u32_e64 s12, 0, v115
	v_add_nc_u32_e32 v115, 0xffffff89, v115
	v_cndmask_b32_e64 v118, v118, 0x77, s12
	v_cndmask_b32_e64 v117, v119, v117, s12
	;; [unrolled: 1-line block ×3, first 2 shown]
	v_lshl_add_u32 v119, 0x100000, v118, -1
	v_lshrrev_b32_e32 v40, v118, v117
	v_lshlrev_b32_e64 v42, v118, 0x80000
	v_add_nc_u32_e32 v118, v118, v115
	v_and_b32_e32 v117, v119, v117
	v_bfe_u32 v41, v40, 20, 1
	v_cmp_eq_u32_e64 s13, v117, v42
	v_add_nc_u32_e32 v119, -1, v41
	v_cndmask_b32_e64 v117, 0, v119, s13
	v_lshrrev_b32_e32 v119, 23, v40
	s_mov_b32 s13, exec_lo
	v_add_nc_u32_e32 v117, v117, v40
	v_xor_b32_e32 v119, 1, v119
	v_and_b32_e32 v115, 0xfffff, v117
	v_add_nc_u32_e32 v117, v115, v40
                                        ; implicit-def: $vgpr115
	v_cmpx_ne_u32_e64 v118, v119
	s_xor_b32 s13, exec_lo, s13
; %bb.2776:                             ;   in Loop: Header=BB4_2641 Depth=2
	v_cmp_lt_u32_e64 s12, 0xffffff, v117
	v_sub_nc_u32_e32 v115, v118, v119
	v_cndmask_b32_e64 v118, 0, 1, s12
	v_add_co_ci_u32_e64 v115, null, 0, v115, s12
	v_lshrrev_b32_e32 v117, v118, v117
; %bb.2777:                             ;   in Loop: Header=BB4_2641 Depth=2
	s_andn2_saveexec_b32 s12, s13
; %bb.2778:                             ;   in Loop: Header=BB4_2641 Depth=2
	v_bfe_u32 v115, v117, 23, 1
; %bb.2779:                             ;   in Loop: Header=BB4_2641 Depth=2
	s_or_b32 exec_lo, exec_lo, s12
	v_lshrrev_b32_e32 v117, 20, v117
	v_min_i32_e32 v118, 15, v115
	v_cmp_gt_i32_e64 s12, 16, v115
	v_and_b32_sdwa v116, v116, v97 dst_sel:DWORD dst_unused:UNUSED_PAD src0_sel:BYTE_3 src1_sel:DWORD
	v_lshlrev_b32_e32 v118, 3, v118
	v_cndmask_b32_e64 v117, 7, v117, s12
	v_and_b32_e32 v118, 0xf8, v118
	v_and_b32_e32 v119, 7, v117
	v_or_b32_e32 v115, v115, v117
	v_or3_b32 v116, v118, v116, v119
	v_cmp_ne_u32_e64 s12, 0, v115
	v_cndmask_b32_e64 v115, 0, v116, s12
.LBB4_2780:                             ;   in Loop: Header=BB4_2641 Depth=2
	s_or_b32 exec_lo, exec_lo, s29
.LBB4_2781:                             ;   in Loop: Header=BB4_2641 Depth=2
	s_or_b32 exec_lo, exec_lo, s28
	v_cmp_gt_i16_sdwa s13, v15, v96 src0_sel:BYTE_3 src1_sel:DWORD
	s_mov_b32 s12, 0
	s_and_saveexec_b32 s28, s13
	s_xor_b32 s13, exec_lo, s28
	s_cbranch_execz .LBB4_2987
; %bb.2782:                             ;   in Loop: Header=BB4_2641 Depth=2
	v_cmp_eq_u16_sdwa s29, v15, v97 src0_sel:BYTE_3 src1_sel:DWORD
	s_mov_b32 s12, -1
	s_and_saveexec_b32 s28, s29
; %bb.2783:                             ;   in Loop: Header=BB4_2641 Depth=2
	s_xor_b32 s12, exec_lo, -1
; %bb.2784:                             ;   in Loop: Header=BB4_2641 Depth=2
	s_or_b32 exec_lo, exec_lo, s28
	s_and_b32 s12, s12, exec_lo
	s_or_saveexec_b32 s13, s13
	v_mov_b32_e32 v116, 0x7f800001
	s_xor_b32 exec_lo, exec_lo, s13
	s_cbranch_execnz .LBB4_2988
.LBB4_2785:                             ;   in Loop: Header=BB4_2641 Depth=2
	s_or_b32 exec_lo, exec_lo, s13
	s_and_saveexec_b32 s13, s12
	s_cbranch_execz .LBB4_2787
.LBB4_2786:                             ;   in Loop: Header=BB4_2641 Depth=2
	v_bfe_u32 v116, v15, 24, 3
	v_bfe_u32 v119, v15, 27, 4
	v_ffbh_u32_e32 v117, v116
	v_cmp_eq_u32_e64 s12, 0, v119
	v_min_u32_e32 v117, 32, v117
	v_subrev_nc_u32_e32 v118, 28, v117
	v_sub_nc_u32_e32 v117, 29, v117
	v_lshlrev_b32_sdwa v118, v118, v15 dst_sel:DWORD dst_unused:UNUSED_PAD src0_sel:DWORD src1_sel:BYTE_3
	v_cndmask_b32_e64 v117, v119, v117, s12
	v_and_b32_e32 v15, 0x80000000, v15
	v_and_b32_e32 v118, 7, v118
	v_lshl_add_u32 v117, v117, 23, 0x3b800000
	v_cndmask_b32_e64 v116, v116, v118, s12
	v_lshlrev_b32_e32 v116, 20, v116
	v_or3_b32 v116, v15, v117, v116
.LBB4_2787:                             ;   in Loop: Header=BB4_2641 Depth=2
	s_or_b32 exec_lo, exec_lo, s13
	v_cmp_gt_i16_sdwa s13, v11, v96 src0_sel:BYTE_3 src1_sel:DWORD
	s_mov_b32 s12, 0
	s_and_saveexec_b32 s28, s13
	s_xor_b32 s13, exec_lo, s28
	s_cbranch_execz .LBB4_2989
; %bb.2788:                             ;   in Loop: Header=BB4_2641 Depth=2
	v_cmp_eq_u16_sdwa s29, v11, v97 src0_sel:BYTE_3 src1_sel:DWORD
	s_mov_b32 s12, -1
	s_and_saveexec_b32 s28, s29
; %bb.2789:                             ;   in Loop: Header=BB4_2641 Depth=2
	s_xor_b32 s12, exec_lo, -1
; %bb.2790:                             ;   in Loop: Header=BB4_2641 Depth=2
	s_or_b32 exec_lo, exec_lo, s28
	s_and_b32 s12, s12, exec_lo
	s_or_saveexec_b32 s13, s13
	v_mov_b32_e32 v15, 0x7f800001
	s_xor_b32 exec_lo, exec_lo, s13
	s_cbranch_execnz .LBB4_2990
.LBB4_2791:                             ;   in Loop: Header=BB4_2641 Depth=2
	s_or_b32 exec_lo, exec_lo, s13
	s_and_saveexec_b32 s13, s12
	s_cbranch_execz .LBB4_2793
.LBB4_2792:                             ;   in Loop: Header=BB4_2641 Depth=2
	v_and_b32_sdwa v15, v11, v114 dst_sel:DWORD dst_unused:UNUSED_PAD src0_sel:BYTE_3 src1_sel:DWORD
	v_bfe_u32 v119, v11, 27, 4
	v_ffbh_u32_e32 v117, v15
	v_cmp_eq_u32_e64 s12, 0, v119
	v_min_u32_e32 v117, 32, v117
	v_subrev_nc_u32_e32 v118, 28, v117
	v_sub_nc_u32_e32 v117, 29, v117
	v_lshlrev_b32_sdwa v118, v118, v11 dst_sel:DWORD dst_unused:UNUSED_PAD src0_sel:DWORD src1_sel:BYTE_3
	v_cndmask_b32_e64 v117, v119, v117, s12
	v_and_b32_e32 v11, 0x80000000, v11
	v_and_b32_e32 v118, 7, v118
	v_lshl_add_u32 v117, v117, 23, 0x3b800000
	v_cndmask_b32_e64 v15, v15, v118, s12
	v_lshlrev_b32_e32 v15, 20, v15
	v_or3_b32 v15, v11, v117, v15
.LBB4_2793:                             ;   in Loop: Header=BB4_2641 Depth=2
	s_or_b32 exec_lo, exec_lo, s13
	v_add_f32_e32 v15, v116, v15
	v_and_b32_e32 v11, 0x7f800000, v15
	v_cmp_ne_u32_e64 s12, 0x7f800000, v11
	v_mov_b32_e32 v11, 0x8000
	s_and_saveexec_b32 s28, s12
	s_cbranch_execz .LBB4_2801
; %bb.2794:                             ;   in Loop: Header=BB4_2641 Depth=2
	v_mov_b32_e32 v11, 0
	s_mov_b32 s29, exec_lo
	v_cmpx_ne_u32_e32 0, v15
	s_cbranch_execz .LBB4_2800
; %bb.2795:                             ;   in Loop: Header=BB4_2641 Depth=2
	v_bfe_u32 v11, v15, 23, 8
	v_and_b32_e32 v116, 0x7fffff, v15
	v_sub_nc_u32_e32 v117, 0x78, v11
	v_cmp_gt_u32_e64 s12, 0x79, v11
	v_or_b32_e32 v118, 0x800000, v116
	v_cndmask_b32_e64 v117, 0, v117, s12
	v_cmp_eq_u32_e64 s12, 0, v11
	v_add_nc_u32_e32 v11, 0xffffff89, v11
	v_cndmask_b32_e64 v117, v117, 0x77, s12
	v_cndmask_b32_e64 v116, v118, v116, s12
	;; [unrolled: 1-line block ×3, first 2 shown]
	v_lshl_add_u32 v118, 0x100000, v117, -1
	v_lshrrev_b32_e32 v119, v117, v116
	v_lshlrev_b32_e64 v41, v117, 0x80000
	v_add_nc_u32_e32 v117, v117, v11
	v_and_b32_e32 v116, v118, v116
	v_bfe_u32 v40, v119, 20, 1
	v_cmp_eq_u32_e64 s13, v116, v41
	v_add_nc_u32_e32 v118, -1, v40
	v_cndmask_b32_e64 v116, 0, v118, s13
	v_lshrrev_b32_e32 v118, 23, v119
	s_mov_b32 s13, exec_lo
	v_add_nc_u32_e32 v116, v116, v119
	v_xor_b32_e32 v118, 1, v118
	v_and_b32_e32 v11, 0xfffff, v116
	v_add_nc_u32_e32 v116, v11, v119
                                        ; implicit-def: $vgpr11
	v_cmpx_ne_u32_e64 v117, v118
	s_xor_b32 s13, exec_lo, s13
; %bb.2796:                             ;   in Loop: Header=BB4_2641 Depth=2
	v_cmp_lt_u32_e64 s12, 0xffffff, v116
	v_sub_nc_u32_e32 v11, v117, v118
	v_cndmask_b32_e64 v117, 0, 1, s12
	v_add_co_ci_u32_e64 v11, null, 0, v11, s12
	v_lshrrev_b32_e32 v116, v117, v116
; %bb.2797:                             ;   in Loop: Header=BB4_2641 Depth=2
	s_andn2_saveexec_b32 s12, s13
; %bb.2798:                             ;   in Loop: Header=BB4_2641 Depth=2
	v_bfe_u32 v11, v116, 23, 1
; %bb.2799:                             ;   in Loop: Header=BB4_2641 Depth=2
	s_or_b32 exec_lo, exec_lo, s12
	v_lshrrev_b32_e32 v116, 20, v116
	v_min_i32_e32 v117, 15, v11
	v_cmp_gt_i32_e64 s12, 16, v11
	v_and_b32_sdwa v15, v15, v97 dst_sel:DWORD dst_unused:UNUSED_PAD src0_sel:BYTE_3 src1_sel:DWORD
	v_lshlrev_b32_e32 v117, 3, v117
	v_cndmask_b32_e64 v116, 7, v116, s12
	v_and_b32_e32 v117, 0xf8, v117
	v_and_b32_e32 v118, 7, v116
	v_or_b32_e32 v11, v11, v116
	v_or3_b32 v15, v15, v117, v118
	v_cmp_ne_u32_e64 s12, 0, v11
	v_lshlrev_b32_e32 v15, 8, v15
	v_cndmask_b32_e64 v11, 0, v15, s12
.LBB4_2800:                             ;   in Loop: Header=BB4_2641 Depth=2
	s_or_b32 exec_lo, exec_lo, s29
.LBB4_2801:                             ;   in Loop: Header=BB4_2641 Depth=2
	s_or_b32 exec_lo, exec_lo, s28
	v_cmp_gt_i16_sdwa s13, v16, v96 src0_sel:BYTE_0 src1_sel:DWORD
	s_mov_b32 s12, 0
	s_and_saveexec_b32 s28, s13
	s_xor_b32 s13, exec_lo, s28
	s_cbranch_execz .LBB4_2991
; %bb.2802:                             ;   in Loop: Header=BB4_2641 Depth=2
	v_cmp_eq_u16_sdwa s29, v16, v97 src0_sel:BYTE_0 src1_sel:DWORD
	s_mov_b32 s12, -1
	s_and_saveexec_b32 s28, s29
; %bb.2803:                             ;   in Loop: Header=BB4_2641 Depth=2
	s_xor_b32 s12, exec_lo, -1
; %bb.2804:                             ;   in Loop: Header=BB4_2641 Depth=2
	s_or_b32 exec_lo, exec_lo, s28
	s_and_b32 s12, s12, exec_lo
	s_or_saveexec_b32 s13, s13
	v_mov_b32_e32 v15, 0x7f800001
	s_xor_b32 exec_lo, exec_lo, s13
	s_cbranch_execnz .LBB4_2992
.LBB4_2805:                             ;   in Loop: Header=BB4_2641 Depth=2
	s_or_b32 exec_lo, exec_lo, s13
	s_and_saveexec_b32 s13, s12
	s_cbranch_execz .LBB4_2807
.LBB4_2806:                             ;   in Loop: Header=BB4_2641 Depth=2
	v_and_b32_e32 v15, 7, v16
	v_bfe_u32 v118, v16, 3, 4
	v_lshlrev_b32_e32 v119, 24, v16
	v_ffbh_u32_e32 v116, v15
	v_cmp_eq_u32_e64 s12, 0, v118
	v_min_u32_e32 v116, 32, v116
	v_subrev_nc_u32_e32 v117, 28, v116
	v_sub_nc_u32_e32 v116, 29, v116
	v_lshlrev_b32_e32 v117, v117, v16
	v_cndmask_b32_e64 v116, v118, v116, s12
	v_and_b32_e32 v117, 7, v117
	v_lshl_add_u32 v116, v116, 23, 0x3b800000
	v_cndmask_b32_e64 v15, v15, v117, s12
	v_and_b32_e32 v117, 0x80000000, v119
	v_lshlrev_b32_e32 v15, 20, v15
	v_or3_b32 v15, v117, v116, v15
.LBB4_2807:                             ;   in Loop: Header=BB4_2641 Depth=2
	s_or_b32 exec_lo, exec_lo, s13
	v_cmp_gt_i16_sdwa s13, v12, v96 src0_sel:BYTE_0 src1_sel:DWORD
	s_mov_b32 s12, 0
	s_and_saveexec_b32 s28, s13
	s_xor_b32 s13, exec_lo, s28
	s_cbranch_execz .LBB4_2993
; %bb.2808:                             ;   in Loop: Header=BB4_2641 Depth=2
	v_cmp_eq_u16_sdwa s29, v12, v97 src0_sel:BYTE_0 src1_sel:DWORD
	s_mov_b32 s12, -1
	s_and_saveexec_b32 s28, s29
; %bb.2809:                             ;   in Loop: Header=BB4_2641 Depth=2
	s_xor_b32 s12, exec_lo, -1
; %bb.2810:                             ;   in Loop: Header=BB4_2641 Depth=2
	s_or_b32 exec_lo, exec_lo, s28
	s_and_b32 s12, s12, exec_lo
	s_or_saveexec_b32 s13, s13
	v_mov_b32_e32 v116, 0x7f800001
	s_xor_b32 exec_lo, exec_lo, s13
	s_cbranch_execnz .LBB4_2994
.LBB4_2811:                             ;   in Loop: Header=BB4_2641 Depth=2
	s_or_b32 exec_lo, exec_lo, s13
	s_and_saveexec_b32 s13, s12
	s_cbranch_execz .LBB4_2813
.LBB4_2812:                             ;   in Loop: Header=BB4_2641 Depth=2
	v_and_b32_e32 v116, 7, v12
	v_bfe_u32 v119, v12, 3, 4
	v_lshlrev_b32_e32 v40, 24, v12
	v_ffbh_u32_e32 v117, v116
	v_cmp_eq_u32_e64 s12, 0, v119
	v_min_u32_e32 v117, 32, v117
	v_subrev_nc_u32_e32 v118, 28, v117
	v_sub_nc_u32_e32 v117, 29, v117
	v_lshlrev_b32_e32 v118, v118, v12
	v_cndmask_b32_e64 v117, v119, v117, s12
	v_and_b32_e32 v118, 7, v118
	v_lshl_add_u32 v117, v117, 23, 0x3b800000
	v_cndmask_b32_e64 v116, v116, v118, s12
	v_and_b32_e32 v118, 0x80000000, v40
	v_lshlrev_b32_e32 v116, 20, v116
	v_or3_b32 v116, v118, v117, v116
.LBB4_2813:                             ;   in Loop: Header=BB4_2641 Depth=2
	s_or_b32 exec_lo, exec_lo, s13
	v_add_f32_e32 v116, v15, v116
	v_and_b32_e32 v15, 0x7f800000, v116
	v_cmp_ne_u32_e64 s12, 0x7f800000, v15
	v_mov_b32_e32 v15, 0x80
	s_and_saveexec_b32 s28, s12
	s_cbranch_execz .LBB4_2821
; %bb.2814:                             ;   in Loop: Header=BB4_2641 Depth=2
	v_mov_b32_e32 v15, 0
	s_mov_b32 s29, exec_lo
	v_cmpx_ne_u32_e32 0, v116
	s_cbranch_execz .LBB4_2820
; %bb.2815:                             ;   in Loop: Header=BB4_2641 Depth=2
	v_bfe_u32 v15, v116, 23, 8
	v_and_b32_e32 v117, 0x7fffff, v116
	v_sub_nc_u32_e32 v118, 0x78, v15
	v_cmp_gt_u32_e64 s12, 0x79, v15
	v_or_b32_e32 v119, 0x800000, v117
	v_cndmask_b32_e64 v118, 0, v118, s12
	v_cmp_eq_u32_e64 s12, 0, v15
	v_add_nc_u32_e32 v15, 0xffffff89, v15
	v_cndmask_b32_e64 v118, v118, 0x77, s12
	v_cndmask_b32_e64 v117, v119, v117, s12
	;; [unrolled: 1-line block ×3, first 2 shown]
	v_lshl_add_u32 v119, 0x100000, v118, -1
	v_lshrrev_b32_e32 v40, v118, v117
	v_lshlrev_b32_e64 v42, v118, 0x80000
	v_add_nc_u32_e32 v118, v118, v15
	v_and_b32_e32 v117, v119, v117
	v_bfe_u32 v41, v40, 20, 1
	v_cmp_eq_u32_e64 s13, v117, v42
	v_add_nc_u32_e32 v119, -1, v41
	v_cndmask_b32_e64 v117, 0, v119, s13
	v_lshrrev_b32_e32 v119, 23, v40
	s_mov_b32 s13, exec_lo
	v_add_nc_u32_e32 v117, v117, v40
	v_xor_b32_e32 v119, 1, v119
	v_and_b32_e32 v15, 0xfffff, v117
	v_add_nc_u32_e32 v117, v15, v40
                                        ; implicit-def: $vgpr15
	v_cmpx_ne_u32_e64 v118, v119
	s_xor_b32 s13, exec_lo, s13
; %bb.2816:                             ;   in Loop: Header=BB4_2641 Depth=2
	v_cmp_lt_u32_e64 s12, 0xffffff, v117
	v_sub_nc_u32_e32 v15, v118, v119
	v_cndmask_b32_e64 v118, 0, 1, s12
	v_add_co_ci_u32_e64 v15, null, 0, v15, s12
	v_lshrrev_b32_e32 v117, v118, v117
; %bb.2817:                             ;   in Loop: Header=BB4_2641 Depth=2
	s_andn2_saveexec_b32 s12, s13
; %bb.2818:                             ;   in Loop: Header=BB4_2641 Depth=2
	v_bfe_u32 v15, v117, 23, 1
; %bb.2819:                             ;   in Loop: Header=BB4_2641 Depth=2
	s_or_b32 exec_lo, exec_lo, s12
	v_lshrrev_b32_e32 v117, 20, v117
	v_min_i32_e32 v118, 15, v15
	v_cmp_gt_i32_e64 s12, 16, v15
	v_and_b32_sdwa v116, v116, v97 dst_sel:DWORD dst_unused:UNUSED_PAD src0_sel:BYTE_3 src1_sel:DWORD
	v_lshlrev_b32_e32 v118, 3, v118
	v_cndmask_b32_e64 v117, 7, v117, s12
	v_and_b32_e32 v118, 0xf8, v118
	v_and_b32_e32 v119, 7, v117
	v_or_b32_e32 v15, v15, v117
	v_or3_b32 v116, v118, v116, v119
	v_cmp_ne_u32_e64 s12, 0, v15
	v_cndmask_b32_e64 v15, 0, v116, s12
.LBB4_2820:                             ;   in Loop: Header=BB4_2641 Depth=2
	s_or_b32 exec_lo, exec_lo, s29
.LBB4_2821:                             ;   in Loop: Header=BB4_2641 Depth=2
	s_or_b32 exec_lo, exec_lo, s28
	v_cmp_gt_i16_sdwa s13, v16, v96 src0_sel:BYTE_1 src1_sel:DWORD
	s_mov_b32 s12, 0
	s_and_saveexec_b32 s28, s13
	s_xor_b32 s13, exec_lo, s28
	s_cbranch_execz .LBB4_2995
; %bb.2822:                             ;   in Loop: Header=BB4_2641 Depth=2
	v_cmp_eq_u16_sdwa s29, v16, v97 src0_sel:BYTE_1 src1_sel:DWORD
	s_mov_b32 s12, -1
	s_and_saveexec_b32 s28, s29
; %bb.2823:                             ;   in Loop: Header=BB4_2641 Depth=2
	s_xor_b32 s12, exec_lo, -1
; %bb.2824:                             ;   in Loop: Header=BB4_2641 Depth=2
	s_or_b32 exec_lo, exec_lo, s28
	s_and_b32 s12, s12, exec_lo
	s_or_saveexec_b32 s13, s13
	v_mov_b32_e32 v116, 0x7f800001
	s_xor_b32 exec_lo, exec_lo, s13
	s_cbranch_execnz .LBB4_2996
.LBB4_2825:                             ;   in Loop: Header=BB4_2641 Depth=2
	s_or_b32 exec_lo, exec_lo, s13
	s_and_saveexec_b32 s13, s12
	s_cbranch_execz .LBB4_2827
.LBB4_2826:                             ;   in Loop: Header=BB4_2641 Depth=2
	v_and_b32_sdwa v116, v98, v16 dst_sel:DWORD dst_unused:UNUSED_PAD src0_sel:DWORD src1_sel:BYTE_1
	v_and_b32_e32 v117, 7, v116
	v_bfe_u32 v40, v116, 3, 4
	v_ffbh_u32_e32 v118, v117
	v_cmp_eq_u32_e64 s12, 0, v40
	v_min_u32_e32 v118, 32, v118
	v_subrev_nc_u32_e32 v119, 28, v118
	v_sub_nc_u32_e32 v118, 29, v118
	v_lshlrev_b32_e32 v116, v119, v116
	v_lshlrev_b32_sdwa v119, v100, v16 dst_sel:DWORD dst_unused:UNUSED_PAD src0_sel:DWORD src1_sel:BYTE_1
	v_cndmask_b32_e64 v118, v40, v118, s12
	v_and_b32_e32 v116, 7, v116
	v_lshl_add_u32 v118, v118, 23, 0x3b800000
	v_cndmask_b32_e64 v116, v117, v116, s12
	v_and_b32_e32 v117, 0x80000000, v119
	v_lshlrev_b32_e32 v116, 20, v116
	v_or3_b32 v116, v117, v118, v116
.LBB4_2827:                             ;   in Loop: Header=BB4_2641 Depth=2
	s_or_b32 exec_lo, exec_lo, s13
	v_cmp_gt_i16_sdwa s13, v12, v96 src0_sel:BYTE_1 src1_sel:DWORD
	s_mov_b32 s12, 0
	s_and_saveexec_b32 s28, s13
	s_xor_b32 s13, exec_lo, s28
	s_cbranch_execz .LBB4_2997
; %bb.2828:                             ;   in Loop: Header=BB4_2641 Depth=2
	v_cmp_eq_u16_sdwa s29, v12, v97 src0_sel:BYTE_1 src1_sel:DWORD
	s_mov_b32 s12, -1
	s_and_saveexec_b32 s28, s29
; %bb.2829:                             ;   in Loop: Header=BB4_2641 Depth=2
	s_xor_b32 s12, exec_lo, -1
; %bb.2830:                             ;   in Loop: Header=BB4_2641 Depth=2
	s_or_b32 exec_lo, exec_lo, s28
	s_and_b32 s12, s12, exec_lo
	s_or_saveexec_b32 s13, s13
	v_mov_b32_e32 v117, 0x7f800001
	s_xor_b32 exec_lo, exec_lo, s13
	s_cbranch_execnz .LBB4_2998
.LBB4_2831:                             ;   in Loop: Header=BB4_2641 Depth=2
	s_or_b32 exec_lo, exec_lo, s13
	s_and_saveexec_b32 s13, s12
	s_cbranch_execz .LBB4_2833
.LBB4_2832:                             ;   in Loop: Header=BB4_2641 Depth=2
	v_and_b32_sdwa v117, v98, v12 dst_sel:DWORD dst_unused:UNUSED_PAD src0_sel:DWORD src1_sel:BYTE_1
	v_and_b32_e32 v118, 7, v117
	v_bfe_u32 v41, v117, 3, 4
	v_ffbh_u32_e32 v119, v118
	v_cmp_eq_u32_e64 s12, 0, v41
	v_min_u32_e32 v119, 32, v119
	v_subrev_nc_u32_e32 v40, 28, v119
	v_sub_nc_u32_e32 v119, 29, v119
	v_lshlrev_b32_e32 v117, v40, v117
	v_lshlrev_b32_sdwa v40, v100, v12 dst_sel:DWORD dst_unused:UNUSED_PAD src0_sel:DWORD src1_sel:BYTE_1
	v_cndmask_b32_e64 v119, v41, v119, s12
	v_and_b32_e32 v117, 7, v117
	v_lshl_add_u32 v119, v119, 23, 0x3b800000
	v_cndmask_b32_e64 v117, v118, v117, s12
	v_and_b32_e32 v118, 0x80000000, v40
	v_lshlrev_b32_e32 v117, 20, v117
	v_or3_b32 v117, v118, v119, v117
.LBB4_2833:                             ;   in Loop: Header=BB4_2641 Depth=2
	s_or_b32 exec_lo, exec_lo, s13
	v_add_f32_e32 v117, v116, v117
	v_and_b32_e32 v116, 0x7f800000, v117
	v_cmp_ne_u32_e64 s12, 0x7f800000, v116
	v_mov_b32_e32 v116, 0x8000
	s_and_saveexec_b32 s28, s12
	s_cbranch_execz .LBB4_2841
; %bb.2834:                             ;   in Loop: Header=BB4_2641 Depth=2
	v_mov_b32_e32 v116, 0
	s_mov_b32 s29, exec_lo
	v_cmpx_ne_u32_e32 0, v117
	s_cbranch_execz .LBB4_2840
; %bb.2835:                             ;   in Loop: Header=BB4_2641 Depth=2
	v_bfe_u32 v116, v117, 23, 8
	v_and_b32_e32 v118, 0x7fffff, v117
	v_sub_nc_u32_e32 v119, 0x78, v116
	v_cmp_gt_u32_e64 s12, 0x79, v116
	v_or_b32_e32 v40, 0x800000, v118
	v_cndmask_b32_e64 v119, 0, v119, s12
	v_cmp_eq_u32_e64 s12, 0, v116
	v_add_nc_u32_e32 v116, 0xffffff89, v116
	v_cndmask_b32_e64 v119, v119, 0x77, s12
	v_cndmask_b32_e64 v118, v40, v118, s12
	;; [unrolled: 1-line block ×3, first 2 shown]
	v_lshl_add_u32 v40, 0x100000, v119, -1
	v_lshrrev_b32_e32 v41, v119, v118
	v_lshlrev_b32_e64 v43, v119, 0x80000
	v_add_nc_u32_e32 v119, v119, v116
	v_and_b32_e32 v118, v40, v118
	v_bfe_u32 v42, v41, 20, 1
	v_cmp_eq_u32_e64 s13, v118, v43
	v_add_nc_u32_e32 v40, -1, v42
	v_cndmask_b32_e64 v118, 0, v40, s13
	v_lshrrev_b32_e32 v40, 23, v41
	s_mov_b32 s13, exec_lo
	v_add_nc_u32_e32 v118, v118, v41
	v_xor_b32_e32 v40, 1, v40
	v_and_b32_e32 v116, 0xfffff, v118
	v_add_nc_u32_e32 v118, v116, v41
                                        ; implicit-def: $vgpr116
	v_cmpx_ne_u32_e64 v119, v40
	s_xor_b32 s13, exec_lo, s13
; %bb.2836:                             ;   in Loop: Header=BB4_2641 Depth=2
	v_cmp_lt_u32_e64 s12, 0xffffff, v118
	v_sub_nc_u32_e32 v116, v119, v40
	v_cndmask_b32_e64 v119, 0, 1, s12
	v_add_co_ci_u32_e64 v116, null, 0, v116, s12
	v_lshrrev_b32_e32 v118, v119, v118
; %bb.2837:                             ;   in Loop: Header=BB4_2641 Depth=2
	s_andn2_saveexec_b32 s12, s13
; %bb.2838:                             ;   in Loop: Header=BB4_2641 Depth=2
	v_bfe_u32 v116, v118, 23, 1
; %bb.2839:                             ;   in Loop: Header=BB4_2641 Depth=2
	s_or_b32 exec_lo, exec_lo, s12
	v_lshrrev_b32_e32 v118, 20, v118
	v_min_i32_e32 v119, 15, v116
	v_cmp_gt_i32_e64 s12, 16, v116
	v_and_b32_sdwa v117, v117, v97 dst_sel:DWORD dst_unused:UNUSED_PAD src0_sel:BYTE_3 src1_sel:DWORD
	v_lshlrev_b32_e32 v119, 3, v119
	v_cndmask_b32_e64 v118, 7, v118, s12
	v_and_b32_e32 v119, 0xf8, v119
	v_and_b32_e32 v40, 7, v118
	v_or_b32_e32 v116, v116, v118
	v_or3_b32 v117, v117, v119, v40
	v_cmp_ne_u32_e64 s12, 0, v116
	v_lshlrev_b32_e32 v117, 8, v117
	v_cndmask_b32_e64 v116, 0, v117, s12
.LBB4_2840:                             ;   in Loop: Header=BB4_2641 Depth=2
	s_or_b32 exec_lo, exec_lo, s29
.LBB4_2841:                             ;   in Loop: Header=BB4_2641 Depth=2
	s_or_b32 exec_lo, exec_lo, s28
	v_and_b32_sdwa v118, v16, v113 dst_sel:DWORD dst_unused:UNUSED_PAD src0_sel:WORD_1 src1_sel:DWORD
	s_mov_b32 s13, 0
	s_mov_b32 s28, exec_lo
	v_cmpx_lt_i16_e32 0x7f, v118
	s_xor_b32 s28, exec_lo, s28
	s_cbranch_execz .LBB4_2999
; %bb.2842:                             ;   in Loop: Header=BB4_2641 Depth=2
	s_mov_b32 s13, -1
	s_mov_b32 s29, exec_lo
	v_cmpx_eq_u16_e32 0x80, v118
; %bb.2843:                             ;   in Loop: Header=BB4_2641 Depth=2
	s_xor_b32 s13, exec_lo, -1
; %bb.2844:                             ;   in Loop: Header=BB4_2641 Depth=2
	s_or_b32 exec_lo, exec_lo, s29
	s_and_b32 s13, s13, exec_lo
                                        ; implicit-def: $vgpr118
	s_or_saveexec_b32 s28, s28
	v_mov_b32_e32 v117, 0x7f800001
	s_xor_b32 exec_lo, exec_lo, s28
	s_cbranch_execnz .LBB4_3000
.LBB4_2845:                             ;   in Loop: Header=BB4_2641 Depth=2
	s_or_b32 exec_lo, exec_lo, s28
	s_and_saveexec_b32 s28, s13
	s_cbranch_execz .LBB4_2847
.LBB4_2846:                             ;   in Loop: Header=BB4_2641 Depth=2
	v_bfe_u32 v117, v16, 16, 3
	v_bfe_u32 v40, v16, 19, 4
	v_lshlrev_b32_e32 v41, 8, v16
	v_ffbh_u32_e32 v118, v117
	v_cmp_eq_u32_e64 s12, 0, v40
	v_min_u32_e32 v118, 32, v118
	v_subrev_nc_u32_e32 v119, 28, v118
	v_sub_nc_u32_e32 v118, 29, v118
	v_lshlrev_b32_sdwa v119, v119, v16 dst_sel:DWORD dst_unused:UNUSED_PAD src0_sel:DWORD src1_sel:WORD_1
	v_cndmask_b32_e64 v118, v40, v118, s12
	v_and_b32_e32 v119, 7, v119
	v_lshl_add_u32 v118, v118, 23, 0x3b800000
	v_cndmask_b32_e64 v117, v117, v119, s12
	v_and_b32_e32 v119, 0x80000000, v41
	v_lshlrev_b32_e32 v117, 20, v117
	v_or3_b32 v117, v119, v118, v117
.LBB4_2847:                             ;   in Loop: Header=BB4_2641 Depth=2
	s_or_b32 exec_lo, exec_lo, s28
	v_and_b32_sdwa v119, v12, v113 dst_sel:DWORD dst_unused:UNUSED_PAD src0_sel:WORD_1 src1_sel:DWORD
	s_mov_b32 s13, 0
	s_mov_b32 s28, exec_lo
	v_cmpx_lt_i16_e32 0x7f, v119
	s_xor_b32 s28, exec_lo, s28
	s_cbranch_execz .LBB4_3001
; %bb.2848:                             ;   in Loop: Header=BB4_2641 Depth=2
	s_mov_b32 s13, -1
	s_mov_b32 s29, exec_lo
	v_cmpx_eq_u16_e32 0x80, v119
; %bb.2849:                             ;   in Loop: Header=BB4_2641 Depth=2
	s_xor_b32 s13, exec_lo, -1
; %bb.2850:                             ;   in Loop: Header=BB4_2641 Depth=2
	s_or_b32 exec_lo, exec_lo, s29
	s_and_b32 s13, s13, exec_lo
                                        ; implicit-def: $vgpr119
	s_or_saveexec_b32 s28, s28
	v_mov_b32_e32 v118, 0x7f800001
	s_xor_b32 exec_lo, exec_lo, s28
	s_cbranch_execnz .LBB4_3002
.LBB4_2851:                             ;   in Loop: Header=BB4_2641 Depth=2
	s_or_b32 exec_lo, exec_lo, s28
	s_and_saveexec_b32 s28, s13
	s_cbranch_execz .LBB4_2853
.LBB4_2852:                             ;   in Loop: Header=BB4_2641 Depth=2
	v_and_b32_sdwa v118, v12, v114 dst_sel:DWORD dst_unused:UNUSED_PAD src0_sel:WORD_1 src1_sel:DWORD
	v_bfe_u32 v41, v12, 19, 4
	v_lshlrev_b32_sdwa v42, v100, v12 dst_sel:DWORD dst_unused:UNUSED_PAD src0_sel:DWORD src1_sel:WORD_1
	v_ffbh_u32_e32 v119, v118
	v_cmp_eq_u32_e64 s12, 0, v41
	v_min_u32_e32 v119, 32, v119
	v_subrev_nc_u32_e32 v40, 28, v119
	v_sub_nc_u32_e32 v119, 29, v119
	v_lshlrev_b32_sdwa v40, v40, v12 dst_sel:DWORD dst_unused:UNUSED_PAD src0_sel:DWORD src1_sel:WORD_1
	v_cndmask_b32_e64 v119, v41, v119, s12
	v_and_b32_e32 v40, 7, v40
	v_lshl_add_u32 v119, v119, 23, 0x3b800000
	v_cndmask_b32_e64 v118, v118, v40, s12
	v_and_b32_e32 v40, 0x80000000, v42
	v_lshlrev_b32_e32 v118, 20, v118
	v_or3_b32 v118, v40, v119, v118
.LBB4_2853:                             ;   in Loop: Header=BB4_2641 Depth=2
	s_or_b32 exec_lo, exec_lo, s28
	v_add_f32_e32 v118, v117, v118
	v_and_b32_e32 v117, 0x7f800000, v118
	v_cmp_ne_u32_e64 s12, 0x7f800000, v117
	v_mov_b32_e32 v117, 0x80
	s_and_saveexec_b32 s28, s12
	s_cbranch_execz .LBB4_2861
; %bb.2854:                             ;   in Loop: Header=BB4_2641 Depth=2
	v_mov_b32_e32 v117, 0
	s_mov_b32 s29, exec_lo
	v_cmpx_ne_u32_e32 0, v118
	s_cbranch_execz .LBB4_2860
; %bb.2855:                             ;   in Loop: Header=BB4_2641 Depth=2
	v_bfe_u32 v117, v118, 23, 8
	v_and_b32_e32 v119, 0x7fffff, v118
	v_sub_nc_u32_e32 v40, 0x78, v117
	v_cmp_gt_u32_e64 s12, 0x79, v117
	v_or_b32_e32 v41, 0x800000, v119
	v_cndmask_b32_e64 v40, 0, v40, s12
	v_cmp_eq_u32_e64 s12, 0, v117
	v_add_nc_u32_e32 v117, 0xffffff89, v117
	v_cndmask_b32_e64 v40, v40, 0x77, s12
	v_cndmask_b32_e64 v119, v41, v119, s12
	;; [unrolled: 1-line block ×3, first 2 shown]
	v_lshl_add_u32 v41, 0x100000, v40, -1
	v_lshrrev_b32_e32 v42, v40, v119
	v_lshlrev_b32_e64 v44, v40, 0x80000
	v_add_nc_u32_e32 v40, v40, v117
	v_and_b32_e32 v119, v41, v119
	v_bfe_u32 v43, v42, 20, 1
	v_cmp_eq_u32_e64 s13, v119, v44
	v_add_nc_u32_e32 v41, -1, v43
	v_cndmask_b32_e64 v119, 0, v41, s13
	v_lshrrev_b32_e32 v41, 23, v42
	s_mov_b32 s13, exec_lo
	v_add_nc_u32_e32 v119, v119, v42
	v_xor_b32_e32 v41, 1, v41
	v_and_b32_e32 v117, 0xfffff, v119
	v_add_nc_u32_e32 v119, v117, v42
                                        ; implicit-def: $vgpr117
	v_cmpx_ne_u32_e64 v40, v41
	s_xor_b32 s13, exec_lo, s13
; %bb.2856:                             ;   in Loop: Header=BB4_2641 Depth=2
	v_cmp_lt_u32_e64 s12, 0xffffff, v119
	v_sub_nc_u32_e32 v117, v40, v41
	v_cndmask_b32_e64 v40, 0, 1, s12
	v_add_co_ci_u32_e64 v117, null, 0, v117, s12
	v_lshrrev_b32_e32 v119, v40, v119
; %bb.2857:                             ;   in Loop: Header=BB4_2641 Depth=2
	s_andn2_saveexec_b32 s12, s13
; %bb.2858:                             ;   in Loop: Header=BB4_2641 Depth=2
	v_bfe_u32 v117, v119, 23, 1
; %bb.2859:                             ;   in Loop: Header=BB4_2641 Depth=2
	s_or_b32 exec_lo, exec_lo, s12
	v_lshrrev_b32_e32 v119, 20, v119
	v_min_i32_e32 v40, 15, v117
	v_cmp_gt_i32_e64 s12, 16, v117
	v_and_b32_sdwa v118, v118, v97 dst_sel:DWORD dst_unused:UNUSED_PAD src0_sel:BYTE_3 src1_sel:DWORD
	v_lshlrev_b32_e32 v40, 3, v40
	v_cndmask_b32_e64 v119, 7, v119, s12
	v_and_b32_e32 v40, 0xf8, v40
	v_and_b32_e32 v41, 7, v119
	v_or_b32_e32 v117, v117, v119
	v_or3_b32 v118, v40, v118, v41
	v_cmp_ne_u32_e64 s12, 0, v117
	v_cndmask_b32_e64 v117, 0, v118, s12
.LBB4_2860:                             ;   in Loop: Header=BB4_2641 Depth=2
	s_or_b32 exec_lo, exec_lo, s29
.LBB4_2861:                             ;   in Loop: Header=BB4_2641 Depth=2
	s_or_b32 exec_lo, exec_lo, s28
	v_cmp_gt_i16_sdwa s13, v16, v96 src0_sel:BYTE_3 src1_sel:DWORD
	s_mov_b32 s12, 0
	s_and_saveexec_b32 s28, s13
	s_xor_b32 s13, exec_lo, s28
	s_cbranch_execz .LBB4_3003
; %bb.2862:                             ;   in Loop: Header=BB4_2641 Depth=2
	v_cmp_eq_u16_sdwa s29, v16, v97 src0_sel:BYTE_3 src1_sel:DWORD
	s_mov_b32 s12, -1
	s_and_saveexec_b32 s28, s29
; %bb.2863:                             ;   in Loop: Header=BB4_2641 Depth=2
	s_xor_b32 s12, exec_lo, -1
; %bb.2864:                             ;   in Loop: Header=BB4_2641 Depth=2
	s_or_b32 exec_lo, exec_lo, s28
	s_and_b32 s12, s12, exec_lo
	s_or_saveexec_b32 s13, s13
	v_mov_b32_e32 v118, 0x7f800001
	s_xor_b32 exec_lo, exec_lo, s13
	s_cbranch_execnz .LBB4_3004
.LBB4_2865:                             ;   in Loop: Header=BB4_2641 Depth=2
	s_or_b32 exec_lo, exec_lo, s13
	s_and_saveexec_b32 s13, s12
	s_cbranch_execz .LBB4_2867
.LBB4_2866:                             ;   in Loop: Header=BB4_2641 Depth=2
	v_bfe_u32 v118, v16, 24, 3
	v_bfe_u32 v41, v16, 27, 4
	v_ffbh_u32_e32 v119, v118
	v_cmp_eq_u32_e64 s12, 0, v41
	v_min_u32_e32 v119, 32, v119
	v_subrev_nc_u32_e32 v40, 28, v119
	v_sub_nc_u32_e32 v119, 29, v119
	v_lshlrev_b32_sdwa v40, v40, v16 dst_sel:DWORD dst_unused:UNUSED_PAD src0_sel:DWORD src1_sel:BYTE_3
	v_cndmask_b32_e64 v119, v41, v119, s12
	v_and_b32_e32 v16, 0x80000000, v16
	v_and_b32_e32 v40, 7, v40
	v_lshl_add_u32 v119, v119, 23, 0x3b800000
	v_cndmask_b32_e64 v118, v118, v40, s12
	v_lshlrev_b32_e32 v118, 20, v118
	v_or3_b32 v118, v16, v119, v118
.LBB4_2867:                             ;   in Loop: Header=BB4_2641 Depth=2
	s_or_b32 exec_lo, exec_lo, s13
	v_cmp_gt_i16_sdwa s13, v12, v96 src0_sel:BYTE_3 src1_sel:DWORD
	s_mov_b32 s12, 0
	s_and_saveexec_b32 s28, s13
	s_xor_b32 s13, exec_lo, s28
	s_cbranch_execz .LBB4_3005
; %bb.2868:                             ;   in Loop: Header=BB4_2641 Depth=2
	v_cmp_eq_u16_sdwa s29, v12, v97 src0_sel:BYTE_3 src1_sel:DWORD
	s_mov_b32 s12, -1
	s_and_saveexec_b32 s28, s29
; %bb.2869:                             ;   in Loop: Header=BB4_2641 Depth=2
	s_xor_b32 s12, exec_lo, -1
; %bb.2870:                             ;   in Loop: Header=BB4_2641 Depth=2
	s_or_b32 exec_lo, exec_lo, s28
	s_and_b32 s12, s12, exec_lo
	s_or_saveexec_b32 s13, s13
	v_mov_b32_e32 v16, 0x7f800001
	s_xor_b32 exec_lo, exec_lo, s13
	s_cbranch_execnz .LBB4_3006
.LBB4_2871:                             ;   in Loop: Header=BB4_2641 Depth=2
	s_or_b32 exec_lo, exec_lo, s13
	s_and_saveexec_b32 s13, s12
	s_cbranch_execz .LBB4_2873
.LBB4_2872:                             ;   in Loop: Header=BB4_2641 Depth=2
	v_and_b32_sdwa v16, v12, v114 dst_sel:DWORD dst_unused:UNUSED_PAD src0_sel:BYTE_3 src1_sel:DWORD
	v_bfe_u32 v41, v12, 27, 4
	v_ffbh_u32_e32 v119, v16
	v_cmp_eq_u32_e64 s12, 0, v41
	v_min_u32_e32 v119, 32, v119
	v_subrev_nc_u32_e32 v40, 28, v119
	v_sub_nc_u32_e32 v119, 29, v119
	v_lshlrev_b32_sdwa v40, v40, v12 dst_sel:DWORD dst_unused:UNUSED_PAD src0_sel:DWORD src1_sel:BYTE_3
	v_cndmask_b32_e64 v119, v41, v119, s12
	v_and_b32_e32 v12, 0x80000000, v12
	v_and_b32_e32 v40, 7, v40
	v_lshl_add_u32 v119, v119, 23, 0x3b800000
	v_cndmask_b32_e64 v16, v16, v40, s12
	v_lshlrev_b32_e32 v16, 20, v16
	v_or3_b32 v16, v12, v119, v16
.LBB4_2873:                             ;   in Loop: Header=BB4_2641 Depth=2
	s_or_b32 exec_lo, exec_lo, s13
	v_add_f32_e32 v16, v118, v16
	v_and_b32_e32 v12, 0x7f800000, v16
	v_cmp_ne_u32_e64 s12, 0x7f800000, v12
	v_mov_b32_e32 v12, 0x8000
	s_and_saveexec_b32 s28, s12
	s_cbranch_execz .LBB4_2881
; %bb.2874:                             ;   in Loop: Header=BB4_2641 Depth=2
	v_mov_b32_e32 v12, 0
	s_mov_b32 s29, exec_lo
	v_cmpx_ne_u32_e32 0, v16
	s_cbranch_execz .LBB4_2880
; %bb.2875:                             ;   in Loop: Header=BB4_2641 Depth=2
	v_bfe_u32 v12, v16, 23, 8
	v_and_b32_e32 v118, 0x7fffff, v16
	v_sub_nc_u32_e32 v119, 0x78, v12
	v_cmp_gt_u32_e64 s12, 0x79, v12
	v_or_b32_e32 v40, 0x800000, v118
	v_cndmask_b32_e64 v119, 0, v119, s12
	v_cmp_eq_u32_e64 s12, 0, v12
	v_add_nc_u32_e32 v12, 0xffffff89, v12
	v_cndmask_b32_e64 v119, v119, 0x77, s12
	v_cndmask_b32_e64 v118, v40, v118, s12
	;; [unrolled: 1-line block ×3, first 2 shown]
	v_lshl_add_u32 v40, 0x100000, v119, -1
	v_lshrrev_b32_e32 v41, v119, v118
	v_lshlrev_b32_e64 v43, v119, 0x80000
	v_add_nc_u32_e32 v119, v119, v12
	v_and_b32_e32 v118, v40, v118
	v_bfe_u32 v42, v41, 20, 1
	v_cmp_eq_u32_e64 s13, v118, v43
	v_add_nc_u32_e32 v40, -1, v42
	v_cndmask_b32_e64 v118, 0, v40, s13
	v_lshrrev_b32_e32 v40, 23, v41
	s_mov_b32 s13, exec_lo
	v_add_nc_u32_e32 v118, v118, v41
	v_xor_b32_e32 v40, 1, v40
	v_and_b32_e32 v12, 0xfffff, v118
	v_add_nc_u32_e32 v118, v12, v41
                                        ; implicit-def: $vgpr12
	v_cmpx_ne_u32_e64 v119, v40
	s_xor_b32 s13, exec_lo, s13
; %bb.2876:                             ;   in Loop: Header=BB4_2641 Depth=2
	v_cmp_lt_u32_e64 s12, 0xffffff, v118
	v_sub_nc_u32_e32 v12, v119, v40
	v_cndmask_b32_e64 v119, 0, 1, s12
	v_add_co_ci_u32_e64 v12, null, 0, v12, s12
	v_lshrrev_b32_e32 v118, v119, v118
; %bb.2877:                             ;   in Loop: Header=BB4_2641 Depth=2
	s_andn2_saveexec_b32 s12, s13
; %bb.2878:                             ;   in Loop: Header=BB4_2641 Depth=2
	v_bfe_u32 v12, v118, 23, 1
; %bb.2879:                             ;   in Loop: Header=BB4_2641 Depth=2
	s_or_b32 exec_lo, exec_lo, s12
	v_lshrrev_b32_e32 v118, 20, v118
	v_min_i32_e32 v119, 15, v12
	v_cmp_gt_i32_e64 s12, 16, v12
	v_and_b32_sdwa v16, v16, v97 dst_sel:DWORD dst_unused:UNUSED_PAD src0_sel:BYTE_3 src1_sel:DWORD
	v_lshlrev_b32_e32 v119, 3, v119
	v_cndmask_b32_e64 v118, 7, v118, s12
	v_and_b32_e32 v119, 0xf8, v119
	v_and_b32_e32 v40, 7, v118
	v_or_b32_e32 v12, v12, v118
	v_or3_b32 v16, v16, v119, v40
	v_cmp_ne_u32_e64 s12, 0, v12
	v_lshlrev_b32_e32 v16, 8, v16
	v_cndmask_b32_e64 v12, 0, v16, s12
.LBB4_2880:                             ;   in Loop: Header=BB4_2641 Depth=2
	s_or_b32 exec_lo, exec_lo, s29
.LBB4_2881:                             ;   in Loop: Header=BB4_2641 Depth=2
	s_or_b32 exec_lo, exec_lo, s28
	v_cmp_gt_i16_sdwa s13, v17, v96 src0_sel:BYTE_0 src1_sel:DWORD
	s_mov_b32 s12, 0
	s_and_saveexec_b32 s28, s13
	s_xor_b32 s13, exec_lo, s28
	s_cbranch_execz .LBB4_3007
; %bb.2882:                             ;   in Loop: Header=BB4_2641 Depth=2
	v_cmp_eq_u16_sdwa s29, v17, v97 src0_sel:BYTE_0 src1_sel:DWORD
	s_mov_b32 s12, -1
	s_and_saveexec_b32 s28, s29
; %bb.2883:                             ;   in Loop: Header=BB4_2641 Depth=2
	s_xor_b32 s12, exec_lo, -1
; %bb.2884:                             ;   in Loop: Header=BB4_2641 Depth=2
	s_or_b32 exec_lo, exec_lo, s28
	s_and_b32 s12, s12, exec_lo
	s_or_saveexec_b32 s13, s13
	v_mov_b32_e32 v16, 0x7f800001
	s_xor_b32 exec_lo, exec_lo, s13
	s_cbranch_execnz .LBB4_3008
.LBB4_2885:                             ;   in Loop: Header=BB4_2641 Depth=2
	s_or_b32 exec_lo, exec_lo, s13
	s_and_saveexec_b32 s13, s12
	s_cbranch_execz .LBB4_2887
.LBB4_2886:                             ;   in Loop: Header=BB4_2641 Depth=2
	v_and_b32_e32 v16, 7, v17
	v_bfe_u32 v40, v17, 3, 4
	v_lshlrev_b32_e32 v41, 24, v17
	v_ffbh_u32_e32 v118, v16
	v_cmp_eq_u32_e64 s12, 0, v40
	v_min_u32_e32 v118, 32, v118
	v_subrev_nc_u32_e32 v119, 28, v118
	v_sub_nc_u32_e32 v118, 29, v118
	v_lshlrev_b32_e32 v119, v119, v17
	v_cndmask_b32_e64 v118, v40, v118, s12
	v_and_b32_e32 v119, 7, v119
	v_lshl_add_u32 v118, v118, 23, 0x3b800000
	v_cndmask_b32_e64 v16, v16, v119, s12
	v_and_b32_e32 v119, 0x80000000, v41
	v_lshlrev_b32_e32 v16, 20, v16
	v_or3_b32 v16, v119, v118, v16
.LBB4_2887:                             ;   in Loop: Header=BB4_2641 Depth=2
	s_or_b32 exec_lo, exec_lo, s13
	v_cmp_gt_i16_sdwa s13, v13, v96 src0_sel:BYTE_0 src1_sel:DWORD
	s_mov_b32 s12, 0
	s_and_saveexec_b32 s28, s13
	s_xor_b32 s13, exec_lo, s28
	s_cbranch_execz .LBB4_3009
; %bb.2888:                             ;   in Loop: Header=BB4_2641 Depth=2
	v_cmp_eq_u16_sdwa s29, v13, v97 src0_sel:BYTE_0 src1_sel:DWORD
	s_mov_b32 s12, -1
	s_and_saveexec_b32 s28, s29
; %bb.2889:                             ;   in Loop: Header=BB4_2641 Depth=2
	s_xor_b32 s12, exec_lo, -1
; %bb.2890:                             ;   in Loop: Header=BB4_2641 Depth=2
	s_or_b32 exec_lo, exec_lo, s28
	s_and_b32 s12, s12, exec_lo
	s_or_saveexec_b32 s13, s13
	v_mov_b32_e32 v118, 0x7f800001
	s_xor_b32 exec_lo, exec_lo, s13
	s_cbranch_execnz .LBB4_3010
.LBB4_2891:                             ;   in Loop: Header=BB4_2641 Depth=2
	s_or_b32 exec_lo, exec_lo, s13
	s_and_saveexec_b32 s13, s12
	s_cbranch_execz .LBB4_2893
.LBB4_2892:                             ;   in Loop: Header=BB4_2641 Depth=2
	v_and_b32_e32 v118, 7, v13
	v_bfe_u32 v41, v13, 3, 4
	v_lshlrev_b32_e32 v42, 24, v13
	v_ffbh_u32_e32 v119, v118
	v_cmp_eq_u32_e64 s12, 0, v41
	v_min_u32_e32 v119, 32, v119
	v_subrev_nc_u32_e32 v40, 28, v119
	v_sub_nc_u32_e32 v119, 29, v119
	v_lshlrev_b32_e32 v40, v40, v13
	v_cndmask_b32_e64 v119, v41, v119, s12
	v_and_b32_e32 v40, 7, v40
	v_lshl_add_u32 v119, v119, 23, 0x3b800000
	v_cndmask_b32_e64 v118, v118, v40, s12
	v_and_b32_e32 v40, 0x80000000, v42
	v_lshlrev_b32_e32 v118, 20, v118
	v_or3_b32 v118, v40, v119, v118
.LBB4_2893:                             ;   in Loop: Header=BB4_2641 Depth=2
	s_or_b32 exec_lo, exec_lo, s13
	v_add_f32_e32 v118, v16, v118
	v_and_b32_e32 v16, 0x7f800000, v118
	v_cmp_ne_u32_e64 s12, 0x7f800000, v16
	v_mov_b32_e32 v16, 0x80
	s_and_saveexec_b32 s28, s12
	s_cbranch_execz .LBB4_2901
; %bb.2894:                             ;   in Loop: Header=BB4_2641 Depth=2
	v_mov_b32_e32 v16, 0
	s_mov_b32 s29, exec_lo
	v_cmpx_ne_u32_e32 0, v118
	s_cbranch_execz .LBB4_2900
; %bb.2895:                             ;   in Loop: Header=BB4_2641 Depth=2
	v_bfe_u32 v16, v118, 23, 8
	v_and_b32_e32 v119, 0x7fffff, v118
	v_sub_nc_u32_e32 v40, 0x78, v16
	v_cmp_gt_u32_e64 s12, 0x79, v16
	v_or_b32_e32 v41, 0x800000, v119
	v_cndmask_b32_e64 v40, 0, v40, s12
	v_cmp_eq_u32_e64 s12, 0, v16
	v_add_nc_u32_e32 v16, 0xffffff89, v16
	v_cndmask_b32_e64 v40, v40, 0x77, s12
	v_cndmask_b32_e64 v119, v41, v119, s12
	;; [unrolled: 1-line block ×3, first 2 shown]
	v_lshl_add_u32 v41, 0x100000, v40, -1
	v_lshrrev_b32_e32 v42, v40, v119
	v_lshlrev_b32_e64 v44, v40, 0x80000
	v_add_nc_u32_e32 v40, v40, v16
	v_and_b32_e32 v119, v41, v119
	v_bfe_u32 v43, v42, 20, 1
	v_cmp_eq_u32_e64 s13, v119, v44
	v_add_nc_u32_e32 v41, -1, v43
	v_cndmask_b32_e64 v119, 0, v41, s13
	v_lshrrev_b32_e32 v41, 23, v42
	s_mov_b32 s13, exec_lo
	v_add_nc_u32_e32 v119, v119, v42
	v_xor_b32_e32 v41, 1, v41
	v_and_b32_e32 v16, 0xfffff, v119
	v_add_nc_u32_e32 v119, v16, v42
                                        ; implicit-def: $vgpr16
	v_cmpx_ne_u32_e64 v40, v41
	s_xor_b32 s13, exec_lo, s13
; %bb.2896:                             ;   in Loop: Header=BB4_2641 Depth=2
	v_cmp_lt_u32_e64 s12, 0xffffff, v119
	v_sub_nc_u32_e32 v16, v40, v41
	v_cndmask_b32_e64 v40, 0, 1, s12
	v_add_co_ci_u32_e64 v16, null, 0, v16, s12
	v_lshrrev_b32_e32 v119, v40, v119
; %bb.2897:                             ;   in Loop: Header=BB4_2641 Depth=2
	s_andn2_saveexec_b32 s12, s13
; %bb.2898:                             ;   in Loop: Header=BB4_2641 Depth=2
	v_bfe_u32 v16, v119, 23, 1
; %bb.2899:                             ;   in Loop: Header=BB4_2641 Depth=2
	s_or_b32 exec_lo, exec_lo, s12
	v_lshrrev_b32_e32 v119, 20, v119
	v_min_i32_e32 v40, 15, v16
	v_cmp_gt_i32_e64 s12, 16, v16
	v_and_b32_sdwa v118, v118, v97 dst_sel:DWORD dst_unused:UNUSED_PAD src0_sel:BYTE_3 src1_sel:DWORD
	v_lshlrev_b32_e32 v40, 3, v40
	v_cndmask_b32_e64 v119, 7, v119, s12
	v_and_b32_e32 v40, 0xf8, v40
	v_and_b32_e32 v41, 7, v119
	v_or_b32_e32 v16, v16, v119
	v_or3_b32 v118, v40, v118, v41
	v_cmp_ne_u32_e64 s12, 0, v16
	v_cndmask_b32_e64 v16, 0, v118, s12
.LBB4_2900:                             ;   in Loop: Header=BB4_2641 Depth=2
	s_or_b32 exec_lo, exec_lo, s29
.LBB4_2901:                             ;   in Loop: Header=BB4_2641 Depth=2
	s_or_b32 exec_lo, exec_lo, s28
	v_cmp_gt_i16_sdwa s13, v17, v96 src0_sel:BYTE_1 src1_sel:DWORD
	s_mov_b32 s12, 0
	s_and_saveexec_b32 s28, s13
	s_xor_b32 s13, exec_lo, s28
	s_cbranch_execz .LBB4_3011
; %bb.2902:                             ;   in Loop: Header=BB4_2641 Depth=2
	v_cmp_eq_u16_sdwa s29, v17, v97 src0_sel:BYTE_1 src1_sel:DWORD
	s_mov_b32 s12, -1
	s_and_saveexec_b32 s28, s29
; %bb.2903:                             ;   in Loop: Header=BB4_2641 Depth=2
	s_xor_b32 s12, exec_lo, -1
; %bb.2904:                             ;   in Loop: Header=BB4_2641 Depth=2
	s_or_b32 exec_lo, exec_lo, s28
	s_and_b32 s12, s12, exec_lo
	s_or_saveexec_b32 s13, s13
	v_mov_b32_e32 v118, 0x7f800001
	s_xor_b32 exec_lo, exec_lo, s13
	s_cbranch_execnz .LBB4_3012
.LBB4_2905:                             ;   in Loop: Header=BB4_2641 Depth=2
	s_or_b32 exec_lo, exec_lo, s13
	s_and_saveexec_b32 s13, s12
	s_cbranch_execz .LBB4_2907
.LBB4_2906:                             ;   in Loop: Header=BB4_2641 Depth=2
	v_and_b32_sdwa v118, v98, v17 dst_sel:DWORD dst_unused:UNUSED_PAD src0_sel:DWORD src1_sel:BYTE_1
	v_and_b32_e32 v119, 7, v118
	v_bfe_u32 v42, v118, 3, 4
	v_ffbh_u32_e32 v40, v119
	v_cmp_eq_u32_e64 s12, 0, v42
	v_min_u32_e32 v40, 32, v40
	v_subrev_nc_u32_e32 v41, 28, v40
	v_sub_nc_u32_e32 v40, 29, v40
	v_lshlrev_b32_e32 v118, v41, v118
	v_lshlrev_b32_sdwa v41, v100, v17 dst_sel:DWORD dst_unused:UNUSED_PAD src0_sel:DWORD src1_sel:BYTE_1
	v_cndmask_b32_e64 v40, v42, v40, s12
	v_and_b32_e32 v118, 7, v118
	v_lshl_add_u32 v40, v40, 23, 0x3b800000
	v_cndmask_b32_e64 v118, v119, v118, s12
	v_and_b32_e32 v119, 0x80000000, v41
	v_lshlrev_b32_e32 v118, 20, v118
	v_or3_b32 v118, v119, v40, v118
.LBB4_2907:                             ;   in Loop: Header=BB4_2641 Depth=2
	s_or_b32 exec_lo, exec_lo, s13
	v_cmp_gt_i16_sdwa s13, v13, v96 src0_sel:BYTE_1 src1_sel:DWORD
	s_mov_b32 s12, 0
	s_and_saveexec_b32 s28, s13
	s_xor_b32 s13, exec_lo, s28
	s_cbranch_execz .LBB4_3013
; %bb.2908:                             ;   in Loop: Header=BB4_2641 Depth=2
	v_cmp_eq_u16_sdwa s29, v13, v97 src0_sel:BYTE_1 src1_sel:DWORD
	s_mov_b32 s12, -1
	s_and_saveexec_b32 s28, s29
; %bb.2909:                             ;   in Loop: Header=BB4_2641 Depth=2
	s_xor_b32 s12, exec_lo, -1
; %bb.2910:                             ;   in Loop: Header=BB4_2641 Depth=2
	s_or_b32 exec_lo, exec_lo, s28
	s_and_b32 s12, s12, exec_lo
	s_or_saveexec_b32 s13, s13
	v_mov_b32_e32 v119, 0x7f800001
	s_xor_b32 exec_lo, exec_lo, s13
	s_cbranch_execnz .LBB4_3014
.LBB4_2911:                             ;   in Loop: Header=BB4_2641 Depth=2
	s_or_b32 exec_lo, exec_lo, s13
	s_and_saveexec_b32 s13, s12
	s_cbranch_execz .LBB4_2913
.LBB4_2912:                             ;   in Loop: Header=BB4_2641 Depth=2
	v_and_b32_sdwa v119, v98, v13 dst_sel:DWORD dst_unused:UNUSED_PAD src0_sel:DWORD src1_sel:BYTE_1
	v_and_b32_e32 v40, 7, v119
	v_bfe_u32 v43, v119, 3, 4
	v_ffbh_u32_e32 v41, v40
	v_cmp_eq_u32_e64 s12, 0, v43
	v_min_u32_e32 v41, 32, v41
	v_subrev_nc_u32_e32 v42, 28, v41
	v_sub_nc_u32_e32 v41, 29, v41
	v_lshlrev_b32_e32 v119, v42, v119
	v_lshlrev_b32_sdwa v42, v100, v13 dst_sel:DWORD dst_unused:UNUSED_PAD src0_sel:DWORD src1_sel:BYTE_1
	v_cndmask_b32_e64 v41, v43, v41, s12
	v_and_b32_e32 v119, 7, v119
	v_lshl_add_u32 v41, v41, 23, 0x3b800000
	v_cndmask_b32_e64 v119, v40, v119, s12
	v_and_b32_e32 v40, 0x80000000, v42
	v_lshlrev_b32_e32 v119, 20, v119
	v_or3_b32 v119, v40, v41, v119
.LBB4_2913:                             ;   in Loop: Header=BB4_2641 Depth=2
	s_or_b32 exec_lo, exec_lo, s13
	v_add_f32_e32 v119, v118, v119
	v_and_b32_e32 v118, 0x7f800000, v119
	v_cmp_ne_u32_e64 s12, 0x7f800000, v118
	v_mov_b32_e32 v118, 0x8000
	s_and_saveexec_b32 s28, s12
	s_cbranch_execz .LBB4_2921
; %bb.2914:                             ;   in Loop: Header=BB4_2641 Depth=2
	v_mov_b32_e32 v118, 0
	s_mov_b32 s29, exec_lo
	v_cmpx_ne_u32_e32 0, v119
	s_cbranch_execz .LBB4_2920
; %bb.2915:                             ;   in Loop: Header=BB4_2641 Depth=2
	v_bfe_u32 v118, v119, 23, 8
	v_and_b32_e32 v40, 0x7fffff, v119
	v_sub_nc_u32_e32 v41, 0x78, v118
	v_cmp_gt_u32_e64 s12, 0x79, v118
	v_or_b32_e32 v42, 0x800000, v40
	v_cndmask_b32_e64 v41, 0, v41, s12
	v_cmp_eq_u32_e64 s12, 0, v118
	v_add_nc_u32_e32 v118, 0xffffff89, v118
	v_cndmask_b32_e64 v41, v41, 0x77, s12
	v_cndmask_b32_e64 v40, v42, v40, s12
	;; [unrolled: 1-line block ×3, first 2 shown]
	v_lshl_add_u32 v42, 0x100000, v41, -1
	v_lshrrev_b32_e32 v43, v41, v40
	v_lshlrev_b32_e64 v45, v41, 0x80000
	v_add_nc_u32_e32 v41, v41, v118
	v_and_b32_e32 v40, v42, v40
	v_bfe_u32 v44, v43, 20, 1
	v_cmp_eq_u32_e64 s13, v40, v45
	v_add_nc_u32_e32 v42, -1, v44
	v_cndmask_b32_e64 v40, 0, v42, s13
	v_lshrrev_b32_e32 v42, 23, v43
	s_mov_b32 s13, exec_lo
	v_add_nc_u32_e32 v40, v40, v43
	v_xor_b32_e32 v42, 1, v42
	v_and_b32_e32 v118, 0xfffff, v40
	v_add_nc_u32_e32 v40, v118, v43
                                        ; implicit-def: $vgpr118
	v_cmpx_ne_u32_e64 v41, v42
	s_xor_b32 s13, exec_lo, s13
; %bb.2916:                             ;   in Loop: Header=BB4_2641 Depth=2
	v_cmp_lt_u32_e64 s12, 0xffffff, v40
	v_sub_nc_u32_e32 v118, v41, v42
	v_cndmask_b32_e64 v41, 0, 1, s12
	v_add_co_ci_u32_e64 v118, null, 0, v118, s12
	v_lshrrev_b32_e32 v40, v41, v40
; %bb.2917:                             ;   in Loop: Header=BB4_2641 Depth=2
	s_andn2_saveexec_b32 s12, s13
; %bb.2918:                             ;   in Loop: Header=BB4_2641 Depth=2
	v_bfe_u32 v118, v40, 23, 1
; %bb.2919:                             ;   in Loop: Header=BB4_2641 Depth=2
	s_or_b32 exec_lo, exec_lo, s12
	v_lshrrev_b32_e32 v40, 20, v40
	v_min_i32_e32 v41, 15, v118
	v_cmp_gt_i32_e64 s12, 16, v118
	v_and_b32_sdwa v119, v119, v97 dst_sel:DWORD dst_unused:UNUSED_PAD src0_sel:BYTE_3 src1_sel:DWORD
	v_lshlrev_b32_e32 v41, 3, v41
	v_cndmask_b32_e64 v40, 7, v40, s12
	v_and_b32_e32 v41, 0xf8, v41
	v_and_b32_e32 v42, 7, v40
	v_or_b32_e32 v118, v118, v40
	v_or3_b32 v119, v119, v41, v42
	v_cmp_ne_u32_e64 s12, 0, v118
	v_lshlrev_b32_e32 v119, 8, v119
	v_cndmask_b32_e64 v118, 0, v119, s12
.LBB4_2920:                             ;   in Loop: Header=BB4_2641 Depth=2
	s_or_b32 exec_lo, exec_lo, s29
.LBB4_2921:                             ;   in Loop: Header=BB4_2641 Depth=2
	s_or_b32 exec_lo, exec_lo, s28
	v_and_b32_sdwa v40, v17, v113 dst_sel:DWORD dst_unused:UNUSED_PAD src0_sel:WORD_1 src1_sel:DWORD
	s_mov_b32 s13, 0
	s_mov_b32 s28, exec_lo
	v_cmpx_lt_i16_e32 0x7f, v40
	s_xor_b32 s28, exec_lo, s28
	s_cbranch_execz .LBB4_3015
; %bb.2922:                             ;   in Loop: Header=BB4_2641 Depth=2
	s_mov_b32 s13, -1
	s_mov_b32 s29, exec_lo
	v_cmpx_eq_u16_e32 0x80, v40
; %bb.2923:                             ;   in Loop: Header=BB4_2641 Depth=2
	s_xor_b32 s13, exec_lo, -1
; %bb.2924:                             ;   in Loop: Header=BB4_2641 Depth=2
	s_or_b32 exec_lo, exec_lo, s29
	s_and_b32 s13, s13, exec_lo
                                        ; implicit-def: $vgpr40
	s_or_saveexec_b32 s28, s28
	v_mov_b32_e32 v119, 0x7f800001
	s_xor_b32 exec_lo, exec_lo, s28
	s_cbranch_execnz .LBB4_3016
.LBB4_2925:                             ;   in Loop: Header=BB4_2641 Depth=2
	s_or_b32 exec_lo, exec_lo, s28
	s_and_saveexec_b32 s28, s13
	s_cbranch_execz .LBB4_2927
.LBB4_2926:                             ;   in Loop: Header=BB4_2641 Depth=2
	v_bfe_u32 v119, v17, 16, 3
	v_bfe_u32 v42, v17, 19, 4
	v_lshlrev_b32_e32 v43, 8, v17
	v_ffbh_u32_e32 v40, v119
	v_cmp_eq_u32_e64 s12, 0, v42
	v_min_u32_e32 v40, 32, v40
	v_subrev_nc_u32_e32 v41, 28, v40
	v_sub_nc_u32_e32 v40, 29, v40
	v_lshlrev_b32_sdwa v41, v41, v17 dst_sel:DWORD dst_unused:UNUSED_PAD src0_sel:DWORD src1_sel:WORD_1
	v_cndmask_b32_e64 v40, v42, v40, s12
	v_and_b32_e32 v41, 7, v41
	v_lshl_add_u32 v40, v40, 23, 0x3b800000
	v_cndmask_b32_e64 v119, v119, v41, s12
	v_and_b32_e32 v41, 0x80000000, v43
	v_lshlrev_b32_e32 v119, 20, v119
	v_or3_b32 v119, v41, v40, v119
.LBB4_2927:                             ;   in Loop: Header=BB4_2641 Depth=2
	s_or_b32 exec_lo, exec_lo, s28
	v_and_b32_sdwa v41, v13, v113 dst_sel:DWORD dst_unused:UNUSED_PAD src0_sel:WORD_1 src1_sel:DWORD
	s_mov_b32 s13, 0
	s_mov_b32 s28, exec_lo
	v_cmpx_lt_i16_e32 0x7f, v41
	s_xor_b32 s28, exec_lo, s28
	s_cbranch_execz .LBB4_3017
; %bb.2928:                             ;   in Loop: Header=BB4_2641 Depth=2
	s_mov_b32 s13, -1
	s_mov_b32 s29, exec_lo
	v_cmpx_eq_u16_e32 0x80, v41
; %bb.2929:                             ;   in Loop: Header=BB4_2641 Depth=2
	s_xor_b32 s13, exec_lo, -1
; %bb.2930:                             ;   in Loop: Header=BB4_2641 Depth=2
	s_or_b32 exec_lo, exec_lo, s29
	s_and_b32 s13, s13, exec_lo
                                        ; implicit-def: $vgpr41
	s_or_saveexec_b32 s28, s28
	v_mov_b32_e32 v40, 0x7f800001
	s_xor_b32 exec_lo, exec_lo, s28
	s_cbranch_execnz .LBB4_3018
.LBB4_2931:                             ;   in Loop: Header=BB4_2641 Depth=2
	s_or_b32 exec_lo, exec_lo, s28
	s_and_saveexec_b32 s28, s13
	s_cbranch_execz .LBB4_2933
.LBB4_2932:                             ;   in Loop: Header=BB4_2641 Depth=2
	v_and_b32_sdwa v40, v13, v114 dst_sel:DWORD dst_unused:UNUSED_PAD src0_sel:WORD_1 src1_sel:DWORD
	v_bfe_u32 v43, v13, 19, 4
	v_lshlrev_b32_sdwa v44, v100, v13 dst_sel:DWORD dst_unused:UNUSED_PAD src0_sel:DWORD src1_sel:WORD_1
	v_ffbh_u32_e32 v41, v40
	v_cmp_eq_u32_e64 s12, 0, v43
	v_min_u32_e32 v41, 32, v41
	v_subrev_nc_u32_e32 v42, 28, v41
	v_sub_nc_u32_e32 v41, 29, v41
	v_lshlrev_b32_sdwa v42, v42, v13 dst_sel:DWORD dst_unused:UNUSED_PAD src0_sel:DWORD src1_sel:WORD_1
	v_cndmask_b32_e64 v41, v43, v41, s12
	v_and_b32_e32 v42, 7, v42
	v_lshl_add_u32 v41, v41, 23, 0x3b800000
	v_cndmask_b32_e64 v40, v40, v42, s12
	v_and_b32_e32 v42, 0x80000000, v44
	v_lshlrev_b32_e32 v40, 20, v40
	v_or3_b32 v40, v42, v41, v40
.LBB4_2933:                             ;   in Loop: Header=BB4_2641 Depth=2
	s_or_b32 exec_lo, exec_lo, s28
	v_add_f32_e32 v40, v119, v40
	v_and_b32_e32 v119, 0x7f800000, v40
	v_cmp_ne_u32_e64 s12, 0x7f800000, v119
	v_mov_b32_e32 v119, 0x80
	s_and_saveexec_b32 s28, s12
	s_cbranch_execz .LBB4_2941
; %bb.2934:                             ;   in Loop: Header=BB4_2641 Depth=2
	v_mov_b32_e32 v119, 0
	s_mov_b32 s29, exec_lo
	v_cmpx_ne_u32_e32 0, v40
	s_cbranch_execz .LBB4_2940
; %bb.2935:                             ;   in Loop: Header=BB4_2641 Depth=2
	v_bfe_u32 v119, v40, 23, 8
	v_and_b32_e32 v41, 0x7fffff, v40
	v_sub_nc_u32_e32 v42, 0x78, v119
	v_cmp_gt_u32_e64 s12, 0x79, v119
	v_or_b32_e32 v43, 0x800000, v41
	v_cndmask_b32_e64 v42, 0, v42, s12
	v_cmp_eq_u32_e64 s12, 0, v119
	v_add_nc_u32_e32 v119, 0xffffff89, v119
	v_cndmask_b32_e64 v42, v42, 0x77, s12
	v_cndmask_b32_e64 v41, v43, v41, s12
	;; [unrolled: 1-line block ×3, first 2 shown]
	v_lshl_add_u32 v43, 0x100000, v42, -1
	v_lshrrev_b32_e32 v44, v42, v41
	v_lshlrev_b32_e64 v46, v42, 0x80000
	v_add_nc_u32_e32 v42, v42, v119
	v_and_b32_e32 v41, v43, v41
	v_bfe_u32 v45, v44, 20, 1
	v_cmp_eq_u32_e64 s13, v41, v46
	v_add_nc_u32_e32 v43, -1, v45
	v_cndmask_b32_e64 v41, 0, v43, s13
	v_lshrrev_b32_e32 v43, 23, v44
	s_mov_b32 s13, exec_lo
	v_add_nc_u32_e32 v41, v41, v44
	v_xor_b32_e32 v43, 1, v43
	v_and_b32_e32 v119, 0xfffff, v41
	v_add_nc_u32_e32 v41, v119, v44
                                        ; implicit-def: $vgpr119
	v_cmpx_ne_u32_e64 v42, v43
	s_xor_b32 s13, exec_lo, s13
; %bb.2936:                             ;   in Loop: Header=BB4_2641 Depth=2
	v_cmp_lt_u32_e64 s12, 0xffffff, v41
	v_sub_nc_u32_e32 v119, v42, v43
	v_cndmask_b32_e64 v42, 0, 1, s12
	v_add_co_ci_u32_e64 v119, null, 0, v119, s12
	v_lshrrev_b32_e32 v41, v42, v41
; %bb.2937:                             ;   in Loop: Header=BB4_2641 Depth=2
	s_andn2_saveexec_b32 s12, s13
; %bb.2938:                             ;   in Loop: Header=BB4_2641 Depth=2
	v_bfe_u32 v119, v41, 23, 1
; %bb.2939:                             ;   in Loop: Header=BB4_2641 Depth=2
	s_or_b32 exec_lo, exec_lo, s12
	v_lshrrev_b32_e32 v41, 20, v41
	v_min_i32_e32 v42, 15, v119
	v_cmp_gt_i32_e64 s12, 16, v119
	v_and_b32_sdwa v40, v40, v97 dst_sel:DWORD dst_unused:UNUSED_PAD src0_sel:BYTE_3 src1_sel:DWORD
	v_lshlrev_b32_e32 v42, 3, v42
	v_cndmask_b32_e64 v41, 7, v41, s12
	v_and_b32_e32 v42, 0xf8, v42
	v_and_b32_e32 v43, 7, v41
	v_or_b32_e32 v119, v119, v41
	v_or3_b32 v40, v42, v40, v43
	v_cmp_ne_u32_e64 s12, 0, v119
	v_cndmask_b32_e64 v119, 0, v40, s12
.LBB4_2940:                             ;   in Loop: Header=BB4_2641 Depth=2
	s_or_b32 exec_lo, exec_lo, s29
.LBB4_2941:                             ;   in Loop: Header=BB4_2641 Depth=2
	s_or_b32 exec_lo, exec_lo, s28
	v_cmp_gt_i16_sdwa s13, v17, v96 src0_sel:BYTE_3 src1_sel:DWORD
	s_mov_b32 s12, 0
	s_and_saveexec_b32 s28, s13
	s_xor_b32 s13, exec_lo, s28
	s_cbranch_execz .LBB4_3019
; %bb.2942:                             ;   in Loop: Header=BB4_2641 Depth=2
	v_cmp_eq_u16_sdwa s29, v17, v97 src0_sel:BYTE_3 src1_sel:DWORD
	s_mov_b32 s12, -1
	s_and_saveexec_b32 s28, s29
; %bb.2943:                             ;   in Loop: Header=BB4_2641 Depth=2
	s_xor_b32 s12, exec_lo, -1
; %bb.2944:                             ;   in Loop: Header=BB4_2641 Depth=2
	s_or_b32 exec_lo, exec_lo, s28
	s_and_b32 s12, s12, exec_lo
	s_or_saveexec_b32 s13, s13
	v_mov_b32_e32 v40, 0x7f800001
	s_xor_b32 exec_lo, exec_lo, s13
	s_cbranch_execnz .LBB4_3020
.LBB4_2945:                             ;   in Loop: Header=BB4_2641 Depth=2
	s_or_b32 exec_lo, exec_lo, s13
	s_and_saveexec_b32 s13, s12
	s_cbranch_execz .LBB4_2947
.LBB4_2946:                             ;   in Loop: Header=BB4_2641 Depth=2
	v_bfe_u32 v40, v17, 24, 3
	v_bfe_u32 v43, v17, 27, 4
	v_ffbh_u32_e32 v41, v40
	v_cmp_eq_u32_e64 s12, 0, v43
	v_min_u32_e32 v41, 32, v41
	v_subrev_nc_u32_e32 v42, 28, v41
	v_sub_nc_u32_e32 v41, 29, v41
	v_lshlrev_b32_sdwa v42, v42, v17 dst_sel:DWORD dst_unused:UNUSED_PAD src0_sel:DWORD src1_sel:BYTE_3
	v_cndmask_b32_e64 v41, v43, v41, s12
	v_and_b32_e32 v17, 0x80000000, v17
	v_and_b32_e32 v42, 7, v42
	v_lshl_add_u32 v41, v41, 23, 0x3b800000
	v_cndmask_b32_e64 v40, v40, v42, s12
	v_lshlrev_b32_e32 v40, 20, v40
	v_or3_b32 v40, v17, v41, v40
.LBB4_2947:                             ;   in Loop: Header=BB4_2641 Depth=2
	s_or_b32 exec_lo, exec_lo, s13
	v_cmp_gt_i16_sdwa s13, v13, v96 src0_sel:BYTE_3 src1_sel:DWORD
	s_mov_b32 s12, 0
	s_and_saveexec_b32 s28, s13
	s_xor_b32 s13, exec_lo, s28
	s_cbranch_execz .LBB4_3021
; %bb.2948:                             ;   in Loop: Header=BB4_2641 Depth=2
	v_cmp_eq_u16_sdwa s29, v13, v97 src0_sel:BYTE_3 src1_sel:DWORD
	s_mov_b32 s12, -1
	s_and_saveexec_b32 s28, s29
; %bb.2949:                             ;   in Loop: Header=BB4_2641 Depth=2
	s_xor_b32 s12, exec_lo, -1
; %bb.2950:                             ;   in Loop: Header=BB4_2641 Depth=2
	s_or_b32 exec_lo, exec_lo, s28
	s_and_b32 s12, s12, exec_lo
	s_or_saveexec_b32 s13, s13
	v_mov_b32_e32 v17, 0x7f800001
	s_xor_b32 exec_lo, exec_lo, s13
	s_cbranch_execnz .LBB4_3022
.LBB4_2951:                             ;   in Loop: Header=BB4_2641 Depth=2
	s_or_b32 exec_lo, exec_lo, s13
	s_and_saveexec_b32 s13, s12
	s_cbranch_execz .LBB4_2953
.LBB4_2952:                             ;   in Loop: Header=BB4_2641 Depth=2
	v_and_b32_sdwa v17, v13, v114 dst_sel:DWORD dst_unused:UNUSED_PAD src0_sel:BYTE_3 src1_sel:DWORD
	v_bfe_u32 v43, v13, 27, 4
	v_ffbh_u32_e32 v41, v17
	v_cmp_eq_u32_e64 s12, 0, v43
	v_min_u32_e32 v41, 32, v41
	v_subrev_nc_u32_e32 v42, 28, v41
	v_sub_nc_u32_e32 v41, 29, v41
	v_lshlrev_b32_sdwa v42, v42, v13 dst_sel:DWORD dst_unused:UNUSED_PAD src0_sel:DWORD src1_sel:BYTE_3
	v_cndmask_b32_e64 v41, v43, v41, s12
	v_and_b32_e32 v13, 0x80000000, v13
	v_and_b32_e32 v42, 7, v42
	v_lshl_add_u32 v41, v41, 23, 0x3b800000
	v_cndmask_b32_e64 v17, v17, v42, s12
	v_lshlrev_b32_e32 v17, 20, v17
	v_or3_b32 v17, v13, v41, v17
.LBB4_2953:                             ;   in Loop: Header=BB4_2641 Depth=2
	s_or_b32 exec_lo, exec_lo, s13
	v_add_f32_e32 v13, v40, v17
	v_and_b32_e32 v17, 0x7f800000, v13
	v_cmp_ne_u32_e64 s12, 0x7f800000, v17
	v_mov_b32_e32 v17, 0x8000
	s_and_saveexec_b32 s28, s12
	s_cbranch_execz .LBB4_2640
; %bb.2954:                             ;   in Loop: Header=BB4_2641 Depth=2
	v_mov_b32_e32 v17, 0
	s_mov_b32 s29, exec_lo
	v_cmpx_ne_u32_e32 0, v13
	s_cbranch_execz .LBB4_2639
; %bb.2955:                             ;   in Loop: Header=BB4_2641 Depth=2
	v_bfe_u32 v17, v13, 23, 8
	v_and_b32_e32 v40, 0x7fffff, v13
	v_sub_nc_u32_e32 v41, 0x78, v17
	v_cmp_gt_u32_e64 s12, 0x79, v17
	v_or_b32_e32 v42, 0x800000, v40
	v_cndmask_b32_e64 v41, 0, v41, s12
	v_cmp_eq_u32_e64 s12, 0, v17
	v_add_nc_u32_e32 v17, 0xffffff89, v17
	v_cndmask_b32_e64 v41, v41, 0x77, s12
	v_cndmask_b32_e64 v40, v42, v40, s12
	v_cndmask_b32_e64 v17, v17, 0xffffff8a, s12
	v_lshl_add_u32 v42, 0x100000, v41, -1
	v_lshrrev_b32_e32 v43, v41, v40
	v_lshlrev_b32_e64 v45, v41, 0x80000
	v_add_nc_u32_e32 v41, v41, v17
	v_and_b32_e32 v40, v42, v40
	v_bfe_u32 v44, v43, 20, 1
	v_cmp_eq_u32_e64 s13, v40, v45
	v_add_nc_u32_e32 v42, -1, v44
	v_cndmask_b32_e64 v40, 0, v42, s13
	v_lshrrev_b32_e32 v42, 23, v43
	s_mov_b32 s13, exec_lo
	v_add_nc_u32_e32 v40, v40, v43
	v_xor_b32_e32 v42, 1, v42
	v_and_b32_e32 v17, 0xfffff, v40
	v_add_nc_u32_e32 v40, v17, v43
                                        ; implicit-def: $vgpr17
	v_cmpx_ne_u32_e64 v41, v42
	s_xor_b32 s13, exec_lo, s13
; %bb.2956:                             ;   in Loop: Header=BB4_2641 Depth=2
	v_cmp_lt_u32_e64 s12, 0xffffff, v40
	v_sub_nc_u32_e32 v17, v41, v42
	v_cndmask_b32_e64 v41, 0, 1, s12
	v_add_co_ci_u32_e64 v17, null, 0, v17, s12
	v_lshrrev_b32_e32 v40, v41, v40
; %bb.2957:                             ;   in Loop: Header=BB4_2641 Depth=2
	s_andn2_saveexec_b32 s12, s13
	s_cbranch_execz .LBB4_2638
; %bb.2958:                             ;   in Loop: Header=BB4_2641 Depth=2
	v_bfe_u32 v17, v40, 23, 1
	s_branch .LBB4_2638
.LBB4_2959:                             ;   in Loop: Header=BB4_2641 Depth=2
	s_or_saveexec_b32 s13, s13
	v_mov_b32_e32 v70, 0x7f800001
	s_xor_b32 exec_lo, exec_lo, s13
	s_cbranch_execz .LBB4_2645
.LBB4_2960:                             ;   in Loop: Header=BB4_2641 Depth=2
	v_cmp_ne_u16_sdwa s28, v14, v51 src0_sel:BYTE_0 src1_sel:DWORD
	v_mov_b32_e32 v70, 0
	s_andn2_b32 s12, s12, exec_lo
	s_and_b32 s28, s28, exec_lo
	s_or_b32 s12, s12, s28
	s_or_b32 exec_lo, exec_lo, s13
	s_and_saveexec_b32 s13, s12
	s_cbranch_execnz .LBB4_2646
	s_branch .LBB4_2647
.LBB4_2961:                             ;   in Loop: Header=BB4_2641 Depth=2
	s_or_saveexec_b32 s13, s13
	v_mov_b32_e32 v71, 0x7f800001
	s_xor_b32 exec_lo, exec_lo, s13
	s_cbranch_execz .LBB4_2651
.LBB4_2962:                             ;   in Loop: Header=BB4_2641 Depth=2
	v_cmp_ne_u16_sdwa s28, v10, v51 src0_sel:BYTE_0 src1_sel:DWORD
	v_mov_b32_e32 v71, 0
	s_andn2_b32 s12, s12, exec_lo
	s_and_b32 s28, s28, exec_lo
	s_or_b32 s12, s12, s28
	s_or_b32 exec_lo, exec_lo, s13
	s_and_saveexec_b32 s13, s12
	s_cbranch_execnz .LBB4_2652
	s_branch .LBB4_2653
.LBB4_2963:                             ;   in Loop: Header=BB4_2641 Depth=2
	s_or_saveexec_b32 s13, s13
	v_mov_b32_e32 v71, 0x7f800001
	s_xor_b32 exec_lo, exec_lo, s13
	s_cbranch_execz .LBB4_2665
.LBB4_2964:                             ;   in Loop: Header=BB4_2641 Depth=2
	v_cmp_ne_u16_sdwa s28, v14, v51 src0_sel:BYTE_1 src1_sel:DWORD
	v_mov_b32_e32 v71, 0
	s_andn2_b32 s12, s12, exec_lo
	s_and_b32 s28, s28, exec_lo
	s_or_b32 s12, s12, s28
	s_or_b32 exec_lo, exec_lo, s13
	s_and_saveexec_b32 s13, s12
	s_cbranch_execnz .LBB4_2666
	s_branch .LBB4_2667
.LBB4_2965:                             ;   in Loop: Header=BB4_2641 Depth=2
	s_or_saveexec_b32 s13, s13
	v_mov_b32_e32 v80, 0x7f800001
	s_xor_b32 exec_lo, exec_lo, s13
	s_cbranch_execz .LBB4_2671
.LBB4_2966:                             ;   in Loop: Header=BB4_2641 Depth=2
	v_cmp_ne_u16_sdwa s28, v10, v51 src0_sel:BYTE_1 src1_sel:DWORD
	v_mov_b32_e32 v80, 0
	s_andn2_b32 s12, s12, exec_lo
	s_and_b32 s28, s28, exec_lo
	s_or_b32 s12, s12, s28
	s_or_b32 exec_lo, exec_lo, s13
	s_and_saveexec_b32 s13, s12
	s_cbranch_execnz .LBB4_2672
	s_branch .LBB4_2673
.LBB4_2967:                             ;   in Loop: Header=BB4_2641 Depth=2
	s_or_saveexec_b32 s28, s28
	v_mov_b32_e32 v80, 0x7f800001
	s_xor_b32 exec_lo, exec_lo, s28
	s_cbranch_execz .LBB4_2685
.LBB4_2968:                             ;   in Loop: Header=BB4_2641 Depth=2
	v_cmp_ne_u16_e64 s12, 0, v81
	v_mov_b32_e32 v80, 0
	s_andn2_b32 s13, s13, exec_lo
	s_and_b32 s12, s12, exec_lo
	s_or_b32 s13, s13, s12
	s_or_b32 exec_lo, exec_lo, s28
	s_and_saveexec_b32 s28, s13
	s_cbranch_execnz .LBB4_2686
	s_branch .LBB4_2687
.LBB4_2969:                             ;   in Loop: Header=BB4_2641 Depth=2
	s_or_saveexec_b32 s28, s28
	v_mov_b32_e32 v81, 0x7f800001
	s_xor_b32 exec_lo, exec_lo, s28
	s_cbranch_execz .LBB4_2691
.LBB4_2970:                             ;   in Loop: Header=BB4_2641 Depth=2
	v_cmp_ne_u16_e64 s12, 0, v115
	v_mov_b32_e32 v81, 0
	s_andn2_b32 s13, s13, exec_lo
	s_and_b32 s12, s12, exec_lo
	s_or_b32 s13, s13, s12
	s_or_b32 exec_lo, exec_lo, s28
	s_and_saveexec_b32 s28, s13
	s_cbranch_execnz .LBB4_2692
	s_branch .LBB4_2693
.LBB4_2971:                             ;   in Loop: Header=BB4_2641 Depth=2
	s_or_saveexec_b32 s13, s13
	v_mov_b32_e32 v81, 0x7f800001
	s_xor_b32 exec_lo, exec_lo, s13
	s_cbranch_execz .LBB4_2705
.LBB4_2972:                             ;   in Loop: Header=BB4_2641 Depth=2
	v_cmp_ne_u16_sdwa s28, v14, v51 src0_sel:BYTE_3 src1_sel:DWORD
	v_mov_b32_e32 v81, 0
	s_andn2_b32 s12, s12, exec_lo
	s_and_b32 s28, s28, exec_lo
	s_or_b32 s12, s12, s28
	s_or_b32 exec_lo, exec_lo, s13
	s_and_saveexec_b32 s13, s12
	s_cbranch_execnz .LBB4_2706
	s_branch .LBB4_2707
.LBB4_2973:                             ;   in Loop: Header=BB4_2641 Depth=2
	s_or_saveexec_b32 s13, s13
	v_mov_b32_e32 v14, 0x7f800001
	s_xor_b32 exec_lo, exec_lo, s13
	s_cbranch_execz .LBB4_2711
.LBB4_2974:                             ;   in Loop: Header=BB4_2641 Depth=2
	v_cmp_ne_u16_sdwa s28, v10, v51 src0_sel:BYTE_3 src1_sel:DWORD
	v_mov_b32_e32 v14, 0
	s_andn2_b32 s12, s12, exec_lo
	s_and_b32 s28, s28, exec_lo
	s_or_b32 s12, s12, s28
	s_or_b32 exec_lo, exec_lo, s13
	s_and_saveexec_b32 s13, s12
	s_cbranch_execnz .LBB4_2712
	s_branch .LBB4_2713
.LBB4_2975:                             ;   in Loop: Header=BB4_2641 Depth=2
	s_or_saveexec_b32 s13, s13
	v_mov_b32_e32 v14, 0x7f800001
	s_xor_b32 exec_lo, exec_lo, s13
	s_cbranch_execz .LBB4_2725
.LBB4_2976:                             ;   in Loop: Header=BB4_2641 Depth=2
	v_cmp_ne_u16_sdwa s28, v15, v51 src0_sel:BYTE_0 src1_sel:DWORD
	v_mov_b32_e32 v14, 0
	s_andn2_b32 s12, s12, exec_lo
	s_and_b32 s28, s28, exec_lo
	s_or_b32 s12, s12, s28
	s_or_b32 exec_lo, exec_lo, s13
	s_and_saveexec_b32 s13, s12
	s_cbranch_execnz .LBB4_2726
	s_branch .LBB4_2727
.LBB4_2977:                             ;   in Loop: Header=BB4_2641 Depth=2
	s_or_saveexec_b32 s13, s13
	v_mov_b32_e32 v81, 0x7f800001
	s_xor_b32 exec_lo, exec_lo, s13
	s_cbranch_execz .LBB4_2731
.LBB4_2978:                             ;   in Loop: Header=BB4_2641 Depth=2
	v_cmp_ne_u16_sdwa s28, v11, v51 src0_sel:BYTE_0 src1_sel:DWORD
	v_mov_b32_e32 v81, 0
	s_andn2_b32 s12, s12, exec_lo
	s_and_b32 s28, s28, exec_lo
	s_or_b32 s12, s12, s28
	s_or_b32 exec_lo, exec_lo, s13
	s_and_saveexec_b32 s13, s12
	s_cbranch_execnz .LBB4_2732
	s_branch .LBB4_2733
.LBB4_2979:                             ;   in Loop: Header=BB4_2641 Depth=2
	s_or_saveexec_b32 s13, s13
	v_mov_b32_e32 v81, 0x7f800001
	s_xor_b32 exec_lo, exec_lo, s13
	s_cbranch_execz .LBB4_2745
.LBB4_2980:                             ;   in Loop: Header=BB4_2641 Depth=2
	v_cmp_ne_u16_sdwa s28, v15, v51 src0_sel:BYTE_1 src1_sel:DWORD
	v_mov_b32_e32 v81, 0
	s_andn2_b32 s12, s12, exec_lo
	s_and_b32 s28, s28, exec_lo
	s_or_b32 s12, s12, s28
	s_or_b32 exec_lo, exec_lo, s13
	s_and_saveexec_b32 s13, s12
	s_cbranch_execnz .LBB4_2746
	s_branch .LBB4_2747
.LBB4_2981:                             ;   in Loop: Header=BB4_2641 Depth=2
	s_or_saveexec_b32 s13, s13
	v_mov_b32_e32 v115, 0x7f800001
	s_xor_b32 exec_lo, exec_lo, s13
	s_cbranch_execz .LBB4_2751
.LBB4_2982:                             ;   in Loop: Header=BB4_2641 Depth=2
	v_cmp_ne_u16_sdwa s28, v11, v51 src0_sel:BYTE_1 src1_sel:DWORD
	v_mov_b32_e32 v115, 0
	s_andn2_b32 s12, s12, exec_lo
	s_and_b32 s28, s28, exec_lo
	s_or_b32 s12, s12, s28
	s_or_b32 exec_lo, exec_lo, s13
	s_and_saveexec_b32 s13, s12
	s_cbranch_execnz .LBB4_2752
	s_branch .LBB4_2753
.LBB4_2983:                             ;   in Loop: Header=BB4_2641 Depth=2
	s_or_saveexec_b32 s28, s28
	v_mov_b32_e32 v115, 0x7f800001
	s_xor_b32 exec_lo, exec_lo, s28
	s_cbranch_execz .LBB4_2765
.LBB4_2984:                             ;   in Loop: Header=BB4_2641 Depth=2
	v_cmp_ne_u16_e64 s12, 0, v116
	v_mov_b32_e32 v115, 0
	s_andn2_b32 s13, s13, exec_lo
	s_and_b32 s12, s12, exec_lo
	s_or_b32 s13, s13, s12
	s_or_b32 exec_lo, exec_lo, s28
	s_and_saveexec_b32 s28, s13
	s_cbranch_execnz .LBB4_2766
	s_branch .LBB4_2767
.LBB4_2985:                             ;   in Loop: Header=BB4_2641 Depth=2
	s_or_saveexec_b32 s28, s28
	v_mov_b32_e32 v116, 0x7f800001
	s_xor_b32 exec_lo, exec_lo, s28
	s_cbranch_execz .LBB4_2771
.LBB4_2986:                             ;   in Loop: Header=BB4_2641 Depth=2
	v_cmp_ne_u16_e64 s12, 0, v117
	v_mov_b32_e32 v116, 0
	s_andn2_b32 s13, s13, exec_lo
	s_and_b32 s12, s12, exec_lo
	s_or_b32 s13, s13, s12
	s_or_b32 exec_lo, exec_lo, s28
	s_and_saveexec_b32 s28, s13
	s_cbranch_execnz .LBB4_2772
	s_branch .LBB4_2773
.LBB4_2987:                             ;   in Loop: Header=BB4_2641 Depth=2
	s_or_saveexec_b32 s13, s13
	v_mov_b32_e32 v116, 0x7f800001
	s_xor_b32 exec_lo, exec_lo, s13
	s_cbranch_execz .LBB4_2785
.LBB4_2988:                             ;   in Loop: Header=BB4_2641 Depth=2
	v_cmp_ne_u16_sdwa s28, v15, v51 src0_sel:BYTE_3 src1_sel:DWORD
	v_mov_b32_e32 v116, 0
	s_andn2_b32 s12, s12, exec_lo
	s_and_b32 s28, s28, exec_lo
	s_or_b32 s12, s12, s28
	s_or_b32 exec_lo, exec_lo, s13
	s_and_saveexec_b32 s13, s12
	s_cbranch_execnz .LBB4_2786
	s_branch .LBB4_2787
.LBB4_2989:                             ;   in Loop: Header=BB4_2641 Depth=2
	s_or_saveexec_b32 s13, s13
	v_mov_b32_e32 v15, 0x7f800001
	s_xor_b32 exec_lo, exec_lo, s13
	s_cbranch_execz .LBB4_2791
.LBB4_2990:                             ;   in Loop: Header=BB4_2641 Depth=2
	v_cmp_ne_u16_sdwa s28, v11, v51 src0_sel:BYTE_3 src1_sel:DWORD
	v_mov_b32_e32 v15, 0
	s_andn2_b32 s12, s12, exec_lo
	s_and_b32 s28, s28, exec_lo
	s_or_b32 s12, s12, s28
	s_or_b32 exec_lo, exec_lo, s13
	s_and_saveexec_b32 s13, s12
	s_cbranch_execnz .LBB4_2792
	s_branch .LBB4_2793
.LBB4_2991:                             ;   in Loop: Header=BB4_2641 Depth=2
	s_or_saveexec_b32 s13, s13
	v_mov_b32_e32 v15, 0x7f800001
	s_xor_b32 exec_lo, exec_lo, s13
	s_cbranch_execz .LBB4_2805
.LBB4_2992:                             ;   in Loop: Header=BB4_2641 Depth=2
	v_cmp_ne_u16_sdwa s28, v16, v51 src0_sel:BYTE_0 src1_sel:DWORD
	v_mov_b32_e32 v15, 0
	s_andn2_b32 s12, s12, exec_lo
	s_and_b32 s28, s28, exec_lo
	s_or_b32 s12, s12, s28
	s_or_b32 exec_lo, exec_lo, s13
	s_and_saveexec_b32 s13, s12
	s_cbranch_execnz .LBB4_2806
	s_branch .LBB4_2807
.LBB4_2993:                             ;   in Loop: Header=BB4_2641 Depth=2
	s_or_saveexec_b32 s13, s13
	v_mov_b32_e32 v116, 0x7f800001
	s_xor_b32 exec_lo, exec_lo, s13
	s_cbranch_execz .LBB4_2811
.LBB4_2994:                             ;   in Loop: Header=BB4_2641 Depth=2
	v_cmp_ne_u16_sdwa s28, v12, v51 src0_sel:BYTE_0 src1_sel:DWORD
	v_mov_b32_e32 v116, 0
	s_andn2_b32 s12, s12, exec_lo
	s_and_b32 s28, s28, exec_lo
	s_or_b32 s12, s12, s28
	s_or_b32 exec_lo, exec_lo, s13
	s_and_saveexec_b32 s13, s12
	s_cbranch_execnz .LBB4_2812
	s_branch .LBB4_2813
.LBB4_2995:                             ;   in Loop: Header=BB4_2641 Depth=2
	s_or_saveexec_b32 s13, s13
	v_mov_b32_e32 v116, 0x7f800001
	s_xor_b32 exec_lo, exec_lo, s13
	s_cbranch_execz .LBB4_2825
.LBB4_2996:                             ;   in Loop: Header=BB4_2641 Depth=2
	v_cmp_ne_u16_sdwa s28, v16, v51 src0_sel:BYTE_1 src1_sel:DWORD
	v_mov_b32_e32 v116, 0
	s_andn2_b32 s12, s12, exec_lo
	s_and_b32 s28, s28, exec_lo
	s_or_b32 s12, s12, s28
	s_or_b32 exec_lo, exec_lo, s13
	s_and_saveexec_b32 s13, s12
	s_cbranch_execnz .LBB4_2826
	s_branch .LBB4_2827
.LBB4_2997:                             ;   in Loop: Header=BB4_2641 Depth=2
	s_or_saveexec_b32 s13, s13
	v_mov_b32_e32 v117, 0x7f800001
	s_xor_b32 exec_lo, exec_lo, s13
	s_cbranch_execz .LBB4_2831
.LBB4_2998:                             ;   in Loop: Header=BB4_2641 Depth=2
	v_cmp_ne_u16_sdwa s28, v12, v51 src0_sel:BYTE_1 src1_sel:DWORD
	v_mov_b32_e32 v117, 0
	s_andn2_b32 s12, s12, exec_lo
	s_and_b32 s28, s28, exec_lo
	s_or_b32 s12, s12, s28
	s_or_b32 exec_lo, exec_lo, s13
	s_and_saveexec_b32 s13, s12
	s_cbranch_execnz .LBB4_2832
	s_branch .LBB4_2833
.LBB4_2999:                             ;   in Loop: Header=BB4_2641 Depth=2
	s_or_saveexec_b32 s28, s28
	v_mov_b32_e32 v117, 0x7f800001
	s_xor_b32 exec_lo, exec_lo, s28
	s_cbranch_execz .LBB4_2845
.LBB4_3000:                             ;   in Loop: Header=BB4_2641 Depth=2
	v_cmp_ne_u16_e64 s12, 0, v118
	v_mov_b32_e32 v117, 0
	s_andn2_b32 s13, s13, exec_lo
	s_and_b32 s12, s12, exec_lo
	s_or_b32 s13, s13, s12
	s_or_b32 exec_lo, exec_lo, s28
	s_and_saveexec_b32 s28, s13
	s_cbranch_execnz .LBB4_2846
	s_branch .LBB4_2847
.LBB4_3001:                             ;   in Loop: Header=BB4_2641 Depth=2
	s_or_saveexec_b32 s28, s28
	v_mov_b32_e32 v118, 0x7f800001
	s_xor_b32 exec_lo, exec_lo, s28
	s_cbranch_execz .LBB4_2851
.LBB4_3002:                             ;   in Loop: Header=BB4_2641 Depth=2
	v_cmp_ne_u16_e64 s12, 0, v119
	v_mov_b32_e32 v118, 0
	s_andn2_b32 s13, s13, exec_lo
	s_and_b32 s12, s12, exec_lo
	s_or_b32 s13, s13, s12
	s_or_b32 exec_lo, exec_lo, s28
	s_and_saveexec_b32 s28, s13
	s_cbranch_execnz .LBB4_2852
	s_branch .LBB4_2853
.LBB4_3003:                             ;   in Loop: Header=BB4_2641 Depth=2
	s_or_saveexec_b32 s13, s13
	v_mov_b32_e32 v118, 0x7f800001
	s_xor_b32 exec_lo, exec_lo, s13
	s_cbranch_execz .LBB4_2865
.LBB4_3004:                             ;   in Loop: Header=BB4_2641 Depth=2
	v_cmp_ne_u16_sdwa s28, v16, v51 src0_sel:BYTE_3 src1_sel:DWORD
	v_mov_b32_e32 v118, 0
	s_andn2_b32 s12, s12, exec_lo
	s_and_b32 s28, s28, exec_lo
	s_or_b32 s12, s12, s28
	s_or_b32 exec_lo, exec_lo, s13
	s_and_saveexec_b32 s13, s12
	s_cbranch_execnz .LBB4_2866
	s_branch .LBB4_2867
.LBB4_3005:                             ;   in Loop: Header=BB4_2641 Depth=2
	s_or_saveexec_b32 s13, s13
	v_mov_b32_e32 v16, 0x7f800001
	s_xor_b32 exec_lo, exec_lo, s13
	s_cbranch_execz .LBB4_2871
.LBB4_3006:                             ;   in Loop: Header=BB4_2641 Depth=2
	v_cmp_ne_u16_sdwa s28, v12, v51 src0_sel:BYTE_3 src1_sel:DWORD
	v_mov_b32_e32 v16, 0
	s_andn2_b32 s12, s12, exec_lo
	s_and_b32 s28, s28, exec_lo
	s_or_b32 s12, s12, s28
	s_or_b32 exec_lo, exec_lo, s13
	s_and_saveexec_b32 s13, s12
	s_cbranch_execnz .LBB4_2872
	s_branch .LBB4_2873
.LBB4_3007:                             ;   in Loop: Header=BB4_2641 Depth=2
	s_or_saveexec_b32 s13, s13
	v_mov_b32_e32 v16, 0x7f800001
	s_xor_b32 exec_lo, exec_lo, s13
	s_cbranch_execz .LBB4_2885
.LBB4_3008:                             ;   in Loop: Header=BB4_2641 Depth=2
	v_cmp_ne_u16_sdwa s28, v17, v51 src0_sel:BYTE_0 src1_sel:DWORD
	v_mov_b32_e32 v16, 0
	s_andn2_b32 s12, s12, exec_lo
	s_and_b32 s28, s28, exec_lo
	s_or_b32 s12, s12, s28
	s_or_b32 exec_lo, exec_lo, s13
	s_and_saveexec_b32 s13, s12
	s_cbranch_execnz .LBB4_2886
	s_branch .LBB4_2887
.LBB4_3009:                             ;   in Loop: Header=BB4_2641 Depth=2
	s_or_saveexec_b32 s13, s13
	v_mov_b32_e32 v118, 0x7f800001
	s_xor_b32 exec_lo, exec_lo, s13
	s_cbranch_execz .LBB4_2891
.LBB4_3010:                             ;   in Loop: Header=BB4_2641 Depth=2
	v_cmp_ne_u16_sdwa s28, v13, v51 src0_sel:BYTE_0 src1_sel:DWORD
	v_mov_b32_e32 v118, 0
	s_andn2_b32 s12, s12, exec_lo
	s_and_b32 s28, s28, exec_lo
	s_or_b32 s12, s12, s28
	s_or_b32 exec_lo, exec_lo, s13
	s_and_saveexec_b32 s13, s12
	s_cbranch_execnz .LBB4_2892
	s_branch .LBB4_2893
.LBB4_3011:                             ;   in Loop: Header=BB4_2641 Depth=2
	s_or_saveexec_b32 s13, s13
	v_mov_b32_e32 v118, 0x7f800001
	s_xor_b32 exec_lo, exec_lo, s13
	s_cbranch_execz .LBB4_2905
.LBB4_3012:                             ;   in Loop: Header=BB4_2641 Depth=2
	v_cmp_ne_u16_sdwa s28, v17, v51 src0_sel:BYTE_1 src1_sel:DWORD
	v_mov_b32_e32 v118, 0
	s_andn2_b32 s12, s12, exec_lo
	s_and_b32 s28, s28, exec_lo
	s_or_b32 s12, s12, s28
	s_or_b32 exec_lo, exec_lo, s13
	s_and_saveexec_b32 s13, s12
	s_cbranch_execnz .LBB4_2906
	s_branch .LBB4_2907
.LBB4_3013:                             ;   in Loop: Header=BB4_2641 Depth=2
	s_or_saveexec_b32 s13, s13
	v_mov_b32_e32 v119, 0x7f800001
	s_xor_b32 exec_lo, exec_lo, s13
	s_cbranch_execz .LBB4_2911
.LBB4_3014:                             ;   in Loop: Header=BB4_2641 Depth=2
	v_cmp_ne_u16_sdwa s28, v13, v51 src0_sel:BYTE_1 src1_sel:DWORD
	v_mov_b32_e32 v119, 0
	s_andn2_b32 s12, s12, exec_lo
	s_and_b32 s28, s28, exec_lo
	s_or_b32 s12, s12, s28
	s_or_b32 exec_lo, exec_lo, s13
	s_and_saveexec_b32 s13, s12
	s_cbranch_execnz .LBB4_2912
	s_branch .LBB4_2913
.LBB4_3015:                             ;   in Loop: Header=BB4_2641 Depth=2
	s_or_saveexec_b32 s28, s28
	v_mov_b32_e32 v119, 0x7f800001
	s_xor_b32 exec_lo, exec_lo, s28
	s_cbranch_execz .LBB4_2925
.LBB4_3016:                             ;   in Loop: Header=BB4_2641 Depth=2
	v_cmp_ne_u16_e64 s12, 0, v40
	v_mov_b32_e32 v119, 0
	s_andn2_b32 s13, s13, exec_lo
	s_and_b32 s12, s12, exec_lo
	s_or_b32 s13, s13, s12
	s_or_b32 exec_lo, exec_lo, s28
	s_and_saveexec_b32 s28, s13
	s_cbranch_execnz .LBB4_2926
	s_branch .LBB4_2927
.LBB4_3017:                             ;   in Loop: Header=BB4_2641 Depth=2
	s_or_saveexec_b32 s28, s28
	v_mov_b32_e32 v40, 0x7f800001
	s_xor_b32 exec_lo, exec_lo, s28
	s_cbranch_execz .LBB4_2931
.LBB4_3018:                             ;   in Loop: Header=BB4_2641 Depth=2
	v_cmp_ne_u16_e64 s12, 0, v41
	v_mov_b32_e32 v40, 0
	s_andn2_b32 s13, s13, exec_lo
	s_and_b32 s12, s12, exec_lo
	s_or_b32 s13, s13, s12
	s_or_b32 exec_lo, exec_lo, s28
	s_and_saveexec_b32 s28, s13
	s_cbranch_execnz .LBB4_2932
	s_branch .LBB4_2933
.LBB4_3019:                             ;   in Loop: Header=BB4_2641 Depth=2
	s_or_saveexec_b32 s13, s13
	v_mov_b32_e32 v40, 0x7f800001
	s_xor_b32 exec_lo, exec_lo, s13
	s_cbranch_execz .LBB4_2945
.LBB4_3020:                             ;   in Loop: Header=BB4_2641 Depth=2
	v_cmp_ne_u16_sdwa s28, v17, v51 src0_sel:BYTE_3 src1_sel:DWORD
	v_mov_b32_e32 v40, 0
	s_andn2_b32 s12, s12, exec_lo
	s_and_b32 s28, s28, exec_lo
	s_or_b32 s12, s12, s28
	s_or_b32 exec_lo, exec_lo, s13
	s_and_saveexec_b32 s13, s12
	s_cbranch_execnz .LBB4_2946
	s_branch .LBB4_2947
.LBB4_3021:                             ;   in Loop: Header=BB4_2641 Depth=2
	s_or_saveexec_b32 s13, s13
	v_mov_b32_e32 v17, 0x7f800001
	s_xor_b32 exec_lo, exec_lo, s13
	s_cbranch_execz .LBB4_2951
.LBB4_3022:                             ;   in Loop: Header=BB4_2641 Depth=2
	v_cmp_ne_u16_sdwa s28, v13, v51 src0_sel:BYTE_3 src1_sel:DWORD
	v_mov_b32_e32 v17, 0
	s_andn2_b32 s12, s12, exec_lo
	s_and_b32 s28, s28, exec_lo
	s_or_b32 s12, s12, s28
	s_or_b32 exec_lo, exec_lo, s13
	s_and_saveexec_b32 s13, s12
	s_cbranch_execnz .LBB4_2952
	s_branch .LBB4_2953
.LBB4_3023:                             ;   in Loop: Header=BB4_1791 Depth=1
	s_or_b32 exec_lo, exec_lo, s27
.LBB4_3024:                             ;   in Loop: Header=BB4_1791 Depth=1
	s_or_b32 exec_lo, exec_lo, s26
	v_and_b32_e32 v10, 15, v50
	v_mov_b32_e32 v16, 0
	s_mov_b32 s13, 0
	s_mov_b32 s26, exec_lo
                                        ; implicit-def: $vgpr18
	v_cndmask_b32_e32 v17, v68, v10, vcc_lo
                                        ; implicit-def: $vgpr10
	v_cmpx_ne_u32_e32 0, v17
	s_cbranch_execz .LBB4_3026
; %bb.3025:                             ;   in Loop: Header=BB4_1791 Depth=1
	v_cmp_lt_i32_e64 s12, 0, v25
	v_and_b32_e32 v11, 0x1f0, v50
	s_mov_b32 s13, exec_lo
	v_cndmask_b32_e64 v10, 0, v82, s12
	v_cndmask_b32_e32 v11, 0, v11, vcc_lo
	v_sub_nc_u32_e32 v10, v10, v25
	v_and_or_b32 v16, 0x3ffffe00, v50, v11
	v_lshl_add_u32 v18, v10, 5, v24
	v_ashrrev_i32_e32 v10, 31, v18
	v_lshrrev_b32_e32 v10, 27, v10
	v_add_nc_u32_e32 v10, v18, v10
	v_ashrrev_i32_e32 v10, 5, v10
.LBB4_3026:                             ;   in Loop: Header=BB4_1791 Depth=1
	s_or_b32 exec_lo, exec_lo, s26
	s_and_b32 s12, s13, exec_lo
.LBB4_3027:                             ;   in Loop: Header=BB4_1791 Depth=1
	s_or_b32 exec_lo, exec_lo, s25
	s_and_saveexec_b32 s13, s12
	s_cbranch_execz .LBB4_3444
.LBB4_3028:                             ;   in Loop: Header=BB4_1791 Depth=1
	v_lshrrev_b32_e32 v11, 9, v17
	s_mov_b32 s25, exec_lo
	v_sub_nc_u32_e32 v19, v11, v10
	v_ashrrev_i32_e32 v11, 31, v18
	v_lshrrev_b32_e32 v20, 27, v11
	v_cmpx_lt_i32_e32 0, v19
	s_cbranch_execz .LBB4_3416
; %bb.3029:                             ;   in Loop: Header=BB4_1791 Depth=1
	v_add_nc_u32_e32 v11, v18, v20
	s_trap 2
	ds_read_b64 v[12:13], v0
	v_lshlrev_b32_e32 v10, 9, v10
	v_add_co_u32 v21, vcc_lo, 0x1e0, v66
	v_and_b32_e32 v11, 0xffffffe0, v11
	v_add_co_ci_u32_e64 v22, null, 0, v67, vcc_lo
	s_mov_b32 s26, 0
	v_sub_nc_u32_e32 v11, v18, v11
	v_add3_u32 v14, v16, v11, v10
	v_ashrrev_i32_e32 v15, 31, v14
	v_add_co_u32 v10, vcc_lo, v14, v64
	v_add_co_ci_u32_e64 v11, null, v15, v65, vcc_lo
	s_waitcnt lgkmcnt(0)
	v_add_co_u32 v12, vcc_lo, v12, v14
	v_add_co_ci_u32_e64 v13, null, v13, v15, vcc_lo
	v_add_co_u32 v14, vcc_lo, v21, v14
	v_add_co_ci_u32_e64 v15, null, v22, v15, vcc_lo
	s_branch .LBB4_3033
.LBB4_3030:                             ;   in Loop: Header=BB4_3033 Depth=2
	s_or_b32 exec_lo, exec_lo, s12
	v_lshrrev_b32_e32 v25, 20, v25
	v_cmp_gt_i32_e32 vcc_lo, 16, v21
	v_min_i32_e32 v66, 15, v21
	v_and_b32_sdwa v22, v22, v97 dst_sel:DWORD dst_unused:UNUSED_PAD src0_sel:BYTE_3 src1_sel:DWORD
	v_cndmask_b32_e32 v25, 7, v25, vcc_lo
	v_lshlrev_b32_e32 v66, 3, v66
	v_and_b32_e32 v69, 7, v25
	v_or_b32_e32 v21, v21, v25
	v_or3_b32 v22, v66, v22, v69
	v_cmp_ne_u32_e32 vcc_lo, 0, v21
	v_cndmask_b32_e32 v21, 0, v22, vcc_lo
.LBB4_3031:                             ;   in Loop: Header=BB4_3033 Depth=2
	s_or_b32 exec_lo, exec_lo, s28
.LBB4_3032:                             ;   in Loop: Header=BB4_3033 Depth=2
	s_or_b32 exec_lo, exec_lo, s27
	v_add_co_u32 v44, vcc_lo, 0xfffffe20, v14
	v_add_co_ci_u32_e64 v45, null, -1, v15, vcc_lo
	v_add_co_u32 v46, vcc_lo, 0xfffffe40, v14
	v_add_co_ci_u32_e64 v47, null, -1, v15, vcc_lo
	;; [unrolled: 2-line block ×5, first 2 shown]
	v_add_co_u32 v22, vcc_lo, 0xfffffec0, v14
	flat_store_byte v[44:45], v23 glc slc
	flat_store_byte v[46:47], v64 glc slc
	;; [unrolled: 1-line block ×5, first 2 shown]
	v_add_co_ci_u32_e64 v23, null, -1, v15, vcc_lo
	v_add_co_u32 v66, vcc_lo, 0xfffffee0, v14
	v_add_co_ci_u32_e64 v67, null, -1, v15, vcc_lo
	v_add_co_u32 v69, vcc_lo, 0xffffff00, v14
	;; [unrolled: 2-line block ×4, first 2 shown]
	v_add_co_ci_u32_e64 v45, null, -1, v15, vcc_lo
	flat_store_byte v[22:23], v117 glc slc
	flat_store_byte v[66:67], v40 glc slc
	;; [unrolled: 1-line block ×5, first 2 shown]
	v_add_co_u32 v22, vcc_lo, 0xffffff60, v14
	v_add_co_ci_u32_e64 v23, null, -1, v15, vcc_lo
	v_add_co_u32 v66, vcc_lo, 0xffffff80, v14
	v_add_co_ci_u32_e64 v67, null, -1, v15, vcc_lo
	;; [unrolled: 2-line block ×4, first 2 shown]
	v_add_co_u32 v116, vcc_lo, 0xffffffe0, v14
	v_sub_nc_u32_e32 v19, v19, v82
	v_add_co_ci_u32_e64 v117, null, -1, v15, vcc_lo
	v_add_co_u32 v10, vcc_lo, v10, v103
	v_add_co_ci_u32_e64 v11, null, 0, v11, vcc_lo
	v_add_co_u32 v12, vcc_lo, v12, v103
	flat_store_byte v[22:23], v115 glc slc
	flat_store_byte v[66:67], v71 glc slc
	;; [unrolled: 1-line block ×6, first 2 shown]
	v_add_co_ci_u32_e64 v13, null, 0, v13, vcc_lo
	v_cmp_gt_i32_e32 vcc_lo, 1, v19
	v_add_co_u32 v14, s12, v14, v103
	v_add_co_ci_u32_e64 v15, null, 0, v15, s12
	s_or_b32 s26, vcc_lo, s26
	s_andn2_b32 exec_lo, exec_lo, s26
	s_cbranch_execz .LBB4_3415
.LBB4_3033:                             ;   Parent Loop BB4_1791 Depth=1
                                        ; =>  This Inner Loop Header: Depth=2
	s_clause 0xf
	flat_load_ubyte v60, v[10:11] slc
	flat_load_ubyte v58, v[10:11] offset:32 slc
	flat_load_ubyte v57, v[10:11] offset:64 slc
	;; [unrolled: 1-line block ×15, first 2 shown]
	s_clause 0xf
	flat_load_ubyte v23, v[12:13] slc
	flat_load_ubyte v64, v[12:13] offset:32 slc
	flat_load_ubyte v67, v[12:13] offset:64 slc
	;; [unrolled: 1-line block ×15, first 2 shown]
	s_mov_b32 s12, 0
	s_mov_b32 s27, exec_lo
	s_waitcnt vmcnt(31) lgkmcnt(31)
	v_cmpx_lt_i16_e32 0x7f, v60
	s_xor_b32 s27, exec_lo, s27
	s_cbranch_execz .LBB4_3351
; %bb.3034:                             ;   in Loop: Header=BB4_3033 Depth=2
	s_mov_b32 s12, -1
	s_mov_b32 s28, exec_lo
	v_cmpx_eq_u16_e32 0x80, v60
; %bb.3035:                             ;   in Loop: Header=BB4_3033 Depth=2
	s_xor_b32 s12, exec_lo, -1
; %bb.3036:                             ;   in Loop: Header=BB4_3033 Depth=2
	s_or_b32 exec_lo, exec_lo, s28
	s_and_b32 s12, s12, exec_lo
	s_or_saveexec_b32 s27, s27
	v_mov_b32_e32 v59, 0x7f800001
	s_xor_b32 exec_lo, exec_lo, s27
	s_cbranch_execnz .LBB4_3352
.LBB4_3037:                             ;   in Loop: Header=BB4_3033 Depth=2
	s_or_b32 exec_lo, exec_lo, s27
	s_and_saveexec_b32 s27, s12
	s_cbranch_execz .LBB4_3039
.LBB4_3038:                             ;   in Loop: Header=BB4_3033 Depth=2
	v_and_b32_e32 v59, 0xffff, v60
	v_lshlrev_b32_e32 v60, 24, v60
	v_and_b32_e32 v61, 7, v59
	v_bfe_u32 v72, v59, 3, 4
	v_and_b32_e32 v60, 0x80000000, v60
	v_ffbh_u32_e32 v62, v61
	v_cmp_eq_u32_e32 vcc_lo, 0, v72
	v_min_u32_e32 v62, 32, v62
	v_subrev_nc_u32_e32 v63, 28, v62
	v_sub_nc_u32_e32 v62, 29, v62
	v_lshlrev_b32_e32 v59, v63, v59
	v_cndmask_b32_e32 v62, v72, v62, vcc_lo
	v_and_b32_e32 v59, 7, v59
	v_cndmask_b32_e32 v59, v61, v59, vcc_lo
	v_lshl_add_u32 v61, v62, 23, 0x3b800000
	v_lshlrev_b32_e32 v59, 20, v59
	v_or3_b32 v59, v60, v61, v59
.LBB4_3039:                             ;   in Loop: Header=BB4_3033 Depth=2
	s_or_b32 exec_lo, exec_lo, s27
	s_waitcnt vmcnt(15) lgkmcnt(15)
	v_cmp_gt_i16_sdwa s27, v23, v96 src0_sel:BYTE_0 src1_sel:DWORD
	s_mov_b32 s12, 0
	s_and_saveexec_b32 s28, s27
	s_xor_b32 s27, exec_lo, s28
	s_cbranch_execz .LBB4_3353
; %bb.3040:                             ;   in Loop: Header=BB4_3033 Depth=2
	v_cmp_eq_u16_sdwa s29, v23, v97 src0_sel:BYTE_0 src1_sel:DWORD
	s_mov_b32 s12, -1
	s_and_saveexec_b32 s28, s29
; %bb.3041:                             ;   in Loop: Header=BB4_3033 Depth=2
	s_xor_b32 s12, exec_lo, -1
; %bb.3042:                             ;   in Loop: Header=BB4_3033 Depth=2
	s_or_b32 exec_lo, exec_lo, s28
	s_and_b32 s12, s12, exec_lo
	s_or_saveexec_b32 s27, s27
	v_mov_b32_e32 v60, 0x7f800001
	s_xor_b32 exec_lo, exec_lo, s27
	s_cbranch_execnz .LBB4_3354
.LBB4_3043:                             ;   in Loop: Header=BB4_3033 Depth=2
	s_or_b32 exec_lo, exec_lo, s27
	s_and_saveexec_b32 s27, s12
	s_cbranch_execz .LBB4_3045
.LBB4_3044:                             ;   in Loop: Header=BB4_3033 Depth=2
	v_and_b32_e32 v60, 7, v23
	v_lshrrev_b16 v62, 3, v23
	v_ffbh_u32_e32 v61, v60
	v_and_b32_e32 v62, 15, v62
	v_min_u32_e32 v61, 32, v61
	v_cmp_eq_u32_e32 vcc_lo, 0, v62
	v_subrev_nc_u32_e32 v63, 28, v61
	v_sub_nc_u32_e32 v61, 29, v61
	v_lshlrev_b32_e32 v63, v63, v23
	v_lshlrev_b32_e32 v23, 24, v23
	v_cndmask_b32_e32 v61, v62, v61, vcc_lo
	v_and_b32_e32 v63, 7, v63
	v_and_b32_e32 v23, 0x80000000, v23
	v_lshl_add_u32 v61, v61, 23, 0x3b800000
	v_cndmask_b32_e32 v60, v60, v63, vcc_lo
	v_lshlrev_b32_e32 v60, 20, v60
	v_or3_b32 v60, v23, v61, v60
.LBB4_3045:                             ;   in Loop: Header=BB4_3033 Depth=2
	s_or_b32 exec_lo, exec_lo, s27
	v_add_f32_e32 v59, v59, v60
	v_and_b32_e32 v23, 0x7f800000, v59
	v_cmp_ne_u32_e32 vcc_lo, 0x7f800000, v23
	v_mov_b32_e32 v23, 0x80
	s_and_saveexec_b32 s27, vcc_lo
	s_cbranch_execz .LBB4_3053
; %bb.3046:                             ;   in Loop: Header=BB4_3033 Depth=2
	v_mov_b32_e32 v23, 0
	s_mov_b32 s28, exec_lo
	v_cmpx_ne_u32_e32 0, v59
	s_cbranch_execz .LBB4_3052
; %bb.3047:                             ;   in Loop: Header=BB4_3033 Depth=2
	v_bfe_u32 v23, v59, 23, 8
	v_and_b32_e32 v60, 0x7fffff, v59
	v_sub_nc_u32_e32 v61, 0x78, v23
	v_cmp_gt_u32_e32 vcc_lo, 0x79, v23
	v_or_b32_e32 v62, 0x800000, v60
	v_cndmask_b32_e32 v61, 0, v61, vcc_lo
	v_cmp_eq_u32_e32 vcc_lo, 0, v23
	v_add_nc_u32_e32 v23, 0xffffff89, v23
	v_cndmask_b32_e64 v61, v61, 0x77, vcc_lo
	v_cndmask_b32_e32 v60, v62, v60, vcc_lo
	v_cndmask_b32_e64 v23, v23, 0xffffff8a, vcc_lo
	v_lshl_add_u32 v62, 0x100000, v61, -1
	v_lshrrev_b32_e32 v63, v61, v60
	v_lshlrev_b32_e64 v73, v61, 0x80000
	v_add_nc_u32_e32 v61, v61, v23
	v_and_b32_e32 v60, v62, v60
	v_bfe_u32 v72, v63, 20, 1
	v_cmp_eq_u32_e64 s12, v60, v73
	v_add_nc_u32_e32 v62, -1, v72
	v_cndmask_b32_e64 v60, 0, v62, s12
	v_lshrrev_b32_e32 v62, 23, v63
	s_mov_b32 s12, exec_lo
	v_add_nc_u32_e32 v60, v60, v63
	v_xor_b32_e32 v62, 1, v62
	v_and_b32_e32 v23, 0xfffff, v60
	v_add_nc_u32_e32 v60, v23, v63
                                        ; implicit-def: $vgpr23
	v_cmpx_ne_u32_e64 v61, v62
	s_xor_b32 s12, exec_lo, s12
; %bb.3048:                             ;   in Loop: Header=BB4_3033 Depth=2
	v_cmp_lt_u32_e32 vcc_lo, 0xffffff, v60
	v_sub_nc_u32_e32 v23, v61, v62
	v_cndmask_b32_e64 v61, 0, 1, vcc_lo
	v_add_co_ci_u32_e64 v23, null, 0, v23, vcc_lo
	v_lshrrev_b32_e32 v60, v61, v60
; %bb.3049:                             ;   in Loop: Header=BB4_3033 Depth=2
	s_andn2_saveexec_b32 s12, s12
; %bb.3050:                             ;   in Loop: Header=BB4_3033 Depth=2
	v_bfe_u32 v23, v60, 23, 1
; %bb.3051:                             ;   in Loop: Header=BB4_3033 Depth=2
	s_or_b32 exec_lo, exec_lo, s12
	v_lshrrev_b32_e32 v60, 20, v60
	v_cmp_gt_i32_e32 vcc_lo, 16, v23
	v_min_i32_e32 v61, 15, v23
	v_and_b32_sdwa v59, v59, v97 dst_sel:DWORD dst_unused:UNUSED_PAD src0_sel:BYTE_3 src1_sel:DWORD
	v_cndmask_b32_e32 v60, 7, v60, vcc_lo
	v_lshlrev_b32_e32 v61, 3, v61
	v_and_b32_e32 v62, 7, v60
	v_or_b32_e32 v23, v23, v60
	v_or3_b32 v59, v61, v59, v62
	v_cmp_ne_u32_e32 vcc_lo, 0, v23
	v_cndmask_b32_e32 v23, 0, v59, vcc_lo
.LBB4_3052:                             ;   in Loop: Header=BB4_3033 Depth=2
	s_or_b32 exec_lo, exec_lo, s28
.LBB4_3053:                             ;   in Loop: Header=BB4_3033 Depth=2
	s_or_b32 exec_lo, exec_lo, s27
	v_cmp_gt_i16_sdwa s27, v58, v96 src0_sel:BYTE_0 src1_sel:DWORD
	s_mov_b32 s12, 0
	s_and_saveexec_b32 s28, s27
	s_xor_b32 s27, exec_lo, s28
	s_cbranch_execz .LBB4_3355
; %bb.3054:                             ;   in Loop: Header=BB4_3033 Depth=2
	v_cmp_eq_u16_sdwa s29, v58, v97 src0_sel:BYTE_0 src1_sel:DWORD
	s_mov_b32 s12, -1
	s_and_saveexec_b32 s28, s29
; %bb.3055:                             ;   in Loop: Header=BB4_3033 Depth=2
	s_xor_b32 s12, exec_lo, -1
; %bb.3056:                             ;   in Loop: Header=BB4_3033 Depth=2
	s_or_b32 exec_lo, exec_lo, s28
	s_and_b32 s12, s12, exec_lo
	s_or_saveexec_b32 s27, s27
	v_mov_b32_e32 v59, 0x7f800001
	s_xor_b32 exec_lo, exec_lo, s27
	s_cbranch_execnz .LBB4_3356
.LBB4_3057:                             ;   in Loop: Header=BB4_3033 Depth=2
	s_or_b32 exec_lo, exec_lo, s27
	s_and_saveexec_b32 s27, s12
	s_cbranch_execz .LBB4_3059
.LBB4_3058:                             ;   in Loop: Header=BB4_3033 Depth=2
	v_and_b32_e32 v59, 7, v58
	v_lshrrev_b16 v61, 3, v58
	v_ffbh_u32_e32 v60, v59
	v_and_b32_e32 v61, 15, v61
	v_min_u32_e32 v60, 32, v60
	v_cmp_eq_u32_e32 vcc_lo, 0, v61
	v_subrev_nc_u32_e32 v62, 28, v60
	v_sub_nc_u32_e32 v60, 29, v60
	v_lshlrev_b32_e32 v62, v62, v58
	v_lshlrev_b32_e32 v58, 24, v58
	v_cndmask_b32_e32 v60, v61, v60, vcc_lo
	v_and_b32_e32 v62, 7, v62
	v_and_b32_e32 v58, 0x80000000, v58
	v_lshl_add_u32 v60, v60, 23, 0x3b800000
	v_cndmask_b32_e32 v59, v59, v62, vcc_lo
	v_lshlrev_b32_e32 v59, 20, v59
	v_or3_b32 v59, v58, v60, v59
.LBB4_3059:                             ;   in Loop: Header=BB4_3033 Depth=2
	s_or_b32 exec_lo, exec_lo, s27
	s_waitcnt vmcnt(14) lgkmcnt(14)
	v_cmp_gt_i16_sdwa s27, v64, v96 src0_sel:BYTE_0 src1_sel:DWORD
	s_mov_b32 s12, 0
	s_and_saveexec_b32 s28, s27
	s_xor_b32 s27, exec_lo, s28
	s_cbranch_execz .LBB4_3357
; %bb.3060:                             ;   in Loop: Header=BB4_3033 Depth=2
	v_cmp_eq_u16_sdwa s29, v64, v97 src0_sel:BYTE_0 src1_sel:DWORD
	s_mov_b32 s12, -1
	s_and_saveexec_b32 s28, s29
; %bb.3061:                             ;   in Loop: Header=BB4_3033 Depth=2
	s_xor_b32 s12, exec_lo, -1
; %bb.3062:                             ;   in Loop: Header=BB4_3033 Depth=2
	s_or_b32 exec_lo, exec_lo, s28
	s_and_b32 s12, s12, exec_lo
	s_or_saveexec_b32 s27, s27
	v_mov_b32_e32 v58, 0x7f800001
	s_xor_b32 exec_lo, exec_lo, s27
	s_cbranch_execnz .LBB4_3358
.LBB4_3063:                             ;   in Loop: Header=BB4_3033 Depth=2
	s_or_b32 exec_lo, exec_lo, s27
	s_and_saveexec_b32 s27, s12
	s_cbranch_execz .LBB4_3065
.LBB4_3064:                             ;   in Loop: Header=BB4_3033 Depth=2
	v_and_b32_e32 v58, 7, v64
	v_lshrrev_b16 v61, 3, v64
	v_ffbh_u32_e32 v60, v58
	v_and_b32_e32 v61, 15, v61
	v_min_u32_e32 v60, 32, v60
	v_cmp_eq_u32_e32 vcc_lo, 0, v61
	v_subrev_nc_u32_e32 v62, 28, v60
	v_sub_nc_u32_e32 v60, 29, v60
	v_lshlrev_b32_e32 v62, v62, v64
	v_lshlrev_b32_e32 v64, 24, v64
	v_cndmask_b32_e32 v60, v61, v60, vcc_lo
	v_and_b32_e32 v62, 7, v62
	v_and_b32_e32 v64, 0x80000000, v64
	v_lshl_add_u32 v60, v60, 23, 0x3b800000
	v_cndmask_b32_e32 v58, v58, v62, vcc_lo
	v_lshlrev_b32_e32 v58, 20, v58
	v_or3_b32 v58, v64, v60, v58
.LBB4_3065:                             ;   in Loop: Header=BB4_3033 Depth=2
	s_or_b32 exec_lo, exec_lo, s27
	v_add_f32_e32 v58, v59, v58
	v_and_b32_e32 v64, 0x7f800000, v58
	v_cmp_ne_u32_e32 vcc_lo, 0x7f800000, v64
	v_mov_b32_e32 v64, 0x80
	s_and_saveexec_b32 s27, vcc_lo
	s_cbranch_execz .LBB4_3073
; %bb.3066:                             ;   in Loop: Header=BB4_3033 Depth=2
	v_mov_b32_e32 v64, 0
	s_mov_b32 s28, exec_lo
	v_cmpx_ne_u32_e32 0, v58
	s_cbranch_execz .LBB4_3072
; %bb.3067:                             ;   in Loop: Header=BB4_3033 Depth=2
	v_bfe_u32 v64, v58, 23, 8
	v_and_b32_e32 v59, 0x7fffff, v58
	v_sub_nc_u32_e32 v60, 0x78, v64
	v_cmp_gt_u32_e32 vcc_lo, 0x79, v64
	v_or_b32_e32 v61, 0x800000, v59
	v_cndmask_b32_e32 v60, 0, v60, vcc_lo
	v_cmp_eq_u32_e32 vcc_lo, 0, v64
	v_add_nc_u32_e32 v64, 0xffffff89, v64
	v_cndmask_b32_e64 v60, v60, 0x77, vcc_lo
	v_cndmask_b32_e32 v59, v61, v59, vcc_lo
	v_cndmask_b32_e64 v64, v64, 0xffffff8a, vcc_lo
	v_lshl_add_u32 v61, 0x100000, v60, -1
	v_lshrrev_b32_e32 v62, v60, v59
	v_lshlrev_b32_e64 v72, v60, 0x80000
	v_add_nc_u32_e32 v60, v60, v64
	v_and_b32_e32 v59, v61, v59
	v_bfe_u32 v63, v62, 20, 1
	v_cmp_eq_u32_e64 s12, v59, v72
	v_add_nc_u32_e32 v61, -1, v63
	v_cndmask_b32_e64 v59, 0, v61, s12
	v_lshrrev_b32_e32 v61, 23, v62
	s_mov_b32 s12, exec_lo
	v_add_nc_u32_e32 v59, v59, v62
	v_xor_b32_e32 v61, 1, v61
	v_and_b32_e32 v64, 0xfffff, v59
	v_add_nc_u32_e32 v59, v64, v62
                                        ; implicit-def: $vgpr64
	v_cmpx_ne_u32_e64 v60, v61
	s_xor_b32 s12, exec_lo, s12
; %bb.3068:                             ;   in Loop: Header=BB4_3033 Depth=2
	v_cmp_lt_u32_e32 vcc_lo, 0xffffff, v59
	v_sub_nc_u32_e32 v64, v60, v61
	v_cndmask_b32_e64 v60, 0, 1, vcc_lo
	v_add_co_ci_u32_e64 v64, null, 0, v64, vcc_lo
	v_lshrrev_b32_e32 v59, v60, v59
; %bb.3069:                             ;   in Loop: Header=BB4_3033 Depth=2
	s_andn2_saveexec_b32 s12, s12
; %bb.3070:                             ;   in Loop: Header=BB4_3033 Depth=2
	v_bfe_u32 v64, v59, 23, 1
; %bb.3071:                             ;   in Loop: Header=BB4_3033 Depth=2
	s_or_b32 exec_lo, exec_lo, s12
	v_lshrrev_b32_e32 v59, 20, v59
	v_cmp_gt_i32_e32 vcc_lo, 16, v64
	v_min_i32_e32 v60, 15, v64
	v_and_b32_sdwa v58, v58, v97 dst_sel:DWORD dst_unused:UNUSED_PAD src0_sel:BYTE_3 src1_sel:DWORD
	v_cndmask_b32_e32 v59, 7, v59, vcc_lo
	v_lshlrev_b32_e32 v60, 3, v60
	v_and_b32_e32 v61, 7, v59
	v_or_b32_e32 v64, v64, v59
	v_or3_b32 v58, v60, v58, v61
	v_cmp_ne_u32_e32 vcc_lo, 0, v64
	v_cndmask_b32_e32 v64, 0, v58, vcc_lo
.LBB4_3072:                             ;   in Loop: Header=BB4_3033 Depth=2
	s_or_b32 exec_lo, exec_lo, s28
.LBB4_3073:                             ;   in Loop: Header=BB4_3033 Depth=2
	s_or_b32 exec_lo, exec_lo, s27
	v_cmp_gt_i16_sdwa s27, v57, v96 src0_sel:BYTE_0 src1_sel:DWORD
	s_mov_b32 s12, 0
	s_and_saveexec_b32 s28, s27
	s_xor_b32 s27, exec_lo, s28
	s_cbranch_execz .LBB4_3359
; %bb.3074:                             ;   in Loop: Header=BB4_3033 Depth=2
	v_cmp_eq_u16_sdwa s29, v57, v97 src0_sel:BYTE_0 src1_sel:DWORD
	s_mov_b32 s12, -1
	s_and_saveexec_b32 s28, s29
; %bb.3075:                             ;   in Loop: Header=BB4_3033 Depth=2
	s_xor_b32 s12, exec_lo, -1
; %bb.3076:                             ;   in Loop: Header=BB4_3033 Depth=2
	s_or_b32 exec_lo, exec_lo, s28
	s_and_b32 s12, s12, exec_lo
	s_or_saveexec_b32 s27, s27
	v_mov_b32_e32 v58, 0x7f800001
	s_xor_b32 exec_lo, exec_lo, s27
	s_cbranch_execnz .LBB4_3360
.LBB4_3077:                             ;   in Loop: Header=BB4_3033 Depth=2
	s_or_b32 exec_lo, exec_lo, s27
	s_and_saveexec_b32 s27, s12
	s_cbranch_execz .LBB4_3079
.LBB4_3078:                             ;   in Loop: Header=BB4_3033 Depth=2
	v_and_b32_e32 v58, 7, v57
	v_lshrrev_b16 v60, 3, v57
	v_ffbh_u32_e32 v59, v58
	v_and_b32_e32 v60, 15, v60
	v_min_u32_e32 v59, 32, v59
	v_cmp_eq_u32_e32 vcc_lo, 0, v60
	v_subrev_nc_u32_e32 v61, 28, v59
	v_sub_nc_u32_e32 v59, 29, v59
	v_lshlrev_b32_e32 v61, v61, v57
	v_lshlrev_b32_e32 v57, 24, v57
	v_cndmask_b32_e32 v59, v60, v59, vcc_lo
	v_and_b32_e32 v61, 7, v61
	v_and_b32_e32 v57, 0x80000000, v57
	v_lshl_add_u32 v59, v59, 23, 0x3b800000
	v_cndmask_b32_e32 v58, v58, v61, vcc_lo
	v_lshlrev_b32_e32 v58, 20, v58
	v_or3_b32 v58, v57, v59, v58
.LBB4_3079:                             ;   in Loop: Header=BB4_3033 Depth=2
	s_or_b32 exec_lo, exec_lo, s27
	s_waitcnt vmcnt(13) lgkmcnt(13)
	v_cmp_gt_i16_sdwa s27, v67, v96 src0_sel:BYTE_0 src1_sel:DWORD
	s_mov_b32 s12, 0
	s_and_saveexec_b32 s28, s27
	s_xor_b32 s27, exec_lo, s28
	s_cbranch_execz .LBB4_3361
; %bb.3080:                             ;   in Loop: Header=BB4_3033 Depth=2
	v_cmp_eq_u16_sdwa s29, v67, v97 src0_sel:BYTE_0 src1_sel:DWORD
	s_mov_b32 s12, -1
	s_and_saveexec_b32 s28, s29
; %bb.3081:                             ;   in Loop: Header=BB4_3033 Depth=2
	s_xor_b32 s12, exec_lo, -1
; %bb.3082:                             ;   in Loop: Header=BB4_3033 Depth=2
	s_or_b32 exec_lo, exec_lo, s28
	s_and_b32 s12, s12, exec_lo
	s_or_saveexec_b32 s27, s27
	v_mov_b32_e32 v57, 0x7f800001
	s_xor_b32 exec_lo, exec_lo, s27
	s_cbranch_execnz .LBB4_3362
.LBB4_3083:                             ;   in Loop: Header=BB4_3033 Depth=2
	s_or_b32 exec_lo, exec_lo, s27
	s_and_saveexec_b32 s27, s12
	s_cbranch_execz .LBB4_3085
.LBB4_3084:                             ;   in Loop: Header=BB4_3033 Depth=2
	v_and_b32_e32 v57, 7, v67
	v_lshrrev_b16 v60, 3, v67
	v_ffbh_u32_e32 v59, v57
	v_and_b32_e32 v60, 15, v60
	v_min_u32_e32 v59, 32, v59
	v_cmp_eq_u32_e32 vcc_lo, 0, v60
	v_subrev_nc_u32_e32 v61, 28, v59
	v_sub_nc_u32_e32 v59, 29, v59
	v_lshlrev_b32_e32 v61, v61, v67
	v_lshlrev_b32_e32 v67, 24, v67
	v_cndmask_b32_e32 v59, v60, v59, vcc_lo
	v_and_b32_e32 v61, 7, v61
	v_and_b32_e32 v67, 0x80000000, v67
	v_lshl_add_u32 v59, v59, 23, 0x3b800000
	v_cndmask_b32_e32 v57, v57, v61, vcc_lo
	v_lshlrev_b32_e32 v57, 20, v57
	v_or3_b32 v57, v67, v59, v57
.LBB4_3085:                             ;   in Loop: Header=BB4_3033 Depth=2
	s_or_b32 exec_lo, exec_lo, s27
	v_add_f32_e32 v57, v58, v57
	v_and_b32_e32 v67, 0x7f800000, v57
	v_cmp_ne_u32_e32 vcc_lo, 0x7f800000, v67
	v_mov_b32_e32 v67, 0x80
	s_and_saveexec_b32 s27, vcc_lo
	s_cbranch_execz .LBB4_3093
; %bb.3086:                             ;   in Loop: Header=BB4_3033 Depth=2
	v_mov_b32_e32 v67, 0
	s_mov_b32 s28, exec_lo
	v_cmpx_ne_u32_e32 0, v57
	s_cbranch_execz .LBB4_3092
; %bb.3087:                             ;   in Loop: Header=BB4_3033 Depth=2
	v_bfe_u32 v67, v57, 23, 8
	v_and_b32_e32 v58, 0x7fffff, v57
	v_sub_nc_u32_e32 v59, 0x78, v67
	v_cmp_gt_u32_e32 vcc_lo, 0x79, v67
	v_or_b32_e32 v60, 0x800000, v58
	v_cndmask_b32_e32 v59, 0, v59, vcc_lo
	v_cmp_eq_u32_e32 vcc_lo, 0, v67
	v_add_nc_u32_e32 v67, 0xffffff89, v67
	v_cndmask_b32_e64 v59, v59, 0x77, vcc_lo
	v_cndmask_b32_e32 v58, v60, v58, vcc_lo
	v_cndmask_b32_e64 v67, v67, 0xffffff8a, vcc_lo
	v_lshl_add_u32 v60, 0x100000, v59, -1
	v_lshrrev_b32_e32 v61, v59, v58
	v_lshlrev_b32_e64 v63, v59, 0x80000
	v_add_nc_u32_e32 v59, v59, v67
	v_and_b32_e32 v58, v60, v58
	v_bfe_u32 v62, v61, 20, 1
	v_cmp_eq_u32_e64 s12, v58, v63
	v_add_nc_u32_e32 v60, -1, v62
	v_cndmask_b32_e64 v58, 0, v60, s12
	v_lshrrev_b32_e32 v60, 23, v61
	s_mov_b32 s12, exec_lo
	v_add_nc_u32_e32 v58, v58, v61
	v_xor_b32_e32 v60, 1, v60
	v_and_b32_e32 v67, 0xfffff, v58
	v_add_nc_u32_e32 v58, v67, v61
                                        ; implicit-def: $vgpr67
	v_cmpx_ne_u32_e64 v59, v60
	s_xor_b32 s12, exec_lo, s12
; %bb.3088:                             ;   in Loop: Header=BB4_3033 Depth=2
	v_cmp_lt_u32_e32 vcc_lo, 0xffffff, v58
	v_sub_nc_u32_e32 v67, v59, v60
	v_cndmask_b32_e64 v59, 0, 1, vcc_lo
	v_add_co_ci_u32_e64 v67, null, 0, v67, vcc_lo
	v_lshrrev_b32_e32 v58, v59, v58
; %bb.3089:                             ;   in Loop: Header=BB4_3033 Depth=2
	s_andn2_saveexec_b32 s12, s12
; %bb.3090:                             ;   in Loop: Header=BB4_3033 Depth=2
	v_bfe_u32 v67, v58, 23, 1
; %bb.3091:                             ;   in Loop: Header=BB4_3033 Depth=2
	s_or_b32 exec_lo, exec_lo, s12
	v_lshrrev_b32_e32 v58, 20, v58
	v_cmp_gt_i32_e32 vcc_lo, 16, v67
	v_min_i32_e32 v59, 15, v67
	v_and_b32_sdwa v57, v57, v97 dst_sel:DWORD dst_unused:UNUSED_PAD src0_sel:BYTE_3 src1_sel:DWORD
	v_cndmask_b32_e32 v58, 7, v58, vcc_lo
	v_lshlrev_b32_e32 v59, 3, v59
	v_and_b32_e32 v60, 7, v58
	v_or_b32_e32 v67, v67, v58
	v_or3_b32 v57, v59, v57, v60
	v_cmp_ne_u32_e32 vcc_lo, 0, v67
	v_cndmask_b32_e32 v67, 0, v57, vcc_lo
.LBB4_3092:                             ;   in Loop: Header=BB4_3033 Depth=2
	s_or_b32 exec_lo, exec_lo, s28
.LBB4_3093:                             ;   in Loop: Header=BB4_3033 Depth=2
	s_or_b32 exec_lo, exec_lo, s27
	v_cmp_gt_i16_sdwa s27, v56, v96 src0_sel:BYTE_0 src1_sel:DWORD
	s_mov_b32 s12, 0
	s_and_saveexec_b32 s28, s27
	s_xor_b32 s27, exec_lo, s28
	s_cbranch_execz .LBB4_3363
; %bb.3094:                             ;   in Loop: Header=BB4_3033 Depth=2
	v_cmp_eq_u16_sdwa s29, v56, v97 src0_sel:BYTE_0 src1_sel:DWORD
	s_mov_b32 s12, -1
	s_and_saveexec_b32 s28, s29
; %bb.3095:                             ;   in Loop: Header=BB4_3033 Depth=2
	s_xor_b32 s12, exec_lo, -1
; %bb.3096:                             ;   in Loop: Header=BB4_3033 Depth=2
	s_or_b32 exec_lo, exec_lo, s28
	s_and_b32 s12, s12, exec_lo
	s_or_saveexec_b32 s27, s27
	v_mov_b32_e32 v57, 0x7f800001
	s_xor_b32 exec_lo, exec_lo, s27
	s_cbranch_execnz .LBB4_3364
.LBB4_3097:                             ;   in Loop: Header=BB4_3033 Depth=2
	s_or_b32 exec_lo, exec_lo, s27
	s_and_saveexec_b32 s27, s12
	s_cbranch_execz .LBB4_3099
.LBB4_3098:                             ;   in Loop: Header=BB4_3033 Depth=2
	v_and_b32_e32 v57, 7, v56
	v_lshrrev_b16 v59, 3, v56
	v_ffbh_u32_e32 v58, v57
	v_and_b32_e32 v59, 15, v59
	v_min_u32_e32 v58, 32, v58
	v_cmp_eq_u32_e32 vcc_lo, 0, v59
	v_subrev_nc_u32_e32 v60, 28, v58
	v_sub_nc_u32_e32 v58, 29, v58
	v_lshlrev_b32_e32 v60, v60, v56
	v_lshlrev_b32_e32 v56, 24, v56
	v_cndmask_b32_e32 v58, v59, v58, vcc_lo
	v_and_b32_e32 v60, 7, v60
	v_and_b32_e32 v56, 0x80000000, v56
	v_lshl_add_u32 v58, v58, 23, 0x3b800000
	v_cndmask_b32_e32 v57, v57, v60, vcc_lo
	v_lshlrev_b32_e32 v57, 20, v57
	v_or3_b32 v57, v56, v58, v57
.LBB4_3099:                             ;   in Loop: Header=BB4_3033 Depth=2
	s_or_b32 exec_lo, exec_lo, s27
	s_waitcnt vmcnt(12) lgkmcnt(12)
	v_cmp_gt_i16_sdwa s27, v70, v96 src0_sel:BYTE_0 src1_sel:DWORD
	s_mov_b32 s12, 0
	s_and_saveexec_b32 s28, s27
	s_xor_b32 s27, exec_lo, s28
	s_cbranch_execz .LBB4_3365
; %bb.3100:                             ;   in Loop: Header=BB4_3033 Depth=2
	v_cmp_eq_u16_sdwa s29, v70, v97 src0_sel:BYTE_0 src1_sel:DWORD
	s_mov_b32 s12, -1
	s_and_saveexec_b32 s28, s29
; %bb.3101:                             ;   in Loop: Header=BB4_3033 Depth=2
	s_xor_b32 s12, exec_lo, -1
; %bb.3102:                             ;   in Loop: Header=BB4_3033 Depth=2
	s_or_b32 exec_lo, exec_lo, s28
	s_and_b32 s12, s12, exec_lo
	s_or_saveexec_b32 s27, s27
	v_mov_b32_e32 v56, 0x7f800001
	s_xor_b32 exec_lo, exec_lo, s27
	s_cbranch_execnz .LBB4_3366
.LBB4_3103:                             ;   in Loop: Header=BB4_3033 Depth=2
	s_or_b32 exec_lo, exec_lo, s27
	s_and_saveexec_b32 s27, s12
	s_cbranch_execz .LBB4_3105
.LBB4_3104:                             ;   in Loop: Header=BB4_3033 Depth=2
	v_and_b32_e32 v56, 7, v70
	v_lshrrev_b16 v59, 3, v70
	v_ffbh_u32_e32 v58, v56
	v_and_b32_e32 v59, 15, v59
	v_min_u32_e32 v58, 32, v58
	v_cmp_eq_u32_e32 vcc_lo, 0, v59
	v_subrev_nc_u32_e32 v60, 28, v58
	v_sub_nc_u32_e32 v58, 29, v58
	v_lshlrev_b32_e32 v60, v60, v70
	v_lshlrev_b32_e32 v70, 24, v70
	v_cndmask_b32_e32 v58, v59, v58, vcc_lo
	v_and_b32_e32 v60, 7, v60
	v_and_b32_e32 v70, 0x80000000, v70
	v_lshl_add_u32 v58, v58, 23, 0x3b800000
	v_cndmask_b32_e32 v56, v56, v60, vcc_lo
	v_lshlrev_b32_e32 v56, 20, v56
	v_or3_b32 v56, v70, v58, v56
.LBB4_3105:                             ;   in Loop: Header=BB4_3033 Depth=2
	s_or_b32 exec_lo, exec_lo, s27
	v_add_f32_e32 v56, v57, v56
	v_and_b32_e32 v70, 0x7f800000, v56
	v_cmp_ne_u32_e32 vcc_lo, 0x7f800000, v70
	v_mov_b32_e32 v70, 0x80
	s_and_saveexec_b32 s27, vcc_lo
	s_cbranch_execz .LBB4_3113
; %bb.3106:                             ;   in Loop: Header=BB4_3033 Depth=2
	v_mov_b32_e32 v70, 0
	s_mov_b32 s28, exec_lo
	v_cmpx_ne_u32_e32 0, v56
	s_cbranch_execz .LBB4_3112
; %bb.3107:                             ;   in Loop: Header=BB4_3033 Depth=2
	v_bfe_u32 v70, v56, 23, 8
	v_and_b32_e32 v57, 0x7fffff, v56
	v_sub_nc_u32_e32 v58, 0x78, v70
	v_cmp_gt_u32_e32 vcc_lo, 0x79, v70
	v_or_b32_e32 v59, 0x800000, v57
	v_cndmask_b32_e32 v58, 0, v58, vcc_lo
	v_cmp_eq_u32_e32 vcc_lo, 0, v70
	v_add_nc_u32_e32 v70, 0xffffff89, v70
	v_cndmask_b32_e64 v58, v58, 0x77, vcc_lo
	v_cndmask_b32_e32 v57, v59, v57, vcc_lo
	v_cndmask_b32_e64 v70, v70, 0xffffff8a, vcc_lo
	v_lshl_add_u32 v59, 0x100000, v58, -1
	v_lshrrev_b32_e32 v60, v58, v57
	v_lshlrev_b32_e64 v62, v58, 0x80000
	v_add_nc_u32_e32 v58, v58, v70
	v_and_b32_e32 v57, v59, v57
	v_bfe_u32 v61, v60, 20, 1
	v_cmp_eq_u32_e64 s12, v57, v62
	v_add_nc_u32_e32 v59, -1, v61
	v_cndmask_b32_e64 v57, 0, v59, s12
	v_lshrrev_b32_e32 v59, 23, v60
	s_mov_b32 s12, exec_lo
	v_add_nc_u32_e32 v57, v57, v60
	v_xor_b32_e32 v59, 1, v59
	v_and_b32_e32 v70, 0xfffff, v57
	v_add_nc_u32_e32 v57, v70, v60
                                        ; implicit-def: $vgpr70
	v_cmpx_ne_u32_e64 v58, v59
	s_xor_b32 s12, exec_lo, s12
; %bb.3108:                             ;   in Loop: Header=BB4_3033 Depth=2
	v_cmp_lt_u32_e32 vcc_lo, 0xffffff, v57
	v_sub_nc_u32_e32 v70, v58, v59
	v_cndmask_b32_e64 v58, 0, 1, vcc_lo
	v_add_co_ci_u32_e64 v70, null, 0, v70, vcc_lo
	v_lshrrev_b32_e32 v57, v58, v57
; %bb.3109:                             ;   in Loop: Header=BB4_3033 Depth=2
	s_andn2_saveexec_b32 s12, s12
; %bb.3110:                             ;   in Loop: Header=BB4_3033 Depth=2
	v_bfe_u32 v70, v57, 23, 1
; %bb.3111:                             ;   in Loop: Header=BB4_3033 Depth=2
	s_or_b32 exec_lo, exec_lo, s12
	v_lshrrev_b32_e32 v57, 20, v57
	v_cmp_gt_i32_e32 vcc_lo, 16, v70
	v_min_i32_e32 v58, 15, v70
	v_and_b32_sdwa v56, v56, v97 dst_sel:DWORD dst_unused:UNUSED_PAD src0_sel:BYTE_3 src1_sel:DWORD
	v_cndmask_b32_e32 v57, 7, v57, vcc_lo
	v_lshlrev_b32_e32 v58, 3, v58
	v_and_b32_e32 v59, 7, v57
	v_or_b32_e32 v70, v70, v57
	v_or3_b32 v56, v58, v56, v59
	v_cmp_ne_u32_e32 vcc_lo, 0, v70
	v_cndmask_b32_e32 v70, 0, v56, vcc_lo
.LBB4_3112:                             ;   in Loop: Header=BB4_3033 Depth=2
	s_or_b32 exec_lo, exec_lo, s28
.LBB4_3113:                             ;   in Loop: Header=BB4_3033 Depth=2
	s_or_b32 exec_lo, exec_lo, s27
	v_cmp_gt_i16_sdwa s27, v47, v96 src0_sel:BYTE_0 src1_sel:DWORD
	s_mov_b32 s12, 0
	s_and_saveexec_b32 s28, s27
	s_xor_b32 s27, exec_lo, s28
	s_cbranch_execz .LBB4_3367
; %bb.3114:                             ;   in Loop: Header=BB4_3033 Depth=2
	v_cmp_eq_u16_sdwa s29, v47, v97 src0_sel:BYTE_0 src1_sel:DWORD
	s_mov_b32 s12, -1
	s_and_saveexec_b32 s28, s29
; %bb.3115:                             ;   in Loop: Header=BB4_3033 Depth=2
	s_xor_b32 s12, exec_lo, -1
; %bb.3116:                             ;   in Loop: Header=BB4_3033 Depth=2
	s_or_b32 exec_lo, exec_lo, s28
	s_and_b32 s12, s12, exec_lo
	s_or_saveexec_b32 s27, s27
	v_mov_b32_e32 v56, 0x7f800001
	s_xor_b32 exec_lo, exec_lo, s27
	s_cbranch_execnz .LBB4_3368
.LBB4_3117:                             ;   in Loop: Header=BB4_3033 Depth=2
	s_or_b32 exec_lo, exec_lo, s27
	s_and_saveexec_b32 s27, s12
	s_cbranch_execz .LBB4_3119
.LBB4_3118:                             ;   in Loop: Header=BB4_3033 Depth=2
	v_and_b32_e32 v56, 7, v47
	v_lshrrev_b16 v58, 3, v47
	v_ffbh_u32_e32 v57, v56
	v_and_b32_e32 v58, 15, v58
	v_min_u32_e32 v57, 32, v57
	v_cmp_eq_u32_e32 vcc_lo, 0, v58
	v_subrev_nc_u32_e32 v59, 28, v57
	v_sub_nc_u32_e32 v57, 29, v57
	v_lshlrev_b32_e32 v59, v59, v47
	v_lshlrev_b32_e32 v47, 24, v47
	v_cndmask_b32_e32 v57, v58, v57, vcc_lo
	v_and_b32_e32 v59, 7, v59
	v_and_b32_e32 v47, 0x80000000, v47
	v_lshl_add_u32 v57, v57, 23, 0x3b800000
	v_cndmask_b32_e32 v56, v56, v59, vcc_lo
	v_lshlrev_b32_e32 v56, 20, v56
	v_or3_b32 v56, v47, v57, v56
.LBB4_3119:                             ;   in Loop: Header=BB4_3033 Depth=2
	s_or_b32 exec_lo, exec_lo, s27
	s_waitcnt vmcnt(11) lgkmcnt(11)
	v_cmp_gt_i16_sdwa s27, v81, v96 src0_sel:BYTE_0 src1_sel:DWORD
	s_mov_b32 s12, 0
	s_and_saveexec_b32 s28, s27
	s_xor_b32 s27, exec_lo, s28
	s_cbranch_execz .LBB4_3369
; %bb.3120:                             ;   in Loop: Header=BB4_3033 Depth=2
	v_cmp_eq_u16_sdwa s29, v81, v97 src0_sel:BYTE_0 src1_sel:DWORD
	s_mov_b32 s12, -1
	s_and_saveexec_b32 s28, s29
; %bb.3121:                             ;   in Loop: Header=BB4_3033 Depth=2
	s_xor_b32 s12, exec_lo, -1
; %bb.3122:                             ;   in Loop: Header=BB4_3033 Depth=2
	s_or_b32 exec_lo, exec_lo, s28
	s_and_b32 s12, s12, exec_lo
	s_or_saveexec_b32 s27, s27
	v_mov_b32_e32 v47, 0x7f800001
	s_xor_b32 exec_lo, exec_lo, s27
	s_cbranch_execnz .LBB4_3370
.LBB4_3123:                             ;   in Loop: Header=BB4_3033 Depth=2
	s_or_b32 exec_lo, exec_lo, s27
	s_and_saveexec_b32 s27, s12
	s_cbranch_execz .LBB4_3125
.LBB4_3124:                             ;   in Loop: Header=BB4_3033 Depth=2
	v_and_b32_e32 v47, 7, v81
	v_lshrrev_b16 v58, 3, v81
	v_ffbh_u32_e32 v57, v47
	v_and_b32_e32 v58, 15, v58
	v_min_u32_e32 v57, 32, v57
	v_cmp_eq_u32_e32 vcc_lo, 0, v58
	v_subrev_nc_u32_e32 v59, 28, v57
	v_sub_nc_u32_e32 v57, 29, v57
	v_lshlrev_b32_e32 v59, v59, v81
	v_lshlrev_b32_e32 v81, 24, v81
	v_cndmask_b32_e32 v57, v58, v57, vcc_lo
	v_and_b32_e32 v59, 7, v59
	v_and_b32_e32 v81, 0x80000000, v81
	v_lshl_add_u32 v57, v57, 23, 0x3b800000
	v_cndmask_b32_e32 v47, v47, v59, vcc_lo
	v_lshlrev_b32_e32 v47, 20, v47
	v_or3_b32 v47, v81, v57, v47
.LBB4_3125:                             ;   in Loop: Header=BB4_3033 Depth=2
	s_or_b32 exec_lo, exec_lo, s27
	v_add_f32_e32 v47, v56, v47
	v_and_b32_e32 v81, 0x7f800000, v47
	v_cmp_ne_u32_e32 vcc_lo, 0x7f800000, v81
	v_mov_b32_e32 v81, 0x80
	s_and_saveexec_b32 s27, vcc_lo
	s_cbranch_execz .LBB4_3133
; %bb.3126:                             ;   in Loop: Header=BB4_3033 Depth=2
	v_mov_b32_e32 v81, 0
	s_mov_b32 s28, exec_lo
	v_cmpx_ne_u32_e32 0, v47
	s_cbranch_execz .LBB4_3132
; %bb.3127:                             ;   in Loop: Header=BB4_3033 Depth=2
	v_bfe_u32 v81, v47, 23, 8
	v_and_b32_e32 v56, 0x7fffff, v47
	v_sub_nc_u32_e32 v57, 0x78, v81
	v_cmp_gt_u32_e32 vcc_lo, 0x79, v81
	v_or_b32_e32 v58, 0x800000, v56
	v_cndmask_b32_e32 v57, 0, v57, vcc_lo
	v_cmp_eq_u32_e32 vcc_lo, 0, v81
	v_add_nc_u32_e32 v81, 0xffffff89, v81
	v_cndmask_b32_e64 v57, v57, 0x77, vcc_lo
	v_cndmask_b32_e32 v56, v58, v56, vcc_lo
	v_cndmask_b32_e64 v81, v81, 0xffffff8a, vcc_lo
	v_lshl_add_u32 v58, 0x100000, v57, -1
	v_lshrrev_b32_e32 v59, v57, v56
	v_lshlrev_b32_e64 v61, v57, 0x80000
	v_add_nc_u32_e32 v57, v57, v81
	v_and_b32_e32 v56, v58, v56
	v_bfe_u32 v60, v59, 20, 1
	v_cmp_eq_u32_e64 s12, v56, v61
	v_add_nc_u32_e32 v58, -1, v60
	v_cndmask_b32_e64 v56, 0, v58, s12
	v_lshrrev_b32_e32 v58, 23, v59
	s_mov_b32 s12, exec_lo
	v_add_nc_u32_e32 v56, v56, v59
	v_xor_b32_e32 v58, 1, v58
	v_and_b32_e32 v81, 0xfffff, v56
	v_add_nc_u32_e32 v56, v81, v59
                                        ; implicit-def: $vgpr81
	v_cmpx_ne_u32_e64 v57, v58
	s_xor_b32 s12, exec_lo, s12
; %bb.3128:                             ;   in Loop: Header=BB4_3033 Depth=2
	v_cmp_lt_u32_e32 vcc_lo, 0xffffff, v56
	v_sub_nc_u32_e32 v81, v57, v58
	v_cndmask_b32_e64 v57, 0, 1, vcc_lo
	v_add_co_ci_u32_e64 v81, null, 0, v81, vcc_lo
	v_lshrrev_b32_e32 v56, v57, v56
; %bb.3129:                             ;   in Loop: Header=BB4_3033 Depth=2
	s_andn2_saveexec_b32 s12, s12
; %bb.3130:                             ;   in Loop: Header=BB4_3033 Depth=2
	v_bfe_u32 v81, v56, 23, 1
; %bb.3131:                             ;   in Loop: Header=BB4_3033 Depth=2
	s_or_b32 exec_lo, exec_lo, s12
	v_lshrrev_b32_e32 v56, 20, v56
	v_cmp_gt_i32_e32 vcc_lo, 16, v81
	v_min_i32_e32 v57, 15, v81
	v_and_b32_sdwa v47, v47, v97 dst_sel:DWORD dst_unused:UNUSED_PAD src0_sel:BYTE_3 src1_sel:DWORD
	v_cndmask_b32_e32 v56, 7, v56, vcc_lo
	v_lshlrev_b32_e32 v57, 3, v57
	v_and_b32_e32 v58, 7, v56
	v_or_b32_e32 v81, v81, v56
	v_or3_b32 v47, v57, v47, v58
	v_cmp_ne_u32_e32 vcc_lo, 0, v81
	v_cndmask_b32_e32 v81, 0, v47, vcc_lo
.LBB4_3132:                             ;   in Loop: Header=BB4_3033 Depth=2
	s_or_b32 exec_lo, exec_lo, s28
.LBB4_3133:                             ;   in Loop: Header=BB4_3033 Depth=2
	s_or_b32 exec_lo, exec_lo, s27
	v_cmp_gt_i16_sdwa s27, v46, v96 src0_sel:BYTE_0 src1_sel:DWORD
	s_mov_b32 s12, 0
	s_and_saveexec_b32 s28, s27
	s_xor_b32 s27, exec_lo, s28
	s_cbranch_execz .LBB4_3371
; %bb.3134:                             ;   in Loop: Header=BB4_3033 Depth=2
	v_cmp_eq_u16_sdwa s29, v46, v97 src0_sel:BYTE_0 src1_sel:DWORD
	s_mov_b32 s12, -1
	s_and_saveexec_b32 s28, s29
; %bb.3135:                             ;   in Loop: Header=BB4_3033 Depth=2
	s_xor_b32 s12, exec_lo, -1
; %bb.3136:                             ;   in Loop: Header=BB4_3033 Depth=2
	s_or_b32 exec_lo, exec_lo, s28
	s_and_b32 s12, s12, exec_lo
	s_or_saveexec_b32 s27, s27
	v_mov_b32_e32 v47, 0x7f800001
	s_xor_b32 exec_lo, exec_lo, s27
	s_cbranch_execnz .LBB4_3372
.LBB4_3137:                             ;   in Loop: Header=BB4_3033 Depth=2
	s_or_b32 exec_lo, exec_lo, s27
	s_and_saveexec_b32 s27, s12
	s_cbranch_execz .LBB4_3139
.LBB4_3138:                             ;   in Loop: Header=BB4_3033 Depth=2
	v_and_b32_e32 v47, 7, v46
	v_lshrrev_b16 v57, 3, v46
	v_ffbh_u32_e32 v56, v47
	v_and_b32_e32 v57, 15, v57
	v_min_u32_e32 v56, 32, v56
	v_cmp_eq_u32_e32 vcc_lo, 0, v57
	v_subrev_nc_u32_e32 v58, 28, v56
	v_sub_nc_u32_e32 v56, 29, v56
	v_lshlrev_b32_e32 v58, v58, v46
	v_lshlrev_b32_e32 v46, 24, v46
	v_cndmask_b32_e32 v56, v57, v56, vcc_lo
	v_and_b32_e32 v58, 7, v58
	v_and_b32_e32 v46, 0x80000000, v46
	v_lshl_add_u32 v56, v56, 23, 0x3b800000
	v_cndmask_b32_e32 v47, v47, v58, vcc_lo
	v_lshlrev_b32_e32 v47, 20, v47
	v_or3_b32 v47, v46, v56, v47
.LBB4_3139:                             ;   in Loop: Header=BB4_3033 Depth=2
	s_or_b32 exec_lo, exec_lo, s27
	s_waitcnt vmcnt(10) lgkmcnt(10)
	v_cmp_gt_i16_sdwa s27, v117, v96 src0_sel:BYTE_0 src1_sel:DWORD
	s_mov_b32 s12, 0
	s_and_saveexec_b32 s28, s27
	s_xor_b32 s27, exec_lo, s28
	s_cbranch_execz .LBB4_3373
; %bb.3140:                             ;   in Loop: Header=BB4_3033 Depth=2
	v_cmp_eq_u16_sdwa s29, v117, v97 src0_sel:BYTE_0 src1_sel:DWORD
	s_mov_b32 s12, -1
	s_and_saveexec_b32 s28, s29
; %bb.3141:                             ;   in Loop: Header=BB4_3033 Depth=2
	s_xor_b32 s12, exec_lo, -1
; %bb.3142:                             ;   in Loop: Header=BB4_3033 Depth=2
	s_or_b32 exec_lo, exec_lo, s28
	s_and_b32 s12, s12, exec_lo
	s_or_saveexec_b32 s27, s27
	v_mov_b32_e32 v46, 0x7f800001
	s_xor_b32 exec_lo, exec_lo, s27
	s_cbranch_execnz .LBB4_3374
.LBB4_3143:                             ;   in Loop: Header=BB4_3033 Depth=2
	s_or_b32 exec_lo, exec_lo, s27
	s_and_saveexec_b32 s27, s12
	s_cbranch_execz .LBB4_3145
.LBB4_3144:                             ;   in Loop: Header=BB4_3033 Depth=2
	v_and_b32_e32 v46, 7, v117
	v_lshrrev_b16 v57, 3, v117
	v_ffbh_u32_e32 v56, v46
	v_and_b32_e32 v57, 15, v57
	v_min_u32_e32 v56, 32, v56
	v_cmp_eq_u32_e32 vcc_lo, 0, v57
	v_subrev_nc_u32_e32 v58, 28, v56
	v_sub_nc_u32_e32 v56, 29, v56
	v_lshlrev_b32_e32 v58, v58, v117
	v_lshlrev_b32_e32 v117, 24, v117
	v_cndmask_b32_e32 v56, v57, v56, vcc_lo
	v_and_b32_e32 v58, 7, v58
	v_and_b32_e32 v117, 0x80000000, v117
	v_lshl_add_u32 v56, v56, 23, 0x3b800000
	v_cndmask_b32_e32 v46, v46, v58, vcc_lo
	v_lshlrev_b32_e32 v46, 20, v46
	v_or3_b32 v46, v117, v56, v46
.LBB4_3145:                             ;   in Loop: Header=BB4_3033 Depth=2
	s_or_b32 exec_lo, exec_lo, s27
	v_add_f32_e32 v46, v47, v46
	v_and_b32_e32 v117, 0x7f800000, v46
	v_cmp_ne_u32_e32 vcc_lo, 0x7f800000, v117
	v_mov_b32_e32 v117, 0x80
	s_and_saveexec_b32 s27, vcc_lo
	s_cbranch_execz .LBB4_3153
; %bb.3146:                             ;   in Loop: Header=BB4_3033 Depth=2
	v_mov_b32_e32 v117, 0
	s_mov_b32 s28, exec_lo
	v_cmpx_ne_u32_e32 0, v46
	s_cbranch_execz .LBB4_3152
; %bb.3147:                             ;   in Loop: Header=BB4_3033 Depth=2
	v_bfe_u32 v117, v46, 23, 8
	v_and_b32_e32 v47, 0x7fffff, v46
	v_sub_nc_u32_e32 v56, 0x78, v117
	v_cmp_gt_u32_e32 vcc_lo, 0x79, v117
	v_or_b32_e32 v57, 0x800000, v47
	v_cndmask_b32_e32 v56, 0, v56, vcc_lo
	v_cmp_eq_u32_e32 vcc_lo, 0, v117
	v_add_nc_u32_e32 v117, 0xffffff89, v117
	v_cndmask_b32_e64 v56, v56, 0x77, vcc_lo
	v_cndmask_b32_e32 v47, v57, v47, vcc_lo
	v_cndmask_b32_e64 v117, v117, 0xffffff8a, vcc_lo
	v_lshl_add_u32 v57, 0x100000, v56, -1
	v_lshrrev_b32_e32 v58, v56, v47
	v_lshlrev_b32_e64 v60, v56, 0x80000
	v_add_nc_u32_e32 v56, v56, v117
	v_and_b32_e32 v47, v57, v47
	v_bfe_u32 v59, v58, 20, 1
	v_cmp_eq_u32_e64 s12, v47, v60
	v_add_nc_u32_e32 v57, -1, v59
	v_cndmask_b32_e64 v47, 0, v57, s12
	v_lshrrev_b32_e32 v57, 23, v58
	s_mov_b32 s12, exec_lo
	v_add_nc_u32_e32 v47, v47, v58
	v_xor_b32_e32 v57, 1, v57
	v_and_b32_e32 v117, 0xfffff, v47
	v_add_nc_u32_e32 v47, v117, v58
                                        ; implicit-def: $vgpr117
	v_cmpx_ne_u32_e64 v56, v57
	s_xor_b32 s12, exec_lo, s12
; %bb.3148:                             ;   in Loop: Header=BB4_3033 Depth=2
	v_cmp_lt_u32_e32 vcc_lo, 0xffffff, v47
	v_sub_nc_u32_e32 v117, v56, v57
	v_cndmask_b32_e64 v56, 0, 1, vcc_lo
	v_add_co_ci_u32_e64 v117, null, 0, v117, vcc_lo
	v_lshrrev_b32_e32 v47, v56, v47
; %bb.3149:                             ;   in Loop: Header=BB4_3033 Depth=2
	s_andn2_saveexec_b32 s12, s12
; %bb.3150:                             ;   in Loop: Header=BB4_3033 Depth=2
	v_bfe_u32 v117, v47, 23, 1
; %bb.3151:                             ;   in Loop: Header=BB4_3033 Depth=2
	s_or_b32 exec_lo, exec_lo, s12
	v_lshrrev_b32_e32 v47, 20, v47
	v_cmp_gt_i32_e32 vcc_lo, 16, v117
	v_min_i32_e32 v56, 15, v117
	v_and_b32_sdwa v46, v46, v97 dst_sel:DWORD dst_unused:UNUSED_PAD src0_sel:BYTE_3 src1_sel:DWORD
	v_cndmask_b32_e32 v47, 7, v47, vcc_lo
	v_lshlrev_b32_e32 v56, 3, v56
	v_and_b32_e32 v57, 7, v47
	v_or_b32_e32 v117, v117, v47
	v_or3_b32 v46, v56, v46, v57
	v_cmp_ne_u32_e32 vcc_lo, 0, v117
	v_cndmask_b32_e32 v117, 0, v46, vcc_lo
.LBB4_3152:                             ;   in Loop: Header=BB4_3033 Depth=2
	s_or_b32 exec_lo, exec_lo, s28
.LBB4_3153:                             ;   in Loop: Header=BB4_3033 Depth=2
	s_or_b32 exec_lo, exec_lo, s27
	v_cmp_gt_i16_sdwa s27, v45, v96 src0_sel:BYTE_0 src1_sel:DWORD
	s_mov_b32 s12, 0
	s_and_saveexec_b32 s28, s27
	s_xor_b32 s27, exec_lo, s28
	s_cbranch_execz .LBB4_3375
; %bb.3154:                             ;   in Loop: Header=BB4_3033 Depth=2
	v_cmp_eq_u16_sdwa s29, v45, v97 src0_sel:BYTE_0 src1_sel:DWORD
	s_mov_b32 s12, -1
	s_and_saveexec_b32 s28, s29
; %bb.3155:                             ;   in Loop: Header=BB4_3033 Depth=2
	s_xor_b32 s12, exec_lo, -1
; %bb.3156:                             ;   in Loop: Header=BB4_3033 Depth=2
	s_or_b32 exec_lo, exec_lo, s28
	s_and_b32 s12, s12, exec_lo
	s_or_saveexec_b32 s27, s27
	v_mov_b32_e32 v46, 0x7f800001
	s_xor_b32 exec_lo, exec_lo, s27
	s_cbranch_execnz .LBB4_3376
.LBB4_3157:                             ;   in Loop: Header=BB4_3033 Depth=2
	s_or_b32 exec_lo, exec_lo, s27
	s_and_saveexec_b32 s27, s12
	s_cbranch_execz .LBB4_3159
.LBB4_3158:                             ;   in Loop: Header=BB4_3033 Depth=2
	v_and_b32_e32 v46, 7, v45
	v_lshrrev_b16 v56, 3, v45
	v_ffbh_u32_e32 v47, v46
	v_and_b32_e32 v56, 15, v56
	v_min_u32_e32 v47, 32, v47
	v_cmp_eq_u32_e32 vcc_lo, 0, v56
	v_subrev_nc_u32_e32 v57, 28, v47
	v_sub_nc_u32_e32 v47, 29, v47
	v_lshlrev_b32_e32 v57, v57, v45
	v_lshlrev_b32_e32 v45, 24, v45
	v_cndmask_b32_e32 v47, v56, v47, vcc_lo
	v_and_b32_e32 v57, 7, v57
	v_and_b32_e32 v45, 0x80000000, v45
	v_lshl_add_u32 v47, v47, 23, 0x3b800000
	v_cndmask_b32_e32 v46, v46, v57, vcc_lo
	v_lshlrev_b32_e32 v46, 20, v46
	v_or3_b32 v46, v45, v47, v46
.LBB4_3159:                             ;   in Loop: Header=BB4_3033 Depth=2
	s_or_b32 exec_lo, exec_lo, s27
	s_waitcnt vmcnt(9) lgkmcnt(9)
	v_cmp_gt_i16_sdwa s27, v40, v96 src0_sel:BYTE_0 src1_sel:DWORD
	s_mov_b32 s12, 0
	s_and_saveexec_b32 s28, s27
	s_xor_b32 s27, exec_lo, s28
	s_cbranch_execz .LBB4_3377
; %bb.3160:                             ;   in Loop: Header=BB4_3033 Depth=2
	v_cmp_eq_u16_sdwa s29, v40, v97 src0_sel:BYTE_0 src1_sel:DWORD
	s_mov_b32 s12, -1
	s_and_saveexec_b32 s28, s29
; %bb.3161:                             ;   in Loop: Header=BB4_3033 Depth=2
	s_xor_b32 s12, exec_lo, -1
; %bb.3162:                             ;   in Loop: Header=BB4_3033 Depth=2
	s_or_b32 exec_lo, exec_lo, s28
	s_and_b32 s12, s12, exec_lo
	s_or_saveexec_b32 s27, s27
	v_mov_b32_e32 v45, 0x7f800001
	s_xor_b32 exec_lo, exec_lo, s27
	s_cbranch_execnz .LBB4_3378
.LBB4_3163:                             ;   in Loop: Header=BB4_3033 Depth=2
	s_or_b32 exec_lo, exec_lo, s27
	s_and_saveexec_b32 s27, s12
	s_cbranch_execz .LBB4_3165
.LBB4_3164:                             ;   in Loop: Header=BB4_3033 Depth=2
	v_and_b32_e32 v45, 7, v40
	v_lshrrev_b16 v56, 3, v40
	v_ffbh_u32_e32 v47, v45
	v_and_b32_e32 v56, 15, v56
	v_min_u32_e32 v47, 32, v47
	v_cmp_eq_u32_e32 vcc_lo, 0, v56
	v_subrev_nc_u32_e32 v57, 28, v47
	v_sub_nc_u32_e32 v47, 29, v47
	v_lshlrev_b32_e32 v57, v57, v40
	v_lshlrev_b32_e32 v40, 24, v40
	v_cndmask_b32_e32 v47, v56, v47, vcc_lo
	v_and_b32_e32 v57, 7, v57
	v_and_b32_e32 v40, 0x80000000, v40
	v_lshl_add_u32 v47, v47, 23, 0x3b800000
	v_cndmask_b32_e32 v45, v45, v57, vcc_lo
	v_lshlrev_b32_e32 v45, 20, v45
	v_or3_b32 v45, v40, v47, v45
.LBB4_3165:                             ;   in Loop: Header=BB4_3033 Depth=2
	s_or_b32 exec_lo, exec_lo, s27
	v_add_f32_e32 v45, v46, v45
	v_and_b32_e32 v40, 0x7f800000, v45
	v_cmp_ne_u32_e32 vcc_lo, 0x7f800000, v40
	v_mov_b32_e32 v40, 0x80
	s_and_saveexec_b32 s27, vcc_lo
	s_cbranch_execz .LBB4_3173
; %bb.3166:                             ;   in Loop: Header=BB4_3033 Depth=2
	v_mov_b32_e32 v40, 0
	s_mov_b32 s28, exec_lo
	v_cmpx_ne_u32_e32 0, v45
	s_cbranch_execz .LBB4_3172
; %bb.3167:                             ;   in Loop: Header=BB4_3033 Depth=2
	v_bfe_u32 v40, v45, 23, 8
	v_and_b32_e32 v46, 0x7fffff, v45
	v_sub_nc_u32_e32 v47, 0x78, v40
	v_cmp_gt_u32_e32 vcc_lo, 0x79, v40
	v_or_b32_e32 v56, 0x800000, v46
	v_cndmask_b32_e32 v47, 0, v47, vcc_lo
	v_cmp_eq_u32_e32 vcc_lo, 0, v40
	v_add_nc_u32_e32 v40, 0xffffff89, v40
	v_cndmask_b32_e64 v47, v47, 0x77, vcc_lo
	v_cndmask_b32_e32 v46, v56, v46, vcc_lo
	v_cndmask_b32_e64 v40, v40, 0xffffff8a, vcc_lo
	v_lshl_add_u32 v56, 0x100000, v47, -1
	v_lshrrev_b32_e32 v57, v47, v46
	v_lshlrev_b32_e64 v59, v47, 0x80000
	v_add_nc_u32_e32 v47, v47, v40
	v_and_b32_e32 v46, v56, v46
	v_bfe_u32 v58, v57, 20, 1
	v_cmp_eq_u32_e64 s12, v46, v59
	v_add_nc_u32_e32 v56, -1, v58
	v_cndmask_b32_e64 v46, 0, v56, s12
	v_lshrrev_b32_e32 v56, 23, v57
	s_mov_b32 s12, exec_lo
	v_add_nc_u32_e32 v46, v46, v57
	v_xor_b32_e32 v56, 1, v56
	v_and_b32_e32 v40, 0xfffff, v46
	v_add_nc_u32_e32 v46, v40, v57
                                        ; implicit-def: $vgpr40
	v_cmpx_ne_u32_e64 v47, v56
	s_xor_b32 s12, exec_lo, s12
; %bb.3168:                             ;   in Loop: Header=BB4_3033 Depth=2
	v_cmp_lt_u32_e32 vcc_lo, 0xffffff, v46
	v_sub_nc_u32_e32 v40, v47, v56
	v_cndmask_b32_e64 v47, 0, 1, vcc_lo
	v_add_co_ci_u32_e64 v40, null, 0, v40, vcc_lo
	v_lshrrev_b32_e32 v46, v47, v46
; %bb.3169:                             ;   in Loop: Header=BB4_3033 Depth=2
	s_andn2_saveexec_b32 s12, s12
; %bb.3170:                             ;   in Loop: Header=BB4_3033 Depth=2
	v_bfe_u32 v40, v46, 23, 1
; %bb.3171:                             ;   in Loop: Header=BB4_3033 Depth=2
	s_or_b32 exec_lo, exec_lo, s12
	v_lshrrev_b32_e32 v46, 20, v46
	v_cmp_gt_i32_e32 vcc_lo, 16, v40
	v_min_i32_e32 v47, 15, v40
	v_and_b32_sdwa v45, v45, v97 dst_sel:DWORD dst_unused:UNUSED_PAD src0_sel:BYTE_3 src1_sel:DWORD
	v_cndmask_b32_e32 v46, 7, v46, vcc_lo
	v_lshlrev_b32_e32 v47, 3, v47
	v_and_b32_e32 v56, 7, v46
	v_or_b32_e32 v40, v40, v46
	v_or3_b32 v45, v47, v45, v56
	v_cmp_ne_u32_e32 vcc_lo, 0, v40
	v_cndmask_b32_e32 v40, 0, v45, vcc_lo
.LBB4_3172:                             ;   in Loop: Header=BB4_3033 Depth=2
	s_or_b32 exec_lo, exec_lo, s28
.LBB4_3173:                             ;   in Loop: Header=BB4_3033 Depth=2
	s_or_b32 exec_lo, exec_lo, s27
	v_cmp_gt_i16_sdwa s27, v44, v96 src0_sel:BYTE_0 src1_sel:DWORD
	s_mov_b32 s12, 0
	s_and_saveexec_b32 s28, s27
	s_xor_b32 s27, exec_lo, s28
	s_cbranch_execz .LBB4_3379
; %bb.3174:                             ;   in Loop: Header=BB4_3033 Depth=2
	v_cmp_eq_u16_sdwa s29, v44, v97 src0_sel:BYTE_0 src1_sel:DWORD
	s_mov_b32 s12, -1
	s_and_saveexec_b32 s28, s29
; %bb.3175:                             ;   in Loop: Header=BB4_3033 Depth=2
	s_xor_b32 s12, exec_lo, -1
; %bb.3176:                             ;   in Loop: Header=BB4_3033 Depth=2
	s_or_b32 exec_lo, exec_lo, s28
	s_and_b32 s12, s12, exec_lo
	s_or_saveexec_b32 s27, s27
	v_mov_b32_e32 v45, 0x7f800001
	s_xor_b32 exec_lo, exec_lo, s27
	s_cbranch_execnz .LBB4_3380
.LBB4_3177:                             ;   in Loop: Header=BB4_3033 Depth=2
	s_or_b32 exec_lo, exec_lo, s27
	s_and_saveexec_b32 s27, s12
	s_cbranch_execz .LBB4_3179
.LBB4_3178:                             ;   in Loop: Header=BB4_3033 Depth=2
	v_and_b32_e32 v45, 7, v44
	v_lshrrev_b16 v47, 3, v44
	v_ffbh_u32_e32 v46, v45
	v_and_b32_e32 v47, 15, v47
	v_min_u32_e32 v46, 32, v46
	v_cmp_eq_u32_e32 vcc_lo, 0, v47
	v_subrev_nc_u32_e32 v56, 28, v46
	v_sub_nc_u32_e32 v46, 29, v46
	v_lshlrev_b32_e32 v56, v56, v44
	v_lshlrev_b32_e32 v44, 24, v44
	v_cndmask_b32_e32 v46, v47, v46, vcc_lo
	v_and_b32_e32 v56, 7, v56
	v_and_b32_e32 v44, 0x80000000, v44
	v_lshl_add_u32 v46, v46, 23, 0x3b800000
	v_cndmask_b32_e32 v45, v45, v56, vcc_lo
	v_lshlrev_b32_e32 v45, 20, v45
	v_or3_b32 v45, v44, v46, v45
.LBB4_3179:                             ;   in Loop: Header=BB4_3033 Depth=2
	s_or_b32 exec_lo, exec_lo, s27
	s_waitcnt vmcnt(8) lgkmcnt(8)
	v_cmp_gt_i16_sdwa s27, v43, v96 src0_sel:BYTE_0 src1_sel:DWORD
	s_mov_b32 s12, 0
	s_and_saveexec_b32 s28, s27
	s_xor_b32 s27, exec_lo, s28
	s_cbranch_execz .LBB4_3381
; %bb.3180:                             ;   in Loop: Header=BB4_3033 Depth=2
	v_cmp_eq_u16_sdwa s29, v43, v97 src0_sel:BYTE_0 src1_sel:DWORD
	s_mov_b32 s12, -1
	s_and_saveexec_b32 s28, s29
; %bb.3181:                             ;   in Loop: Header=BB4_3033 Depth=2
	s_xor_b32 s12, exec_lo, -1
; %bb.3182:                             ;   in Loop: Header=BB4_3033 Depth=2
	s_or_b32 exec_lo, exec_lo, s28
	s_and_b32 s12, s12, exec_lo
	s_or_saveexec_b32 s27, s27
	v_mov_b32_e32 v44, 0x7f800001
	s_xor_b32 exec_lo, exec_lo, s27
	s_cbranch_execnz .LBB4_3382
.LBB4_3183:                             ;   in Loop: Header=BB4_3033 Depth=2
	s_or_b32 exec_lo, exec_lo, s27
	s_and_saveexec_b32 s27, s12
	s_cbranch_execz .LBB4_3185
.LBB4_3184:                             ;   in Loop: Header=BB4_3033 Depth=2
	v_and_b32_e32 v44, 7, v43
	v_lshrrev_b16 v47, 3, v43
	v_ffbh_u32_e32 v46, v44
	v_and_b32_e32 v47, 15, v47
	v_min_u32_e32 v46, 32, v46
	v_cmp_eq_u32_e32 vcc_lo, 0, v47
	v_subrev_nc_u32_e32 v56, 28, v46
	v_sub_nc_u32_e32 v46, 29, v46
	v_lshlrev_b32_e32 v56, v56, v43
	v_lshlrev_b32_e32 v43, 24, v43
	v_cndmask_b32_e32 v46, v47, v46, vcc_lo
	v_and_b32_e32 v56, 7, v56
	v_and_b32_e32 v43, 0x80000000, v43
	v_lshl_add_u32 v46, v46, 23, 0x3b800000
	v_cndmask_b32_e32 v44, v44, v56, vcc_lo
	v_lshlrev_b32_e32 v44, 20, v44
	v_or3_b32 v44, v43, v46, v44
.LBB4_3185:                             ;   in Loop: Header=BB4_3033 Depth=2
	s_or_b32 exec_lo, exec_lo, s27
	v_add_f32_e32 v44, v45, v44
	v_and_b32_e32 v43, 0x7f800000, v44
	v_cmp_ne_u32_e32 vcc_lo, 0x7f800000, v43
	v_mov_b32_e32 v43, 0x80
	s_and_saveexec_b32 s27, vcc_lo
	s_cbranch_execz .LBB4_3193
; %bb.3186:                             ;   in Loop: Header=BB4_3033 Depth=2
	v_mov_b32_e32 v43, 0
	s_mov_b32 s28, exec_lo
	v_cmpx_ne_u32_e32 0, v44
	s_cbranch_execz .LBB4_3192
; %bb.3187:                             ;   in Loop: Header=BB4_3033 Depth=2
	v_bfe_u32 v43, v44, 23, 8
	v_and_b32_e32 v45, 0x7fffff, v44
	v_sub_nc_u32_e32 v46, 0x78, v43
	v_cmp_gt_u32_e32 vcc_lo, 0x79, v43
	v_or_b32_e32 v47, 0x800000, v45
	v_cndmask_b32_e32 v46, 0, v46, vcc_lo
	v_cmp_eq_u32_e32 vcc_lo, 0, v43
	v_add_nc_u32_e32 v43, 0xffffff89, v43
	v_cndmask_b32_e64 v46, v46, 0x77, vcc_lo
	v_cndmask_b32_e32 v45, v47, v45, vcc_lo
	v_cndmask_b32_e64 v43, v43, 0xffffff8a, vcc_lo
	v_lshl_add_u32 v47, 0x100000, v46, -1
	v_lshrrev_b32_e32 v56, v46, v45
	v_lshlrev_b32_e64 v58, v46, 0x80000
	v_add_nc_u32_e32 v46, v46, v43
	v_and_b32_e32 v45, v47, v45
	v_bfe_u32 v57, v56, 20, 1
	v_cmp_eq_u32_e64 s12, v45, v58
	v_add_nc_u32_e32 v47, -1, v57
	v_cndmask_b32_e64 v45, 0, v47, s12
	v_lshrrev_b32_e32 v47, 23, v56
	s_mov_b32 s12, exec_lo
	v_add_nc_u32_e32 v45, v45, v56
	v_xor_b32_e32 v47, 1, v47
	v_and_b32_e32 v43, 0xfffff, v45
	v_add_nc_u32_e32 v45, v43, v56
                                        ; implicit-def: $vgpr43
	v_cmpx_ne_u32_e64 v46, v47
	s_xor_b32 s12, exec_lo, s12
; %bb.3188:                             ;   in Loop: Header=BB4_3033 Depth=2
	v_cmp_lt_u32_e32 vcc_lo, 0xffffff, v45
	v_sub_nc_u32_e32 v43, v46, v47
	v_cndmask_b32_e64 v46, 0, 1, vcc_lo
	v_add_co_ci_u32_e64 v43, null, 0, v43, vcc_lo
	v_lshrrev_b32_e32 v45, v46, v45
; %bb.3189:                             ;   in Loop: Header=BB4_3033 Depth=2
	s_andn2_saveexec_b32 s12, s12
; %bb.3190:                             ;   in Loop: Header=BB4_3033 Depth=2
	v_bfe_u32 v43, v45, 23, 1
; %bb.3191:                             ;   in Loop: Header=BB4_3033 Depth=2
	s_or_b32 exec_lo, exec_lo, s12
	v_lshrrev_b32_e32 v45, 20, v45
	v_cmp_gt_i32_e32 vcc_lo, 16, v43
	v_min_i32_e32 v46, 15, v43
	v_and_b32_sdwa v44, v44, v97 dst_sel:DWORD dst_unused:UNUSED_PAD src0_sel:BYTE_3 src1_sel:DWORD
	v_cndmask_b32_e32 v45, 7, v45, vcc_lo
	v_lshlrev_b32_e32 v46, 3, v46
	v_and_b32_e32 v47, 7, v45
	v_or_b32_e32 v43, v43, v45
	v_or3_b32 v44, v46, v44, v47
	v_cmp_ne_u32_e32 vcc_lo, 0, v43
	v_cndmask_b32_e32 v43, 0, v44, vcc_lo
.LBB4_3192:                             ;   in Loop: Header=BB4_3033 Depth=2
	s_or_b32 exec_lo, exec_lo, s28
.LBB4_3193:                             ;   in Loop: Header=BB4_3033 Depth=2
	s_or_b32 exec_lo, exec_lo, s27
	v_cmp_gt_i16_sdwa s27, v42, v96 src0_sel:BYTE_0 src1_sel:DWORD
	s_mov_b32 s12, 0
	s_and_saveexec_b32 s28, s27
	s_xor_b32 s27, exec_lo, s28
	s_cbranch_execz .LBB4_3383
; %bb.3194:                             ;   in Loop: Header=BB4_3033 Depth=2
	v_cmp_eq_u16_sdwa s29, v42, v97 src0_sel:BYTE_0 src1_sel:DWORD
	s_mov_b32 s12, -1
	s_and_saveexec_b32 s28, s29
; %bb.3195:                             ;   in Loop: Header=BB4_3033 Depth=2
	s_xor_b32 s12, exec_lo, -1
; %bb.3196:                             ;   in Loop: Header=BB4_3033 Depth=2
	s_or_b32 exec_lo, exec_lo, s28
	s_and_b32 s12, s12, exec_lo
	s_or_saveexec_b32 s27, s27
	v_mov_b32_e32 v44, 0x7f800001
	s_xor_b32 exec_lo, exec_lo, s27
	s_cbranch_execnz .LBB4_3384
.LBB4_3197:                             ;   in Loop: Header=BB4_3033 Depth=2
	s_or_b32 exec_lo, exec_lo, s27
	s_and_saveexec_b32 s27, s12
	s_cbranch_execz .LBB4_3199
.LBB4_3198:                             ;   in Loop: Header=BB4_3033 Depth=2
	v_and_b32_e32 v44, 7, v42
	v_lshrrev_b16 v46, 3, v42
	v_ffbh_u32_e32 v45, v44
	v_and_b32_e32 v46, 15, v46
	v_min_u32_e32 v45, 32, v45
	v_cmp_eq_u32_e32 vcc_lo, 0, v46
	v_subrev_nc_u32_e32 v47, 28, v45
	v_sub_nc_u32_e32 v45, 29, v45
	v_lshlrev_b32_e32 v47, v47, v42
	v_lshlrev_b32_e32 v42, 24, v42
	v_cndmask_b32_e32 v45, v46, v45, vcc_lo
	v_and_b32_e32 v47, 7, v47
	v_and_b32_e32 v42, 0x80000000, v42
	v_lshl_add_u32 v45, v45, 23, 0x3b800000
	v_cndmask_b32_e32 v44, v44, v47, vcc_lo
	v_lshlrev_b32_e32 v44, 20, v44
	v_or3_b32 v44, v42, v45, v44
.LBB4_3199:                             ;   in Loop: Header=BB4_3033 Depth=2
	s_or_b32 exec_lo, exec_lo, s27
	s_waitcnt vmcnt(7) lgkmcnt(7)
	v_cmp_gt_i16_sdwa s27, v41, v96 src0_sel:BYTE_0 src1_sel:DWORD
	s_mov_b32 s12, 0
	s_and_saveexec_b32 s28, s27
	s_xor_b32 s27, exec_lo, s28
	s_cbranch_execz .LBB4_3385
; %bb.3200:                             ;   in Loop: Header=BB4_3033 Depth=2
	v_cmp_eq_u16_sdwa s29, v41, v97 src0_sel:BYTE_0 src1_sel:DWORD
	s_mov_b32 s12, -1
	s_and_saveexec_b32 s28, s29
; %bb.3201:                             ;   in Loop: Header=BB4_3033 Depth=2
	s_xor_b32 s12, exec_lo, -1
; %bb.3202:                             ;   in Loop: Header=BB4_3033 Depth=2
	s_or_b32 exec_lo, exec_lo, s28
	s_and_b32 s12, s12, exec_lo
	s_or_saveexec_b32 s27, s27
	v_mov_b32_e32 v42, 0x7f800001
	s_xor_b32 exec_lo, exec_lo, s27
	s_cbranch_execnz .LBB4_3386
.LBB4_3203:                             ;   in Loop: Header=BB4_3033 Depth=2
	s_or_b32 exec_lo, exec_lo, s27
	s_and_saveexec_b32 s27, s12
	s_cbranch_execz .LBB4_3205
.LBB4_3204:                             ;   in Loop: Header=BB4_3033 Depth=2
	v_and_b32_e32 v42, 7, v41
	v_lshrrev_b16 v46, 3, v41
	v_ffbh_u32_e32 v45, v42
	v_and_b32_e32 v46, 15, v46
	v_min_u32_e32 v45, 32, v45
	v_cmp_eq_u32_e32 vcc_lo, 0, v46
	v_subrev_nc_u32_e32 v47, 28, v45
	v_sub_nc_u32_e32 v45, 29, v45
	v_lshlrev_b32_e32 v47, v47, v41
	v_lshlrev_b32_e32 v41, 24, v41
	v_cndmask_b32_e32 v45, v46, v45, vcc_lo
	v_and_b32_e32 v47, 7, v47
	v_and_b32_e32 v41, 0x80000000, v41
	v_lshl_add_u32 v45, v45, 23, 0x3b800000
	v_cndmask_b32_e32 v42, v42, v47, vcc_lo
	v_lshlrev_b32_e32 v42, 20, v42
	v_or3_b32 v42, v41, v45, v42
.LBB4_3205:                             ;   in Loop: Header=BB4_3033 Depth=2
	s_or_b32 exec_lo, exec_lo, s27
	v_add_f32_e32 v42, v44, v42
	v_and_b32_e32 v41, 0x7f800000, v42
	v_cmp_ne_u32_e32 vcc_lo, 0x7f800000, v41
	v_mov_b32_e32 v41, 0x80
	s_and_saveexec_b32 s27, vcc_lo
	s_cbranch_execz .LBB4_3213
; %bb.3206:                             ;   in Loop: Header=BB4_3033 Depth=2
	v_mov_b32_e32 v41, 0
	s_mov_b32 s28, exec_lo
	v_cmpx_ne_u32_e32 0, v42
	s_cbranch_execz .LBB4_3212
; %bb.3207:                             ;   in Loop: Header=BB4_3033 Depth=2
	v_bfe_u32 v41, v42, 23, 8
	v_and_b32_e32 v44, 0x7fffff, v42
	v_sub_nc_u32_e32 v45, 0x78, v41
	v_cmp_gt_u32_e32 vcc_lo, 0x79, v41
	v_or_b32_e32 v46, 0x800000, v44
	v_cndmask_b32_e32 v45, 0, v45, vcc_lo
	v_cmp_eq_u32_e32 vcc_lo, 0, v41
	v_add_nc_u32_e32 v41, 0xffffff89, v41
	v_cndmask_b32_e64 v45, v45, 0x77, vcc_lo
	v_cndmask_b32_e32 v44, v46, v44, vcc_lo
	v_cndmask_b32_e64 v41, v41, 0xffffff8a, vcc_lo
	v_lshl_add_u32 v46, 0x100000, v45, -1
	v_lshrrev_b32_e32 v47, v45, v44
	v_lshlrev_b32_e64 v57, v45, 0x80000
	v_add_nc_u32_e32 v45, v45, v41
	v_and_b32_e32 v44, v46, v44
	v_bfe_u32 v56, v47, 20, 1
	v_cmp_eq_u32_e64 s12, v44, v57
	v_add_nc_u32_e32 v46, -1, v56
	v_cndmask_b32_e64 v44, 0, v46, s12
	v_lshrrev_b32_e32 v46, 23, v47
	s_mov_b32 s12, exec_lo
	v_add_nc_u32_e32 v44, v44, v47
	v_xor_b32_e32 v46, 1, v46
	v_and_b32_e32 v41, 0xfffff, v44
	v_add_nc_u32_e32 v44, v41, v47
                                        ; implicit-def: $vgpr41
	v_cmpx_ne_u32_e64 v45, v46
	s_xor_b32 s12, exec_lo, s12
; %bb.3208:                             ;   in Loop: Header=BB4_3033 Depth=2
	v_cmp_lt_u32_e32 vcc_lo, 0xffffff, v44
	v_sub_nc_u32_e32 v41, v45, v46
	v_cndmask_b32_e64 v45, 0, 1, vcc_lo
	v_add_co_ci_u32_e64 v41, null, 0, v41, vcc_lo
	v_lshrrev_b32_e32 v44, v45, v44
; %bb.3209:                             ;   in Loop: Header=BB4_3033 Depth=2
	s_andn2_saveexec_b32 s12, s12
; %bb.3210:                             ;   in Loop: Header=BB4_3033 Depth=2
	v_bfe_u32 v41, v44, 23, 1
; %bb.3211:                             ;   in Loop: Header=BB4_3033 Depth=2
	s_or_b32 exec_lo, exec_lo, s12
	v_lshrrev_b32_e32 v44, 20, v44
	v_cmp_gt_i32_e32 vcc_lo, 16, v41
	v_min_i32_e32 v45, 15, v41
	v_and_b32_sdwa v42, v42, v97 dst_sel:DWORD dst_unused:UNUSED_PAD src0_sel:BYTE_3 src1_sel:DWORD
	v_cndmask_b32_e32 v44, 7, v44, vcc_lo
	v_lshlrev_b32_e32 v45, 3, v45
	v_and_b32_e32 v46, 7, v44
	v_or_b32_e32 v41, v41, v44
	v_or3_b32 v42, v45, v42, v46
	v_cmp_ne_u32_e32 vcc_lo, 0, v41
	v_cndmask_b32_e32 v41, 0, v42, vcc_lo
.LBB4_3212:                             ;   in Loop: Header=BB4_3033 Depth=2
	s_or_b32 exec_lo, exec_lo, s28
.LBB4_3213:                             ;   in Loop: Header=BB4_3033 Depth=2
	s_or_b32 exec_lo, exec_lo, s27
	v_cmp_gt_i16_sdwa s27, v119, v96 src0_sel:BYTE_0 src1_sel:DWORD
	s_mov_b32 s12, 0
	s_and_saveexec_b32 s28, s27
	s_xor_b32 s27, exec_lo, s28
	s_cbranch_execz .LBB4_3387
; %bb.3214:                             ;   in Loop: Header=BB4_3033 Depth=2
	v_cmp_eq_u16_sdwa s29, v119, v97 src0_sel:BYTE_0 src1_sel:DWORD
	s_mov_b32 s12, -1
	s_and_saveexec_b32 s28, s29
; %bb.3215:                             ;   in Loop: Header=BB4_3033 Depth=2
	s_xor_b32 s12, exec_lo, -1
; %bb.3216:                             ;   in Loop: Header=BB4_3033 Depth=2
	s_or_b32 exec_lo, exec_lo, s28
	s_and_b32 s12, s12, exec_lo
	s_or_saveexec_b32 s27, s27
	v_mov_b32_e32 v42, 0x7f800001
	s_xor_b32 exec_lo, exec_lo, s27
	s_cbranch_execnz .LBB4_3388
.LBB4_3217:                             ;   in Loop: Header=BB4_3033 Depth=2
	s_or_b32 exec_lo, exec_lo, s27
	s_and_saveexec_b32 s27, s12
	s_cbranch_execz .LBB4_3219
.LBB4_3218:                             ;   in Loop: Header=BB4_3033 Depth=2
	v_and_b32_e32 v42, 7, v119
	v_lshrrev_b16 v45, 3, v119
	v_ffbh_u32_e32 v44, v42
	v_and_b32_e32 v45, 15, v45
	v_min_u32_e32 v44, 32, v44
	v_cmp_eq_u32_e32 vcc_lo, 0, v45
	v_subrev_nc_u32_e32 v46, 28, v44
	v_sub_nc_u32_e32 v44, 29, v44
	v_lshlrev_b32_e32 v46, v46, v119
	v_lshlrev_b32_e32 v119, 24, v119
	v_cndmask_b32_e32 v44, v45, v44, vcc_lo
	v_and_b32_e32 v46, 7, v46
	v_and_b32_e32 v119, 0x80000000, v119
	v_lshl_add_u32 v44, v44, 23, 0x3b800000
	v_cndmask_b32_e32 v42, v42, v46, vcc_lo
	v_lshlrev_b32_e32 v42, 20, v42
	v_or3_b32 v42, v119, v44, v42
.LBB4_3219:                             ;   in Loop: Header=BB4_3033 Depth=2
	s_or_b32 exec_lo, exec_lo, s27
	s_waitcnt vmcnt(6) lgkmcnt(6)
	v_cmp_gt_i16_sdwa s27, v118, v96 src0_sel:BYTE_0 src1_sel:DWORD
	s_mov_b32 s12, 0
	s_and_saveexec_b32 s28, s27
	s_xor_b32 s27, exec_lo, s28
	s_cbranch_execz .LBB4_3389
; %bb.3220:                             ;   in Loop: Header=BB4_3033 Depth=2
	v_cmp_eq_u16_sdwa s29, v118, v97 src0_sel:BYTE_0 src1_sel:DWORD
	s_mov_b32 s12, -1
	s_and_saveexec_b32 s28, s29
; %bb.3221:                             ;   in Loop: Header=BB4_3033 Depth=2
	s_xor_b32 s12, exec_lo, -1
; %bb.3222:                             ;   in Loop: Header=BB4_3033 Depth=2
	s_or_b32 exec_lo, exec_lo, s28
	s_and_b32 s12, s12, exec_lo
	s_or_saveexec_b32 s27, s27
	v_mov_b32_e32 v119, 0x7f800001
	s_xor_b32 exec_lo, exec_lo, s27
	s_cbranch_execnz .LBB4_3390
.LBB4_3223:                             ;   in Loop: Header=BB4_3033 Depth=2
	s_or_b32 exec_lo, exec_lo, s27
	s_and_saveexec_b32 s27, s12
	s_cbranch_execz .LBB4_3225
.LBB4_3224:                             ;   in Loop: Header=BB4_3033 Depth=2
	v_and_b32_e32 v119, 7, v118
	v_lshrrev_b16 v45, 3, v118
	v_ffbh_u32_e32 v44, v119
	v_and_b32_e32 v45, 15, v45
	v_min_u32_e32 v44, 32, v44
	v_cmp_eq_u32_e32 vcc_lo, 0, v45
	v_subrev_nc_u32_e32 v46, 28, v44
	v_sub_nc_u32_e32 v44, 29, v44
	v_lshlrev_b32_e32 v46, v46, v118
	v_lshlrev_b32_e32 v118, 24, v118
	v_cndmask_b32_e32 v44, v45, v44, vcc_lo
	v_and_b32_e32 v46, 7, v46
	v_and_b32_e32 v118, 0x80000000, v118
	v_lshl_add_u32 v44, v44, 23, 0x3b800000
	v_cndmask_b32_e32 v119, v119, v46, vcc_lo
	v_lshlrev_b32_e32 v119, 20, v119
	v_or3_b32 v119, v118, v44, v119
.LBB4_3225:                             ;   in Loop: Header=BB4_3033 Depth=2
	s_or_b32 exec_lo, exec_lo, s27
	v_add_f32_e32 v119, v42, v119
	v_and_b32_e32 v118, 0x7f800000, v119
	v_cmp_ne_u32_e32 vcc_lo, 0x7f800000, v118
	v_mov_b32_e32 v118, 0x80
	s_and_saveexec_b32 s27, vcc_lo
	s_cbranch_execz .LBB4_3233
; %bb.3226:                             ;   in Loop: Header=BB4_3033 Depth=2
	v_mov_b32_e32 v118, 0
	s_mov_b32 s28, exec_lo
	v_cmpx_ne_u32_e32 0, v119
	s_cbranch_execz .LBB4_3232
; %bb.3227:                             ;   in Loop: Header=BB4_3033 Depth=2
	v_bfe_u32 v118, v119, 23, 8
	v_and_b32_e32 v42, 0x7fffff, v119
	v_sub_nc_u32_e32 v44, 0x78, v118
	v_cmp_gt_u32_e32 vcc_lo, 0x79, v118
	v_or_b32_e32 v45, 0x800000, v42
	v_cndmask_b32_e32 v44, 0, v44, vcc_lo
	v_cmp_eq_u32_e32 vcc_lo, 0, v118
	v_add_nc_u32_e32 v118, 0xffffff89, v118
	v_cndmask_b32_e64 v44, v44, 0x77, vcc_lo
	v_cndmask_b32_e32 v42, v45, v42, vcc_lo
	v_cndmask_b32_e64 v118, v118, 0xffffff8a, vcc_lo
	v_lshl_add_u32 v45, 0x100000, v44, -1
	v_lshrrev_b32_e32 v46, v44, v42
	v_lshlrev_b32_e64 v56, v44, 0x80000
	v_add_nc_u32_e32 v44, v44, v118
	v_and_b32_e32 v42, v45, v42
	v_bfe_u32 v47, v46, 20, 1
	v_cmp_eq_u32_e64 s12, v42, v56
	v_add_nc_u32_e32 v45, -1, v47
	v_cndmask_b32_e64 v42, 0, v45, s12
	v_lshrrev_b32_e32 v45, 23, v46
	s_mov_b32 s12, exec_lo
	v_add_nc_u32_e32 v42, v42, v46
	v_xor_b32_e32 v45, 1, v45
	v_and_b32_e32 v118, 0xfffff, v42
	v_add_nc_u32_e32 v42, v118, v46
                                        ; implicit-def: $vgpr118
	v_cmpx_ne_u32_e64 v44, v45
	s_xor_b32 s12, exec_lo, s12
; %bb.3228:                             ;   in Loop: Header=BB4_3033 Depth=2
	v_cmp_lt_u32_e32 vcc_lo, 0xffffff, v42
	v_sub_nc_u32_e32 v118, v44, v45
	v_cndmask_b32_e64 v44, 0, 1, vcc_lo
	v_add_co_ci_u32_e64 v118, null, 0, v118, vcc_lo
	v_lshrrev_b32_e32 v42, v44, v42
; %bb.3229:                             ;   in Loop: Header=BB4_3033 Depth=2
	s_andn2_saveexec_b32 s12, s12
; %bb.3230:                             ;   in Loop: Header=BB4_3033 Depth=2
	v_bfe_u32 v118, v42, 23, 1
; %bb.3231:                             ;   in Loop: Header=BB4_3033 Depth=2
	s_or_b32 exec_lo, exec_lo, s12
	v_lshrrev_b32_e32 v42, 20, v42
	v_cmp_gt_i32_e32 vcc_lo, 16, v118
	v_min_i32_e32 v44, 15, v118
	v_and_b32_sdwa v119, v119, v97 dst_sel:DWORD dst_unused:UNUSED_PAD src0_sel:BYTE_3 src1_sel:DWORD
	v_cndmask_b32_e32 v42, 7, v42, vcc_lo
	v_lshlrev_b32_e32 v44, 3, v44
	v_and_b32_e32 v45, 7, v42
	v_or_b32_e32 v118, v118, v42
	v_or3_b32 v119, v44, v119, v45
	v_cmp_ne_u32_e32 vcc_lo, 0, v118
	v_cndmask_b32_e32 v118, 0, v119, vcc_lo
.LBB4_3232:                             ;   in Loop: Header=BB4_3033 Depth=2
	s_or_b32 exec_lo, exec_lo, s28
.LBB4_3233:                             ;   in Loop: Header=BB4_3033 Depth=2
	s_or_b32 exec_lo, exec_lo, s27
	v_cmp_gt_i16_sdwa s27, v116, v96 src0_sel:BYTE_0 src1_sel:DWORD
	s_mov_b32 s12, 0
	s_and_saveexec_b32 s28, s27
	s_xor_b32 s27, exec_lo, s28
	s_cbranch_execz .LBB4_3391
; %bb.3234:                             ;   in Loop: Header=BB4_3033 Depth=2
	v_cmp_eq_u16_sdwa s29, v116, v97 src0_sel:BYTE_0 src1_sel:DWORD
	s_mov_b32 s12, -1
	s_and_saveexec_b32 s28, s29
; %bb.3235:                             ;   in Loop: Header=BB4_3033 Depth=2
	s_xor_b32 s12, exec_lo, -1
; %bb.3236:                             ;   in Loop: Header=BB4_3033 Depth=2
	s_or_b32 exec_lo, exec_lo, s28
	s_and_b32 s12, s12, exec_lo
	s_or_saveexec_b32 s27, s27
	v_mov_b32_e32 v119, 0x7f800001
	s_xor_b32 exec_lo, exec_lo, s27
	s_cbranch_execnz .LBB4_3392
.LBB4_3237:                             ;   in Loop: Header=BB4_3033 Depth=2
	s_or_b32 exec_lo, exec_lo, s27
	s_and_saveexec_b32 s27, s12
	s_cbranch_execz .LBB4_3239
.LBB4_3238:                             ;   in Loop: Header=BB4_3033 Depth=2
	v_and_b32_e32 v119, 7, v116
	v_lshrrev_b16 v44, 3, v116
	v_ffbh_u32_e32 v42, v119
	v_and_b32_e32 v44, 15, v44
	v_min_u32_e32 v42, 32, v42
	v_cmp_eq_u32_e32 vcc_lo, 0, v44
	v_subrev_nc_u32_e32 v45, 28, v42
	v_sub_nc_u32_e32 v42, 29, v42
	v_lshlrev_b32_e32 v45, v45, v116
	v_lshlrev_b32_e32 v116, 24, v116
	v_cndmask_b32_e32 v42, v44, v42, vcc_lo
	v_and_b32_e32 v45, 7, v45
	v_and_b32_e32 v116, 0x80000000, v116
	v_lshl_add_u32 v42, v42, 23, 0x3b800000
	v_cndmask_b32_e32 v119, v119, v45, vcc_lo
	v_lshlrev_b32_e32 v119, 20, v119
	v_or3_b32 v119, v116, v42, v119
.LBB4_3239:                             ;   in Loop: Header=BB4_3033 Depth=2
	s_or_b32 exec_lo, exec_lo, s27
	s_waitcnt vmcnt(5) lgkmcnt(5)
	v_cmp_gt_i16_sdwa s27, v115, v96 src0_sel:BYTE_0 src1_sel:DWORD
	s_mov_b32 s12, 0
	s_and_saveexec_b32 s28, s27
	s_xor_b32 s27, exec_lo, s28
	s_cbranch_execz .LBB4_3393
; %bb.3240:                             ;   in Loop: Header=BB4_3033 Depth=2
	v_cmp_eq_u16_sdwa s29, v115, v97 src0_sel:BYTE_0 src1_sel:DWORD
	s_mov_b32 s12, -1
	s_and_saveexec_b32 s28, s29
; %bb.3241:                             ;   in Loop: Header=BB4_3033 Depth=2
	s_xor_b32 s12, exec_lo, -1
; %bb.3242:                             ;   in Loop: Header=BB4_3033 Depth=2
	s_or_b32 exec_lo, exec_lo, s28
	s_and_b32 s12, s12, exec_lo
	s_or_saveexec_b32 s27, s27
	v_mov_b32_e32 v116, 0x7f800001
	s_xor_b32 exec_lo, exec_lo, s27
	s_cbranch_execnz .LBB4_3394
.LBB4_3243:                             ;   in Loop: Header=BB4_3033 Depth=2
	s_or_b32 exec_lo, exec_lo, s27
	s_and_saveexec_b32 s27, s12
	s_cbranch_execz .LBB4_3245
.LBB4_3244:                             ;   in Loop: Header=BB4_3033 Depth=2
	v_and_b32_e32 v116, 7, v115
	v_lshrrev_b16 v44, 3, v115
	v_ffbh_u32_e32 v42, v116
	v_and_b32_e32 v44, 15, v44
	v_min_u32_e32 v42, 32, v42
	v_cmp_eq_u32_e32 vcc_lo, 0, v44
	v_subrev_nc_u32_e32 v45, 28, v42
	v_sub_nc_u32_e32 v42, 29, v42
	v_lshlrev_b32_e32 v45, v45, v115
	v_lshlrev_b32_e32 v115, 24, v115
	v_cndmask_b32_e32 v42, v44, v42, vcc_lo
	v_and_b32_e32 v45, 7, v45
	v_and_b32_e32 v115, 0x80000000, v115
	v_lshl_add_u32 v42, v42, 23, 0x3b800000
	v_cndmask_b32_e32 v116, v116, v45, vcc_lo
	v_lshlrev_b32_e32 v116, 20, v116
	v_or3_b32 v116, v115, v42, v116
.LBB4_3245:                             ;   in Loop: Header=BB4_3033 Depth=2
	s_or_b32 exec_lo, exec_lo, s27
	v_add_f32_e32 v116, v119, v116
	v_and_b32_e32 v115, 0x7f800000, v116
	v_cmp_ne_u32_e32 vcc_lo, 0x7f800000, v115
	v_mov_b32_e32 v115, 0x80
	s_and_saveexec_b32 s27, vcc_lo
	s_cbranch_execz .LBB4_3253
; %bb.3246:                             ;   in Loop: Header=BB4_3033 Depth=2
	v_mov_b32_e32 v115, 0
	s_mov_b32 s28, exec_lo
	v_cmpx_ne_u32_e32 0, v116
	s_cbranch_execz .LBB4_3252
; %bb.3247:                             ;   in Loop: Header=BB4_3033 Depth=2
	v_bfe_u32 v115, v116, 23, 8
	v_and_b32_e32 v119, 0x7fffff, v116
	v_sub_nc_u32_e32 v42, 0x78, v115
	v_cmp_gt_u32_e32 vcc_lo, 0x79, v115
	v_or_b32_e32 v44, 0x800000, v119
	v_cndmask_b32_e32 v42, 0, v42, vcc_lo
	v_cmp_eq_u32_e32 vcc_lo, 0, v115
	v_add_nc_u32_e32 v115, 0xffffff89, v115
	v_cndmask_b32_e64 v42, v42, 0x77, vcc_lo
	v_cndmask_b32_e32 v119, v44, v119, vcc_lo
	v_cndmask_b32_e64 v115, v115, 0xffffff8a, vcc_lo
	v_lshl_add_u32 v44, 0x100000, v42, -1
	v_lshrrev_b32_e32 v45, v42, v119
	v_lshlrev_b32_e64 v47, v42, 0x80000
	v_add_nc_u32_e32 v42, v42, v115
	v_and_b32_e32 v119, v44, v119
	v_bfe_u32 v46, v45, 20, 1
	v_cmp_eq_u32_e64 s12, v119, v47
	v_add_nc_u32_e32 v44, -1, v46
	v_cndmask_b32_e64 v119, 0, v44, s12
	v_lshrrev_b32_e32 v44, 23, v45
	s_mov_b32 s12, exec_lo
	v_add_nc_u32_e32 v119, v119, v45
	v_xor_b32_e32 v44, 1, v44
	v_and_b32_e32 v115, 0xfffff, v119
	v_add_nc_u32_e32 v119, v115, v45
                                        ; implicit-def: $vgpr115
	v_cmpx_ne_u32_e64 v42, v44
	s_xor_b32 s12, exec_lo, s12
; %bb.3248:                             ;   in Loop: Header=BB4_3033 Depth=2
	v_cmp_lt_u32_e32 vcc_lo, 0xffffff, v119
	v_sub_nc_u32_e32 v115, v42, v44
	v_cndmask_b32_e64 v42, 0, 1, vcc_lo
	v_add_co_ci_u32_e64 v115, null, 0, v115, vcc_lo
	v_lshrrev_b32_e32 v119, v42, v119
; %bb.3249:                             ;   in Loop: Header=BB4_3033 Depth=2
	s_andn2_saveexec_b32 s12, s12
; %bb.3250:                             ;   in Loop: Header=BB4_3033 Depth=2
	v_bfe_u32 v115, v119, 23, 1
; %bb.3251:                             ;   in Loop: Header=BB4_3033 Depth=2
	s_or_b32 exec_lo, exec_lo, s12
	v_lshrrev_b32_e32 v119, 20, v119
	v_cmp_gt_i32_e32 vcc_lo, 16, v115
	v_min_i32_e32 v42, 15, v115
	v_and_b32_sdwa v116, v116, v97 dst_sel:DWORD dst_unused:UNUSED_PAD src0_sel:BYTE_3 src1_sel:DWORD
	v_cndmask_b32_e32 v119, 7, v119, vcc_lo
	v_lshlrev_b32_e32 v42, 3, v42
	v_and_b32_e32 v44, 7, v119
	v_or_b32_e32 v115, v115, v119
	v_or3_b32 v116, v42, v116, v44
	v_cmp_ne_u32_e32 vcc_lo, 0, v115
	v_cndmask_b32_e32 v115, 0, v116, vcc_lo
.LBB4_3252:                             ;   in Loop: Header=BB4_3033 Depth=2
	s_or_b32 exec_lo, exec_lo, s28
.LBB4_3253:                             ;   in Loop: Header=BB4_3033 Depth=2
	s_or_b32 exec_lo, exec_lo, s27
	v_cmp_gt_i16_sdwa s27, v80, v96 src0_sel:BYTE_0 src1_sel:DWORD
	s_mov_b32 s12, 0
	s_and_saveexec_b32 s28, s27
	s_xor_b32 s27, exec_lo, s28
	s_cbranch_execz .LBB4_3395
; %bb.3254:                             ;   in Loop: Header=BB4_3033 Depth=2
	v_cmp_eq_u16_sdwa s29, v80, v97 src0_sel:BYTE_0 src1_sel:DWORD
	s_mov_b32 s12, -1
	s_and_saveexec_b32 s28, s29
; %bb.3255:                             ;   in Loop: Header=BB4_3033 Depth=2
	s_xor_b32 s12, exec_lo, -1
; %bb.3256:                             ;   in Loop: Header=BB4_3033 Depth=2
	s_or_b32 exec_lo, exec_lo, s28
	s_and_b32 s12, s12, exec_lo
	s_or_saveexec_b32 s27, s27
	v_mov_b32_e32 v116, 0x7f800001
	s_xor_b32 exec_lo, exec_lo, s27
	s_cbranch_execnz .LBB4_3396
.LBB4_3257:                             ;   in Loop: Header=BB4_3033 Depth=2
	s_or_b32 exec_lo, exec_lo, s27
	s_and_saveexec_b32 s27, s12
	s_cbranch_execz .LBB4_3259
.LBB4_3258:                             ;   in Loop: Header=BB4_3033 Depth=2
	v_and_b32_e32 v116, 7, v80
	v_lshrrev_b16 v42, 3, v80
	v_ffbh_u32_e32 v119, v116
	v_and_b32_e32 v42, 15, v42
	v_min_u32_e32 v119, 32, v119
	v_cmp_eq_u32_e32 vcc_lo, 0, v42
	v_subrev_nc_u32_e32 v44, 28, v119
	v_sub_nc_u32_e32 v119, 29, v119
	v_lshlrev_b32_e32 v44, v44, v80
	v_lshlrev_b32_e32 v80, 24, v80
	v_cndmask_b32_e32 v119, v42, v119, vcc_lo
	v_and_b32_e32 v44, 7, v44
	v_and_b32_e32 v80, 0x80000000, v80
	v_lshl_add_u32 v119, v119, 23, 0x3b800000
	v_cndmask_b32_e32 v116, v116, v44, vcc_lo
	v_lshlrev_b32_e32 v116, 20, v116
	v_or3_b32 v116, v80, v119, v116
.LBB4_3259:                             ;   in Loop: Header=BB4_3033 Depth=2
	s_or_b32 exec_lo, exec_lo, s27
	s_waitcnt vmcnt(4) lgkmcnt(4)
	v_cmp_gt_i16_sdwa s27, v71, v96 src0_sel:BYTE_0 src1_sel:DWORD
	s_mov_b32 s12, 0
	s_and_saveexec_b32 s28, s27
	s_xor_b32 s27, exec_lo, s28
	s_cbranch_execz .LBB4_3397
; %bb.3260:                             ;   in Loop: Header=BB4_3033 Depth=2
	v_cmp_eq_u16_sdwa s29, v71, v97 src0_sel:BYTE_0 src1_sel:DWORD
	s_mov_b32 s12, -1
	s_and_saveexec_b32 s28, s29
; %bb.3261:                             ;   in Loop: Header=BB4_3033 Depth=2
	s_xor_b32 s12, exec_lo, -1
; %bb.3262:                             ;   in Loop: Header=BB4_3033 Depth=2
	s_or_b32 exec_lo, exec_lo, s28
	s_and_b32 s12, s12, exec_lo
	s_or_saveexec_b32 s27, s27
	v_mov_b32_e32 v80, 0x7f800001
	s_xor_b32 exec_lo, exec_lo, s27
	s_cbranch_execnz .LBB4_3398
.LBB4_3263:                             ;   in Loop: Header=BB4_3033 Depth=2
	s_or_b32 exec_lo, exec_lo, s27
	s_and_saveexec_b32 s27, s12
	s_cbranch_execz .LBB4_3265
.LBB4_3264:                             ;   in Loop: Header=BB4_3033 Depth=2
	v_and_b32_e32 v80, 7, v71
	v_lshrrev_b16 v42, 3, v71
	v_ffbh_u32_e32 v119, v80
	v_and_b32_e32 v42, 15, v42
	v_min_u32_e32 v119, 32, v119
	v_cmp_eq_u32_e32 vcc_lo, 0, v42
	v_subrev_nc_u32_e32 v44, 28, v119
	v_sub_nc_u32_e32 v119, 29, v119
	v_lshlrev_b32_e32 v44, v44, v71
	v_lshlrev_b32_e32 v71, 24, v71
	v_cndmask_b32_e32 v119, v42, v119, vcc_lo
	v_and_b32_e32 v44, 7, v44
	v_and_b32_e32 v71, 0x80000000, v71
	v_lshl_add_u32 v119, v119, 23, 0x3b800000
	v_cndmask_b32_e32 v80, v80, v44, vcc_lo
	v_lshlrev_b32_e32 v80, 20, v80
	v_or3_b32 v80, v71, v119, v80
.LBB4_3265:                             ;   in Loop: Header=BB4_3033 Depth=2
	s_or_b32 exec_lo, exec_lo, s27
	v_add_f32_e32 v80, v116, v80
	v_and_b32_e32 v71, 0x7f800000, v80
	v_cmp_ne_u32_e32 vcc_lo, 0x7f800000, v71
	v_mov_b32_e32 v71, 0x80
	s_and_saveexec_b32 s27, vcc_lo
	s_cbranch_execz .LBB4_3273
; %bb.3266:                             ;   in Loop: Header=BB4_3033 Depth=2
	v_mov_b32_e32 v71, 0
	s_mov_b32 s28, exec_lo
	v_cmpx_ne_u32_e32 0, v80
	s_cbranch_execz .LBB4_3272
; %bb.3267:                             ;   in Loop: Header=BB4_3033 Depth=2
	v_bfe_u32 v71, v80, 23, 8
	v_and_b32_e32 v116, 0x7fffff, v80
	v_sub_nc_u32_e32 v119, 0x78, v71
	v_cmp_gt_u32_e32 vcc_lo, 0x79, v71
	v_or_b32_e32 v42, 0x800000, v116
	v_cndmask_b32_e32 v119, 0, v119, vcc_lo
	v_cmp_eq_u32_e32 vcc_lo, 0, v71
	v_add_nc_u32_e32 v71, 0xffffff89, v71
	v_cndmask_b32_e64 v119, v119, 0x77, vcc_lo
	v_cndmask_b32_e32 v116, v42, v116, vcc_lo
	v_cndmask_b32_e64 v71, v71, 0xffffff8a, vcc_lo
	v_lshl_add_u32 v42, 0x100000, v119, -1
	v_lshrrev_b32_e32 v44, v119, v116
	v_lshlrev_b32_e64 v46, v119, 0x80000
	v_add_nc_u32_e32 v119, v119, v71
	v_and_b32_e32 v116, v42, v116
	v_bfe_u32 v45, v44, 20, 1
	v_cmp_eq_u32_e64 s12, v116, v46
	v_add_nc_u32_e32 v42, -1, v45
	v_cndmask_b32_e64 v116, 0, v42, s12
	v_lshrrev_b32_e32 v42, 23, v44
	s_mov_b32 s12, exec_lo
	v_add_nc_u32_e32 v116, v116, v44
	v_xor_b32_e32 v42, 1, v42
	v_and_b32_e32 v71, 0xfffff, v116
	v_add_nc_u32_e32 v116, v71, v44
                                        ; implicit-def: $vgpr71
	v_cmpx_ne_u32_e64 v119, v42
	s_xor_b32 s12, exec_lo, s12
; %bb.3268:                             ;   in Loop: Header=BB4_3033 Depth=2
	v_cmp_lt_u32_e32 vcc_lo, 0xffffff, v116
	v_sub_nc_u32_e32 v71, v119, v42
	v_cndmask_b32_e64 v119, 0, 1, vcc_lo
	v_add_co_ci_u32_e64 v71, null, 0, v71, vcc_lo
	v_lshrrev_b32_e32 v116, v119, v116
; %bb.3269:                             ;   in Loop: Header=BB4_3033 Depth=2
	s_andn2_saveexec_b32 s12, s12
; %bb.3270:                             ;   in Loop: Header=BB4_3033 Depth=2
	v_bfe_u32 v71, v116, 23, 1
; %bb.3271:                             ;   in Loop: Header=BB4_3033 Depth=2
	s_or_b32 exec_lo, exec_lo, s12
	v_lshrrev_b32_e32 v116, 20, v116
	v_cmp_gt_i32_e32 vcc_lo, 16, v71
	v_min_i32_e32 v119, 15, v71
	v_and_b32_sdwa v80, v80, v97 dst_sel:DWORD dst_unused:UNUSED_PAD src0_sel:BYTE_3 src1_sel:DWORD
	v_cndmask_b32_e32 v116, 7, v116, vcc_lo
	v_lshlrev_b32_e32 v119, 3, v119
	v_and_b32_e32 v42, 7, v116
	v_or_b32_e32 v71, v71, v116
	v_or3_b32 v80, v119, v80, v42
	v_cmp_ne_u32_e32 vcc_lo, 0, v71
	v_cndmask_b32_e32 v71, 0, v80, vcc_lo
.LBB4_3272:                             ;   in Loop: Header=BB4_3033 Depth=2
	s_or_b32 exec_lo, exec_lo, s28
.LBB4_3273:                             ;   in Loop: Header=BB4_3033 Depth=2
	s_or_b32 exec_lo, exec_lo, s27
	v_cmp_gt_i16_sdwa s27, v69, v96 src0_sel:BYTE_0 src1_sel:DWORD
	s_mov_b32 s12, 0
	s_and_saveexec_b32 s28, s27
	s_xor_b32 s27, exec_lo, s28
	s_cbranch_execz .LBB4_3399
; %bb.3274:                             ;   in Loop: Header=BB4_3033 Depth=2
	v_cmp_eq_u16_sdwa s29, v69, v97 src0_sel:BYTE_0 src1_sel:DWORD
	s_mov_b32 s12, -1
	s_and_saveexec_b32 s28, s29
; %bb.3275:                             ;   in Loop: Header=BB4_3033 Depth=2
	s_xor_b32 s12, exec_lo, -1
; %bb.3276:                             ;   in Loop: Header=BB4_3033 Depth=2
	s_or_b32 exec_lo, exec_lo, s28
	s_and_b32 s12, s12, exec_lo
	s_or_saveexec_b32 s27, s27
	v_mov_b32_e32 v80, 0x7f800001
	s_xor_b32 exec_lo, exec_lo, s27
	s_cbranch_execnz .LBB4_3400
.LBB4_3277:                             ;   in Loop: Header=BB4_3033 Depth=2
	s_or_b32 exec_lo, exec_lo, s27
	s_and_saveexec_b32 s27, s12
	s_cbranch_execz .LBB4_3279
.LBB4_3278:                             ;   in Loop: Header=BB4_3033 Depth=2
	v_and_b32_e32 v80, 7, v69
	v_lshrrev_b16 v119, 3, v69
	v_ffbh_u32_e32 v116, v80
	v_and_b32_e32 v119, 15, v119
	v_min_u32_e32 v116, 32, v116
	v_cmp_eq_u32_e32 vcc_lo, 0, v119
	v_subrev_nc_u32_e32 v42, 28, v116
	v_sub_nc_u32_e32 v116, 29, v116
	v_lshlrev_b32_e32 v42, v42, v69
	v_lshlrev_b32_e32 v69, 24, v69
	v_cndmask_b32_e32 v116, v119, v116, vcc_lo
	v_and_b32_e32 v42, 7, v42
	v_and_b32_e32 v69, 0x80000000, v69
	v_lshl_add_u32 v116, v116, 23, 0x3b800000
	v_cndmask_b32_e32 v80, v80, v42, vcc_lo
	v_lshlrev_b32_e32 v80, 20, v80
	v_or3_b32 v80, v69, v116, v80
.LBB4_3279:                             ;   in Loop: Header=BB4_3033 Depth=2
	s_or_b32 exec_lo, exec_lo, s27
	s_waitcnt vmcnt(3) lgkmcnt(3)
	v_cmp_gt_i16_sdwa s27, v68, v96 src0_sel:BYTE_0 src1_sel:DWORD
	s_mov_b32 s12, 0
	s_and_saveexec_b32 s28, s27
	s_xor_b32 s27, exec_lo, s28
	s_cbranch_execz .LBB4_3401
; %bb.3280:                             ;   in Loop: Header=BB4_3033 Depth=2
	v_cmp_eq_u16_sdwa s29, v68, v97 src0_sel:BYTE_0 src1_sel:DWORD
	s_mov_b32 s12, -1
	s_and_saveexec_b32 s28, s29
; %bb.3281:                             ;   in Loop: Header=BB4_3033 Depth=2
	s_xor_b32 s12, exec_lo, -1
; %bb.3282:                             ;   in Loop: Header=BB4_3033 Depth=2
	s_or_b32 exec_lo, exec_lo, s28
	s_and_b32 s12, s12, exec_lo
	s_or_saveexec_b32 s27, s27
	v_mov_b32_e32 v69, 0x7f800001
	s_xor_b32 exec_lo, exec_lo, s27
	s_cbranch_execnz .LBB4_3402
.LBB4_3283:                             ;   in Loop: Header=BB4_3033 Depth=2
	s_or_b32 exec_lo, exec_lo, s27
	s_and_saveexec_b32 s27, s12
	s_cbranch_execz .LBB4_3285
.LBB4_3284:                             ;   in Loop: Header=BB4_3033 Depth=2
	v_and_b32_e32 v69, 7, v68
	v_lshrrev_b16 v119, 3, v68
	v_ffbh_u32_e32 v116, v69
	v_and_b32_e32 v119, 15, v119
	v_min_u32_e32 v116, 32, v116
	v_cmp_eq_u32_e32 vcc_lo, 0, v119
	v_subrev_nc_u32_e32 v42, 28, v116
	v_sub_nc_u32_e32 v116, 29, v116
	v_lshlrev_b32_e32 v42, v42, v68
	v_lshlrev_b32_e32 v68, 24, v68
	v_cndmask_b32_e32 v116, v119, v116, vcc_lo
	v_and_b32_e32 v42, 7, v42
	v_and_b32_e32 v68, 0x80000000, v68
	v_lshl_add_u32 v116, v116, 23, 0x3b800000
	v_cndmask_b32_e32 v69, v69, v42, vcc_lo
	v_lshlrev_b32_e32 v69, 20, v69
	v_or3_b32 v69, v68, v116, v69
.LBB4_3285:                             ;   in Loop: Header=BB4_3033 Depth=2
	s_or_b32 exec_lo, exec_lo, s27
	v_add_f32_e32 v69, v80, v69
	v_and_b32_e32 v68, 0x7f800000, v69
	v_cmp_ne_u32_e32 vcc_lo, 0x7f800000, v68
	v_mov_b32_e32 v68, 0x80
	s_and_saveexec_b32 s27, vcc_lo
	s_cbranch_execz .LBB4_3293
; %bb.3286:                             ;   in Loop: Header=BB4_3033 Depth=2
	v_mov_b32_e32 v68, 0
	s_mov_b32 s28, exec_lo
	v_cmpx_ne_u32_e32 0, v69
	s_cbranch_execz .LBB4_3292
; %bb.3287:                             ;   in Loop: Header=BB4_3033 Depth=2
	v_bfe_u32 v68, v69, 23, 8
	v_and_b32_e32 v80, 0x7fffff, v69
	v_sub_nc_u32_e32 v116, 0x78, v68
	v_cmp_gt_u32_e32 vcc_lo, 0x79, v68
	v_or_b32_e32 v119, 0x800000, v80
	v_cndmask_b32_e32 v116, 0, v116, vcc_lo
	v_cmp_eq_u32_e32 vcc_lo, 0, v68
	v_add_nc_u32_e32 v68, 0xffffff89, v68
	v_cndmask_b32_e64 v116, v116, 0x77, vcc_lo
	v_cndmask_b32_e32 v80, v119, v80, vcc_lo
	v_cndmask_b32_e64 v68, v68, 0xffffff8a, vcc_lo
	v_lshl_add_u32 v119, 0x100000, v116, -1
	v_lshrrev_b32_e32 v42, v116, v80
	v_lshlrev_b32_e64 v45, v116, 0x80000
	v_add_nc_u32_e32 v116, v116, v68
	v_and_b32_e32 v80, v119, v80
	v_bfe_u32 v44, v42, 20, 1
	v_cmp_eq_u32_e64 s12, v80, v45
	v_add_nc_u32_e32 v119, -1, v44
	v_cndmask_b32_e64 v80, 0, v119, s12
	v_lshrrev_b32_e32 v119, 23, v42
	s_mov_b32 s12, exec_lo
	v_add_nc_u32_e32 v80, v80, v42
	v_xor_b32_e32 v119, 1, v119
	v_and_b32_e32 v68, 0xfffff, v80
	v_add_nc_u32_e32 v80, v68, v42
                                        ; implicit-def: $vgpr68
	v_cmpx_ne_u32_e64 v116, v119
	s_xor_b32 s12, exec_lo, s12
; %bb.3288:                             ;   in Loop: Header=BB4_3033 Depth=2
	v_cmp_lt_u32_e32 vcc_lo, 0xffffff, v80
	v_sub_nc_u32_e32 v68, v116, v119
	v_cndmask_b32_e64 v116, 0, 1, vcc_lo
	v_add_co_ci_u32_e64 v68, null, 0, v68, vcc_lo
	v_lshrrev_b32_e32 v80, v116, v80
; %bb.3289:                             ;   in Loop: Header=BB4_3033 Depth=2
	s_andn2_saveexec_b32 s12, s12
; %bb.3290:                             ;   in Loop: Header=BB4_3033 Depth=2
	v_bfe_u32 v68, v80, 23, 1
; %bb.3291:                             ;   in Loop: Header=BB4_3033 Depth=2
	s_or_b32 exec_lo, exec_lo, s12
	v_lshrrev_b32_e32 v80, 20, v80
	v_cmp_gt_i32_e32 vcc_lo, 16, v68
	v_min_i32_e32 v116, 15, v68
	v_and_b32_sdwa v69, v69, v97 dst_sel:DWORD dst_unused:UNUSED_PAD src0_sel:BYTE_3 src1_sel:DWORD
	v_cndmask_b32_e32 v80, 7, v80, vcc_lo
	v_lshlrev_b32_e32 v116, 3, v116
	v_and_b32_e32 v119, 7, v80
	v_or_b32_e32 v68, v68, v80
	v_or3_b32 v69, v116, v69, v119
	v_cmp_ne_u32_e32 vcc_lo, 0, v68
	v_cndmask_b32_e32 v68, 0, v69, vcc_lo
.LBB4_3292:                             ;   in Loop: Header=BB4_3033 Depth=2
	s_or_b32 exec_lo, exec_lo, s28
.LBB4_3293:                             ;   in Loop: Header=BB4_3033 Depth=2
	s_or_b32 exec_lo, exec_lo, s27
	v_cmp_gt_i16_sdwa s27, v66, v96 src0_sel:BYTE_0 src1_sel:DWORD
	s_mov_b32 s12, 0
	s_and_saveexec_b32 s28, s27
	s_xor_b32 s27, exec_lo, s28
	s_cbranch_execz .LBB4_3403
; %bb.3294:                             ;   in Loop: Header=BB4_3033 Depth=2
	v_cmp_eq_u16_sdwa s29, v66, v97 src0_sel:BYTE_0 src1_sel:DWORD
	s_mov_b32 s12, -1
	s_and_saveexec_b32 s28, s29
; %bb.3295:                             ;   in Loop: Header=BB4_3033 Depth=2
	s_xor_b32 s12, exec_lo, -1
; %bb.3296:                             ;   in Loop: Header=BB4_3033 Depth=2
	s_or_b32 exec_lo, exec_lo, s28
	s_and_b32 s12, s12, exec_lo
	s_or_saveexec_b32 s27, s27
	v_mov_b32_e32 v69, 0x7f800001
	s_xor_b32 exec_lo, exec_lo, s27
	s_cbranch_execnz .LBB4_3404
.LBB4_3297:                             ;   in Loop: Header=BB4_3033 Depth=2
	s_or_b32 exec_lo, exec_lo, s27
	s_and_saveexec_b32 s27, s12
	s_cbranch_execz .LBB4_3299
.LBB4_3298:                             ;   in Loop: Header=BB4_3033 Depth=2
	v_and_b32_e32 v69, 7, v66
	v_lshrrev_b16 v116, 3, v66
	v_ffbh_u32_e32 v80, v69
	v_and_b32_e32 v116, 15, v116
	v_min_u32_e32 v80, 32, v80
	v_cmp_eq_u32_e32 vcc_lo, 0, v116
	v_subrev_nc_u32_e32 v119, 28, v80
	v_sub_nc_u32_e32 v80, 29, v80
	v_lshlrev_b32_e32 v119, v119, v66
	v_lshlrev_b32_e32 v66, 24, v66
	v_cndmask_b32_e32 v80, v116, v80, vcc_lo
	v_and_b32_e32 v119, 7, v119
	v_and_b32_e32 v66, 0x80000000, v66
	v_lshl_add_u32 v80, v80, 23, 0x3b800000
	v_cndmask_b32_e32 v69, v69, v119, vcc_lo
	v_lshlrev_b32_e32 v69, 20, v69
	v_or3_b32 v69, v66, v80, v69
.LBB4_3299:                             ;   in Loop: Header=BB4_3033 Depth=2
	s_or_b32 exec_lo, exec_lo, s27
	s_waitcnt vmcnt(2) lgkmcnt(2)
	v_cmp_gt_i16_sdwa s27, v65, v96 src0_sel:BYTE_0 src1_sel:DWORD
	s_mov_b32 s12, 0
	s_and_saveexec_b32 s28, s27
	s_xor_b32 s27, exec_lo, s28
	s_cbranch_execz .LBB4_3405
; %bb.3300:                             ;   in Loop: Header=BB4_3033 Depth=2
	v_cmp_eq_u16_sdwa s29, v65, v97 src0_sel:BYTE_0 src1_sel:DWORD
	s_mov_b32 s12, -1
	s_and_saveexec_b32 s28, s29
; %bb.3301:                             ;   in Loop: Header=BB4_3033 Depth=2
	s_xor_b32 s12, exec_lo, -1
; %bb.3302:                             ;   in Loop: Header=BB4_3033 Depth=2
	s_or_b32 exec_lo, exec_lo, s28
	s_and_b32 s12, s12, exec_lo
	s_or_saveexec_b32 s27, s27
	v_mov_b32_e32 v66, 0x7f800001
	s_xor_b32 exec_lo, exec_lo, s27
	s_cbranch_execnz .LBB4_3406
.LBB4_3303:                             ;   in Loop: Header=BB4_3033 Depth=2
	s_or_b32 exec_lo, exec_lo, s27
	s_and_saveexec_b32 s27, s12
	s_cbranch_execz .LBB4_3305
.LBB4_3304:                             ;   in Loop: Header=BB4_3033 Depth=2
	v_and_b32_e32 v66, 7, v65
	v_lshrrev_b16 v116, 3, v65
	v_ffbh_u32_e32 v80, v66
	v_and_b32_e32 v116, 15, v116
	v_min_u32_e32 v80, 32, v80
	v_cmp_eq_u32_e32 vcc_lo, 0, v116
	v_subrev_nc_u32_e32 v119, 28, v80
	v_sub_nc_u32_e32 v80, 29, v80
	v_lshlrev_b32_e32 v119, v119, v65
	v_lshlrev_b32_e32 v65, 24, v65
	v_cndmask_b32_e32 v80, v116, v80, vcc_lo
	v_and_b32_e32 v119, 7, v119
	v_and_b32_e32 v65, 0x80000000, v65
	v_lshl_add_u32 v80, v80, 23, 0x3b800000
	v_cndmask_b32_e32 v66, v66, v119, vcc_lo
	v_lshlrev_b32_e32 v66, 20, v66
	v_or3_b32 v66, v65, v80, v66
.LBB4_3305:                             ;   in Loop: Header=BB4_3033 Depth=2
	s_or_b32 exec_lo, exec_lo, s27
	v_add_f32_e32 v66, v69, v66
	v_and_b32_e32 v65, 0x7f800000, v66
	v_cmp_ne_u32_e32 vcc_lo, 0x7f800000, v65
	v_mov_b32_e32 v65, 0x80
	s_and_saveexec_b32 s27, vcc_lo
	s_cbranch_execz .LBB4_3313
; %bb.3306:                             ;   in Loop: Header=BB4_3033 Depth=2
	v_mov_b32_e32 v65, 0
	s_mov_b32 s28, exec_lo
	v_cmpx_ne_u32_e32 0, v66
	s_cbranch_execz .LBB4_3312
; %bb.3307:                             ;   in Loop: Header=BB4_3033 Depth=2
	v_bfe_u32 v65, v66, 23, 8
	v_and_b32_e32 v69, 0x7fffff, v66
	v_sub_nc_u32_e32 v80, 0x78, v65
	v_cmp_gt_u32_e32 vcc_lo, 0x79, v65
	v_or_b32_e32 v116, 0x800000, v69
	v_cndmask_b32_e32 v80, 0, v80, vcc_lo
	v_cmp_eq_u32_e32 vcc_lo, 0, v65
	v_add_nc_u32_e32 v65, 0xffffff89, v65
	v_cndmask_b32_e64 v80, v80, 0x77, vcc_lo
	v_cndmask_b32_e32 v69, v116, v69, vcc_lo
	v_cndmask_b32_e64 v65, v65, 0xffffff8a, vcc_lo
	v_lshl_add_u32 v116, 0x100000, v80, -1
	v_lshrrev_b32_e32 v119, v80, v69
	v_lshlrev_b32_e64 v44, v80, 0x80000
	v_add_nc_u32_e32 v80, v80, v65
	v_and_b32_e32 v69, v116, v69
	v_bfe_u32 v42, v119, 20, 1
	v_cmp_eq_u32_e64 s12, v69, v44
	v_add_nc_u32_e32 v116, -1, v42
	v_cndmask_b32_e64 v69, 0, v116, s12
	v_lshrrev_b32_e32 v116, 23, v119
	s_mov_b32 s12, exec_lo
	v_add_nc_u32_e32 v69, v69, v119
	v_xor_b32_e32 v116, 1, v116
	v_and_b32_e32 v65, 0xfffff, v69
	v_add_nc_u32_e32 v69, v65, v119
                                        ; implicit-def: $vgpr65
	v_cmpx_ne_u32_e64 v80, v116
	s_xor_b32 s12, exec_lo, s12
; %bb.3308:                             ;   in Loop: Header=BB4_3033 Depth=2
	v_cmp_lt_u32_e32 vcc_lo, 0xffffff, v69
	v_sub_nc_u32_e32 v65, v80, v116
	v_cndmask_b32_e64 v80, 0, 1, vcc_lo
	v_add_co_ci_u32_e64 v65, null, 0, v65, vcc_lo
	v_lshrrev_b32_e32 v69, v80, v69
; %bb.3309:                             ;   in Loop: Header=BB4_3033 Depth=2
	s_andn2_saveexec_b32 s12, s12
; %bb.3310:                             ;   in Loop: Header=BB4_3033 Depth=2
	v_bfe_u32 v65, v69, 23, 1
; %bb.3311:                             ;   in Loop: Header=BB4_3033 Depth=2
	s_or_b32 exec_lo, exec_lo, s12
	v_lshrrev_b32_e32 v69, 20, v69
	v_cmp_gt_i32_e32 vcc_lo, 16, v65
	v_min_i32_e32 v80, 15, v65
	v_and_b32_sdwa v66, v66, v97 dst_sel:DWORD dst_unused:UNUSED_PAD src0_sel:BYTE_3 src1_sel:DWORD
	v_cndmask_b32_e32 v69, 7, v69, vcc_lo
	v_lshlrev_b32_e32 v80, 3, v80
	v_and_b32_e32 v116, 7, v69
	v_or_b32_e32 v65, v65, v69
	v_or3_b32 v66, v80, v66, v116
	v_cmp_ne_u32_e32 vcc_lo, 0, v65
	v_cndmask_b32_e32 v65, 0, v66, vcc_lo
.LBB4_3312:                             ;   in Loop: Header=BB4_3033 Depth=2
	s_or_b32 exec_lo, exec_lo, s28
.LBB4_3313:                             ;   in Loop: Header=BB4_3033 Depth=2
	s_or_b32 exec_lo, exec_lo, s27
	v_cmp_gt_i16_sdwa s27, v25, v96 src0_sel:BYTE_0 src1_sel:DWORD
	s_mov_b32 s12, 0
	s_and_saveexec_b32 s28, s27
	s_xor_b32 s27, exec_lo, s28
	s_cbranch_execz .LBB4_3407
; %bb.3314:                             ;   in Loop: Header=BB4_3033 Depth=2
	v_cmp_eq_u16_sdwa s29, v25, v97 src0_sel:BYTE_0 src1_sel:DWORD
	s_mov_b32 s12, -1
	s_and_saveexec_b32 s28, s29
; %bb.3315:                             ;   in Loop: Header=BB4_3033 Depth=2
	s_xor_b32 s12, exec_lo, -1
; %bb.3316:                             ;   in Loop: Header=BB4_3033 Depth=2
	s_or_b32 exec_lo, exec_lo, s28
	s_and_b32 s12, s12, exec_lo
	s_or_saveexec_b32 s27, s27
	v_mov_b32_e32 v66, 0x7f800001
	s_xor_b32 exec_lo, exec_lo, s27
	s_cbranch_execnz .LBB4_3408
.LBB4_3317:                             ;   in Loop: Header=BB4_3033 Depth=2
	s_or_b32 exec_lo, exec_lo, s27
	s_and_saveexec_b32 s27, s12
	s_cbranch_execz .LBB4_3319
.LBB4_3318:                             ;   in Loop: Header=BB4_3033 Depth=2
	v_and_b32_e32 v66, 7, v25
	v_lshrrev_b16 v80, 3, v25
	v_ffbh_u32_e32 v69, v66
	v_and_b32_e32 v80, 15, v80
	v_min_u32_e32 v69, 32, v69
	v_cmp_eq_u32_e32 vcc_lo, 0, v80
	v_subrev_nc_u32_e32 v116, 28, v69
	v_sub_nc_u32_e32 v69, 29, v69
	v_lshlrev_b32_e32 v116, v116, v25
	v_lshlrev_b32_e32 v25, 24, v25
	v_cndmask_b32_e32 v69, v80, v69, vcc_lo
	v_and_b32_e32 v116, 7, v116
	v_and_b32_e32 v25, 0x80000000, v25
	v_lshl_add_u32 v69, v69, 23, 0x3b800000
	v_cndmask_b32_e32 v66, v66, v116, vcc_lo
	v_lshlrev_b32_e32 v66, 20, v66
	v_or3_b32 v66, v25, v69, v66
.LBB4_3319:                             ;   in Loop: Header=BB4_3033 Depth=2
	s_or_b32 exec_lo, exec_lo, s27
	s_waitcnt vmcnt(1) lgkmcnt(1)
	v_cmp_gt_i16_sdwa s27, v24, v96 src0_sel:BYTE_0 src1_sel:DWORD
	s_mov_b32 s12, 0
	s_and_saveexec_b32 s28, s27
	s_xor_b32 s27, exec_lo, s28
	s_cbranch_execz .LBB4_3409
; %bb.3320:                             ;   in Loop: Header=BB4_3033 Depth=2
	v_cmp_eq_u16_sdwa s29, v24, v97 src0_sel:BYTE_0 src1_sel:DWORD
	s_mov_b32 s12, -1
	s_and_saveexec_b32 s28, s29
; %bb.3321:                             ;   in Loop: Header=BB4_3033 Depth=2
	s_xor_b32 s12, exec_lo, -1
; %bb.3322:                             ;   in Loop: Header=BB4_3033 Depth=2
	s_or_b32 exec_lo, exec_lo, s28
	s_and_b32 s12, s12, exec_lo
	s_or_saveexec_b32 s27, s27
	v_mov_b32_e32 v25, 0x7f800001
	s_xor_b32 exec_lo, exec_lo, s27
	s_cbranch_execnz .LBB4_3410
.LBB4_3323:                             ;   in Loop: Header=BB4_3033 Depth=2
	s_or_b32 exec_lo, exec_lo, s27
	s_and_saveexec_b32 s27, s12
	s_cbranch_execz .LBB4_3325
.LBB4_3324:                             ;   in Loop: Header=BB4_3033 Depth=2
	v_and_b32_e32 v25, 7, v24
	v_lshrrev_b16 v80, 3, v24
	v_ffbh_u32_e32 v69, v25
	v_and_b32_e32 v80, 15, v80
	v_min_u32_e32 v69, 32, v69
	v_cmp_eq_u32_e32 vcc_lo, 0, v80
	v_subrev_nc_u32_e32 v116, 28, v69
	v_sub_nc_u32_e32 v69, 29, v69
	v_lshlrev_b32_e32 v116, v116, v24
	v_lshlrev_b32_e32 v24, 24, v24
	v_cndmask_b32_e32 v69, v80, v69, vcc_lo
	v_and_b32_e32 v116, 7, v116
	v_and_b32_e32 v24, 0x80000000, v24
	v_lshl_add_u32 v69, v69, 23, 0x3b800000
	v_cndmask_b32_e32 v25, v25, v116, vcc_lo
	v_lshlrev_b32_e32 v25, 20, v25
	v_or3_b32 v25, v24, v69, v25
.LBB4_3325:                             ;   in Loop: Header=BB4_3033 Depth=2
	s_or_b32 exec_lo, exec_lo, s27
	v_add_f32_e32 v25, v66, v25
	v_and_b32_e32 v24, 0x7f800000, v25
	v_cmp_ne_u32_e32 vcc_lo, 0x7f800000, v24
	v_mov_b32_e32 v24, 0x80
	s_and_saveexec_b32 s27, vcc_lo
	s_cbranch_execz .LBB4_3333
; %bb.3326:                             ;   in Loop: Header=BB4_3033 Depth=2
	v_mov_b32_e32 v24, 0
	s_mov_b32 s28, exec_lo
	v_cmpx_ne_u32_e32 0, v25
	s_cbranch_execz .LBB4_3332
; %bb.3327:                             ;   in Loop: Header=BB4_3033 Depth=2
	v_bfe_u32 v24, v25, 23, 8
	v_and_b32_e32 v66, 0x7fffff, v25
	v_sub_nc_u32_e32 v69, 0x78, v24
	v_cmp_gt_u32_e32 vcc_lo, 0x79, v24
	v_or_b32_e32 v80, 0x800000, v66
	v_cndmask_b32_e32 v69, 0, v69, vcc_lo
	v_cmp_eq_u32_e32 vcc_lo, 0, v24
	v_add_nc_u32_e32 v24, 0xffffff89, v24
	v_cndmask_b32_e64 v69, v69, 0x77, vcc_lo
	v_cndmask_b32_e32 v66, v80, v66, vcc_lo
	v_cndmask_b32_e64 v24, v24, 0xffffff8a, vcc_lo
	v_lshl_add_u32 v80, 0x100000, v69, -1
	v_lshrrev_b32_e32 v116, v69, v66
	v_lshlrev_b32_e64 v42, v69, 0x80000
	v_add_nc_u32_e32 v69, v69, v24
	v_and_b32_e32 v66, v80, v66
	v_bfe_u32 v119, v116, 20, 1
	v_cmp_eq_u32_e64 s12, v66, v42
	v_add_nc_u32_e32 v80, -1, v119
	v_cndmask_b32_e64 v66, 0, v80, s12
	v_lshrrev_b32_e32 v80, 23, v116
	s_mov_b32 s12, exec_lo
	v_add_nc_u32_e32 v66, v66, v116
	v_xor_b32_e32 v80, 1, v80
	v_and_b32_e32 v24, 0xfffff, v66
	v_add_nc_u32_e32 v66, v24, v116
                                        ; implicit-def: $vgpr24
	v_cmpx_ne_u32_e64 v69, v80
	s_xor_b32 s12, exec_lo, s12
; %bb.3328:                             ;   in Loop: Header=BB4_3033 Depth=2
	v_cmp_lt_u32_e32 vcc_lo, 0xffffff, v66
	v_sub_nc_u32_e32 v24, v69, v80
	v_cndmask_b32_e64 v69, 0, 1, vcc_lo
	v_add_co_ci_u32_e64 v24, null, 0, v24, vcc_lo
	v_lshrrev_b32_e32 v66, v69, v66
; %bb.3329:                             ;   in Loop: Header=BB4_3033 Depth=2
	s_andn2_saveexec_b32 s12, s12
; %bb.3330:                             ;   in Loop: Header=BB4_3033 Depth=2
	v_bfe_u32 v24, v66, 23, 1
; %bb.3331:                             ;   in Loop: Header=BB4_3033 Depth=2
	s_or_b32 exec_lo, exec_lo, s12
	v_lshrrev_b32_e32 v66, 20, v66
	v_cmp_gt_i32_e32 vcc_lo, 16, v24
	v_min_i32_e32 v69, 15, v24
	v_and_b32_sdwa v25, v25, v97 dst_sel:DWORD dst_unused:UNUSED_PAD src0_sel:BYTE_3 src1_sel:DWORD
	v_cndmask_b32_e32 v66, 7, v66, vcc_lo
	v_lshlrev_b32_e32 v69, 3, v69
	v_and_b32_e32 v80, 7, v66
	v_or_b32_e32 v24, v24, v66
	v_or3_b32 v25, v69, v25, v80
	v_cmp_ne_u32_e32 vcc_lo, 0, v24
	v_cndmask_b32_e32 v24, 0, v25, vcc_lo
.LBB4_3332:                             ;   in Loop: Header=BB4_3033 Depth=2
	s_or_b32 exec_lo, exec_lo, s28
.LBB4_3333:                             ;   in Loop: Header=BB4_3033 Depth=2
	s_or_b32 exec_lo, exec_lo, s27
	v_cmp_gt_i16_sdwa s27, v22, v96 src0_sel:BYTE_0 src1_sel:DWORD
	s_mov_b32 s12, 0
	s_and_saveexec_b32 s28, s27
	s_xor_b32 s27, exec_lo, s28
	s_cbranch_execz .LBB4_3411
; %bb.3334:                             ;   in Loop: Header=BB4_3033 Depth=2
	v_cmp_eq_u16_sdwa s29, v22, v97 src0_sel:BYTE_0 src1_sel:DWORD
	s_mov_b32 s12, -1
	s_and_saveexec_b32 s28, s29
; %bb.3335:                             ;   in Loop: Header=BB4_3033 Depth=2
	s_xor_b32 s12, exec_lo, -1
; %bb.3336:                             ;   in Loop: Header=BB4_3033 Depth=2
	s_or_b32 exec_lo, exec_lo, s28
	s_and_b32 s12, s12, exec_lo
	s_or_saveexec_b32 s27, s27
	v_mov_b32_e32 v25, 0x7f800001
	s_xor_b32 exec_lo, exec_lo, s27
	s_cbranch_execnz .LBB4_3412
.LBB4_3337:                             ;   in Loop: Header=BB4_3033 Depth=2
	s_or_b32 exec_lo, exec_lo, s27
	s_and_saveexec_b32 s27, s12
	s_cbranch_execz .LBB4_3339
.LBB4_3338:                             ;   in Loop: Header=BB4_3033 Depth=2
	v_and_b32_e32 v25, 7, v22
	v_lshrrev_b16 v69, 3, v22
	v_ffbh_u32_e32 v66, v25
	v_and_b32_e32 v69, 15, v69
	v_min_u32_e32 v66, 32, v66
	v_cmp_eq_u32_e32 vcc_lo, 0, v69
	v_subrev_nc_u32_e32 v80, 28, v66
	v_sub_nc_u32_e32 v66, 29, v66
	v_lshlrev_b32_e32 v80, v80, v22
	v_lshlrev_b32_e32 v22, 24, v22
	v_cndmask_b32_e32 v66, v69, v66, vcc_lo
	v_and_b32_e32 v80, 7, v80
	v_and_b32_e32 v22, 0x80000000, v22
	v_lshl_add_u32 v66, v66, 23, 0x3b800000
	v_cndmask_b32_e32 v25, v25, v80, vcc_lo
	v_lshlrev_b32_e32 v25, 20, v25
	v_or3_b32 v25, v22, v66, v25
.LBB4_3339:                             ;   in Loop: Header=BB4_3033 Depth=2
	s_or_b32 exec_lo, exec_lo, s27
	s_waitcnt vmcnt(0) lgkmcnt(0)
	v_cmp_gt_i16_sdwa s27, v21, v96 src0_sel:BYTE_0 src1_sel:DWORD
	s_mov_b32 s12, 0
	s_and_saveexec_b32 s28, s27
	s_xor_b32 s27, exec_lo, s28
	s_cbranch_execz .LBB4_3413
; %bb.3340:                             ;   in Loop: Header=BB4_3033 Depth=2
	v_cmp_eq_u16_sdwa s29, v21, v97 src0_sel:BYTE_0 src1_sel:DWORD
	s_mov_b32 s12, -1
	s_and_saveexec_b32 s28, s29
; %bb.3341:                             ;   in Loop: Header=BB4_3033 Depth=2
	s_xor_b32 s12, exec_lo, -1
; %bb.3342:                             ;   in Loop: Header=BB4_3033 Depth=2
	s_or_b32 exec_lo, exec_lo, s28
	s_and_b32 s12, s12, exec_lo
	s_or_saveexec_b32 s27, s27
	v_mov_b32_e32 v22, 0x7f800001
	s_xor_b32 exec_lo, exec_lo, s27
	s_cbranch_execnz .LBB4_3414
.LBB4_3343:                             ;   in Loop: Header=BB4_3033 Depth=2
	s_or_b32 exec_lo, exec_lo, s27
	s_and_saveexec_b32 s27, s12
	s_cbranch_execz .LBB4_3345
.LBB4_3344:                             ;   in Loop: Header=BB4_3033 Depth=2
	v_and_b32_e32 v22, 7, v21
	v_lshrrev_b16 v69, 3, v21
	v_ffbh_u32_e32 v66, v22
	v_and_b32_e32 v69, 15, v69
	v_min_u32_e32 v66, 32, v66
	v_cmp_eq_u32_e32 vcc_lo, 0, v69
	v_subrev_nc_u32_e32 v80, 28, v66
	v_sub_nc_u32_e32 v66, 29, v66
	v_lshlrev_b32_e32 v80, v80, v21
	v_lshlrev_b32_e32 v21, 24, v21
	v_cndmask_b32_e32 v66, v69, v66, vcc_lo
	v_and_b32_e32 v80, 7, v80
	v_and_b32_e32 v21, 0x80000000, v21
	v_lshl_add_u32 v66, v66, 23, 0x3b800000
	v_cndmask_b32_e32 v22, v22, v80, vcc_lo
	v_lshlrev_b32_e32 v22, 20, v22
	v_or3_b32 v22, v21, v66, v22
.LBB4_3345:                             ;   in Loop: Header=BB4_3033 Depth=2
	s_or_b32 exec_lo, exec_lo, s27
	v_add_f32_e32 v22, v25, v22
	v_and_b32_e32 v21, 0x7f800000, v22
	v_cmp_ne_u32_e32 vcc_lo, 0x7f800000, v21
	v_mov_b32_e32 v21, 0x80
	s_and_saveexec_b32 s27, vcc_lo
	s_cbranch_execz .LBB4_3032
; %bb.3346:                             ;   in Loop: Header=BB4_3033 Depth=2
	v_mov_b32_e32 v21, 0
	s_mov_b32 s28, exec_lo
	v_cmpx_ne_u32_e32 0, v22
	s_cbranch_execz .LBB4_3031
; %bb.3347:                             ;   in Loop: Header=BB4_3033 Depth=2
	v_bfe_u32 v21, v22, 23, 8
	v_and_b32_e32 v25, 0x7fffff, v22
	v_sub_nc_u32_e32 v66, 0x78, v21
	v_cmp_gt_u32_e32 vcc_lo, 0x79, v21
	v_or_b32_e32 v69, 0x800000, v25
	v_cndmask_b32_e32 v66, 0, v66, vcc_lo
	v_cmp_eq_u32_e32 vcc_lo, 0, v21
	v_add_nc_u32_e32 v21, 0xffffff89, v21
	v_cndmask_b32_e64 v66, v66, 0x77, vcc_lo
	v_cndmask_b32_e32 v25, v69, v25, vcc_lo
	v_cndmask_b32_e64 v21, v21, 0xffffff8a, vcc_lo
	v_lshl_add_u32 v69, 0x100000, v66, -1
	v_lshrrev_b32_e32 v80, v66, v25
	v_lshlrev_b32_e64 v119, v66, 0x80000
	v_add_nc_u32_e32 v66, v66, v21
	v_and_b32_e32 v25, v69, v25
	v_bfe_u32 v116, v80, 20, 1
	v_cmp_eq_u32_e64 s12, v25, v119
	v_add_nc_u32_e32 v69, -1, v116
	v_cndmask_b32_e64 v25, 0, v69, s12
	v_lshrrev_b32_e32 v69, 23, v80
	s_mov_b32 s12, exec_lo
	v_add_nc_u32_e32 v25, v25, v80
	v_xor_b32_e32 v69, 1, v69
	v_and_b32_e32 v21, 0xfffff, v25
	v_add_nc_u32_e32 v25, v21, v80
                                        ; implicit-def: $vgpr21
	v_cmpx_ne_u32_e64 v66, v69
	s_xor_b32 s12, exec_lo, s12
; %bb.3348:                             ;   in Loop: Header=BB4_3033 Depth=2
	v_cmp_lt_u32_e32 vcc_lo, 0xffffff, v25
	v_sub_nc_u32_e32 v21, v66, v69
	v_cndmask_b32_e64 v66, 0, 1, vcc_lo
	v_add_co_ci_u32_e64 v21, null, 0, v21, vcc_lo
	v_lshrrev_b32_e32 v25, v66, v25
; %bb.3349:                             ;   in Loop: Header=BB4_3033 Depth=2
	s_andn2_saveexec_b32 s12, s12
	s_cbranch_execz .LBB4_3030
; %bb.3350:                             ;   in Loop: Header=BB4_3033 Depth=2
	v_bfe_u32 v21, v25, 23, 1
	s_branch .LBB4_3030
.LBB4_3351:                             ;   in Loop: Header=BB4_3033 Depth=2
	s_or_saveexec_b32 s27, s27
	v_mov_b32_e32 v59, 0x7f800001
	s_xor_b32 exec_lo, exec_lo, s27
	s_cbranch_execz .LBB4_3037
.LBB4_3352:                             ;   in Loop: Header=BB4_3033 Depth=2
	v_cmp_ne_u16_e32 vcc_lo, 0, v60
	v_mov_b32_e32 v59, 0
	s_andn2_b32 s12, s12, exec_lo
	s_and_b32 s28, vcc_lo, exec_lo
	s_or_b32 s12, s12, s28
	s_or_b32 exec_lo, exec_lo, s27
	s_and_saveexec_b32 s27, s12
	s_cbranch_execnz .LBB4_3038
	s_branch .LBB4_3039
.LBB4_3353:                             ;   in Loop: Header=BB4_3033 Depth=2
	s_or_saveexec_b32 s27, s27
	v_mov_b32_e32 v60, 0x7f800001
	s_xor_b32 exec_lo, exec_lo, s27
	s_cbranch_execz .LBB4_3043
.LBB4_3354:                             ;   in Loop: Header=BB4_3033 Depth=2
	v_cmp_ne_u16_sdwa s28, v23, v51 src0_sel:BYTE_0 src1_sel:DWORD
	v_mov_b32_e32 v60, 0
	s_andn2_b32 s12, s12, exec_lo
	s_and_b32 s28, s28, exec_lo
	s_or_b32 s12, s12, s28
	s_or_b32 exec_lo, exec_lo, s27
	s_and_saveexec_b32 s27, s12
	s_cbranch_execnz .LBB4_3044
	s_branch .LBB4_3045
.LBB4_3355:                             ;   in Loop: Header=BB4_3033 Depth=2
	s_or_saveexec_b32 s27, s27
	v_mov_b32_e32 v59, 0x7f800001
	s_xor_b32 exec_lo, exec_lo, s27
	s_cbranch_execz .LBB4_3057
.LBB4_3356:                             ;   in Loop: Header=BB4_3033 Depth=2
	v_cmp_ne_u16_sdwa s28, v58, v51 src0_sel:BYTE_0 src1_sel:DWORD
	v_mov_b32_e32 v59, 0
	s_andn2_b32 s12, s12, exec_lo
	s_and_b32 s28, s28, exec_lo
	s_or_b32 s12, s12, s28
	s_or_b32 exec_lo, exec_lo, s27
	s_and_saveexec_b32 s27, s12
	s_cbranch_execnz .LBB4_3058
	s_branch .LBB4_3059
.LBB4_3357:                             ;   in Loop: Header=BB4_3033 Depth=2
	s_or_saveexec_b32 s27, s27
	v_mov_b32_e32 v58, 0x7f800001
	s_xor_b32 exec_lo, exec_lo, s27
	s_cbranch_execz .LBB4_3063
.LBB4_3358:                             ;   in Loop: Header=BB4_3033 Depth=2
	v_cmp_ne_u16_sdwa s28, v64, v51 src0_sel:BYTE_0 src1_sel:DWORD
	v_mov_b32_e32 v58, 0
	s_andn2_b32 s12, s12, exec_lo
	s_and_b32 s28, s28, exec_lo
	s_or_b32 s12, s12, s28
	s_or_b32 exec_lo, exec_lo, s27
	s_and_saveexec_b32 s27, s12
	s_cbranch_execnz .LBB4_3064
	s_branch .LBB4_3065
.LBB4_3359:                             ;   in Loop: Header=BB4_3033 Depth=2
	s_or_saveexec_b32 s27, s27
	v_mov_b32_e32 v58, 0x7f800001
	s_xor_b32 exec_lo, exec_lo, s27
	s_cbranch_execz .LBB4_3077
.LBB4_3360:                             ;   in Loop: Header=BB4_3033 Depth=2
	v_cmp_ne_u16_sdwa s28, v57, v51 src0_sel:BYTE_0 src1_sel:DWORD
	v_mov_b32_e32 v58, 0
	s_andn2_b32 s12, s12, exec_lo
	s_and_b32 s28, s28, exec_lo
	s_or_b32 s12, s12, s28
	s_or_b32 exec_lo, exec_lo, s27
	s_and_saveexec_b32 s27, s12
	s_cbranch_execnz .LBB4_3078
	s_branch .LBB4_3079
.LBB4_3361:                             ;   in Loop: Header=BB4_3033 Depth=2
	s_or_saveexec_b32 s27, s27
	v_mov_b32_e32 v57, 0x7f800001
	s_xor_b32 exec_lo, exec_lo, s27
	s_cbranch_execz .LBB4_3083
.LBB4_3362:                             ;   in Loop: Header=BB4_3033 Depth=2
	v_cmp_ne_u16_sdwa s28, v67, v51 src0_sel:BYTE_0 src1_sel:DWORD
	v_mov_b32_e32 v57, 0
	s_andn2_b32 s12, s12, exec_lo
	s_and_b32 s28, s28, exec_lo
	s_or_b32 s12, s12, s28
	s_or_b32 exec_lo, exec_lo, s27
	s_and_saveexec_b32 s27, s12
	s_cbranch_execnz .LBB4_3084
	s_branch .LBB4_3085
.LBB4_3363:                             ;   in Loop: Header=BB4_3033 Depth=2
	s_or_saveexec_b32 s27, s27
	v_mov_b32_e32 v57, 0x7f800001
	s_xor_b32 exec_lo, exec_lo, s27
	s_cbranch_execz .LBB4_3097
.LBB4_3364:                             ;   in Loop: Header=BB4_3033 Depth=2
	v_cmp_ne_u16_sdwa s28, v56, v51 src0_sel:BYTE_0 src1_sel:DWORD
	v_mov_b32_e32 v57, 0
	s_andn2_b32 s12, s12, exec_lo
	s_and_b32 s28, s28, exec_lo
	s_or_b32 s12, s12, s28
	s_or_b32 exec_lo, exec_lo, s27
	s_and_saveexec_b32 s27, s12
	s_cbranch_execnz .LBB4_3098
	s_branch .LBB4_3099
.LBB4_3365:                             ;   in Loop: Header=BB4_3033 Depth=2
	s_or_saveexec_b32 s27, s27
	v_mov_b32_e32 v56, 0x7f800001
	s_xor_b32 exec_lo, exec_lo, s27
	s_cbranch_execz .LBB4_3103
.LBB4_3366:                             ;   in Loop: Header=BB4_3033 Depth=2
	v_cmp_ne_u16_sdwa s28, v70, v51 src0_sel:BYTE_0 src1_sel:DWORD
	v_mov_b32_e32 v56, 0
	s_andn2_b32 s12, s12, exec_lo
	s_and_b32 s28, s28, exec_lo
	s_or_b32 s12, s12, s28
	s_or_b32 exec_lo, exec_lo, s27
	s_and_saveexec_b32 s27, s12
	s_cbranch_execnz .LBB4_3104
	s_branch .LBB4_3105
.LBB4_3367:                             ;   in Loop: Header=BB4_3033 Depth=2
	s_or_saveexec_b32 s27, s27
	v_mov_b32_e32 v56, 0x7f800001
	s_xor_b32 exec_lo, exec_lo, s27
	s_cbranch_execz .LBB4_3117
.LBB4_3368:                             ;   in Loop: Header=BB4_3033 Depth=2
	v_cmp_ne_u16_sdwa s28, v47, v51 src0_sel:BYTE_0 src1_sel:DWORD
	v_mov_b32_e32 v56, 0
	s_andn2_b32 s12, s12, exec_lo
	s_and_b32 s28, s28, exec_lo
	s_or_b32 s12, s12, s28
	s_or_b32 exec_lo, exec_lo, s27
	s_and_saveexec_b32 s27, s12
	s_cbranch_execnz .LBB4_3118
	s_branch .LBB4_3119
.LBB4_3369:                             ;   in Loop: Header=BB4_3033 Depth=2
	s_or_saveexec_b32 s27, s27
	v_mov_b32_e32 v47, 0x7f800001
	s_xor_b32 exec_lo, exec_lo, s27
	s_cbranch_execz .LBB4_3123
.LBB4_3370:                             ;   in Loop: Header=BB4_3033 Depth=2
	v_cmp_ne_u16_sdwa s28, v81, v51 src0_sel:BYTE_0 src1_sel:DWORD
	v_mov_b32_e32 v47, 0
	s_andn2_b32 s12, s12, exec_lo
	s_and_b32 s28, s28, exec_lo
	s_or_b32 s12, s12, s28
	s_or_b32 exec_lo, exec_lo, s27
	s_and_saveexec_b32 s27, s12
	s_cbranch_execnz .LBB4_3124
	s_branch .LBB4_3125
.LBB4_3371:                             ;   in Loop: Header=BB4_3033 Depth=2
	s_or_saveexec_b32 s27, s27
	v_mov_b32_e32 v47, 0x7f800001
	s_xor_b32 exec_lo, exec_lo, s27
	s_cbranch_execz .LBB4_3137
.LBB4_3372:                             ;   in Loop: Header=BB4_3033 Depth=2
	v_cmp_ne_u16_sdwa s28, v46, v51 src0_sel:BYTE_0 src1_sel:DWORD
	v_mov_b32_e32 v47, 0
	s_andn2_b32 s12, s12, exec_lo
	s_and_b32 s28, s28, exec_lo
	s_or_b32 s12, s12, s28
	s_or_b32 exec_lo, exec_lo, s27
	s_and_saveexec_b32 s27, s12
	s_cbranch_execnz .LBB4_3138
	s_branch .LBB4_3139
.LBB4_3373:                             ;   in Loop: Header=BB4_3033 Depth=2
	s_or_saveexec_b32 s27, s27
	v_mov_b32_e32 v46, 0x7f800001
	s_xor_b32 exec_lo, exec_lo, s27
	s_cbranch_execz .LBB4_3143
.LBB4_3374:                             ;   in Loop: Header=BB4_3033 Depth=2
	v_cmp_ne_u16_sdwa s28, v117, v51 src0_sel:BYTE_0 src1_sel:DWORD
	v_mov_b32_e32 v46, 0
	s_andn2_b32 s12, s12, exec_lo
	s_and_b32 s28, s28, exec_lo
	s_or_b32 s12, s12, s28
	s_or_b32 exec_lo, exec_lo, s27
	s_and_saveexec_b32 s27, s12
	s_cbranch_execnz .LBB4_3144
	s_branch .LBB4_3145
.LBB4_3375:                             ;   in Loop: Header=BB4_3033 Depth=2
	s_or_saveexec_b32 s27, s27
	v_mov_b32_e32 v46, 0x7f800001
	s_xor_b32 exec_lo, exec_lo, s27
	s_cbranch_execz .LBB4_3157
.LBB4_3376:                             ;   in Loop: Header=BB4_3033 Depth=2
	v_cmp_ne_u16_sdwa s28, v45, v51 src0_sel:BYTE_0 src1_sel:DWORD
	v_mov_b32_e32 v46, 0
	s_andn2_b32 s12, s12, exec_lo
	s_and_b32 s28, s28, exec_lo
	s_or_b32 s12, s12, s28
	s_or_b32 exec_lo, exec_lo, s27
	s_and_saveexec_b32 s27, s12
	s_cbranch_execnz .LBB4_3158
	s_branch .LBB4_3159
.LBB4_3377:                             ;   in Loop: Header=BB4_3033 Depth=2
	s_or_saveexec_b32 s27, s27
	v_mov_b32_e32 v45, 0x7f800001
	s_xor_b32 exec_lo, exec_lo, s27
	s_cbranch_execz .LBB4_3163
.LBB4_3378:                             ;   in Loop: Header=BB4_3033 Depth=2
	v_cmp_ne_u16_sdwa s28, v40, v51 src0_sel:BYTE_0 src1_sel:DWORD
	v_mov_b32_e32 v45, 0
	s_andn2_b32 s12, s12, exec_lo
	s_and_b32 s28, s28, exec_lo
	s_or_b32 s12, s12, s28
	s_or_b32 exec_lo, exec_lo, s27
	s_and_saveexec_b32 s27, s12
	s_cbranch_execnz .LBB4_3164
	s_branch .LBB4_3165
.LBB4_3379:                             ;   in Loop: Header=BB4_3033 Depth=2
	s_or_saveexec_b32 s27, s27
	v_mov_b32_e32 v45, 0x7f800001
	s_xor_b32 exec_lo, exec_lo, s27
	s_cbranch_execz .LBB4_3177
.LBB4_3380:                             ;   in Loop: Header=BB4_3033 Depth=2
	v_cmp_ne_u16_sdwa s28, v44, v51 src0_sel:BYTE_0 src1_sel:DWORD
	v_mov_b32_e32 v45, 0
	s_andn2_b32 s12, s12, exec_lo
	s_and_b32 s28, s28, exec_lo
	s_or_b32 s12, s12, s28
	s_or_b32 exec_lo, exec_lo, s27
	s_and_saveexec_b32 s27, s12
	s_cbranch_execnz .LBB4_3178
	s_branch .LBB4_3179
.LBB4_3381:                             ;   in Loop: Header=BB4_3033 Depth=2
	s_or_saveexec_b32 s27, s27
	v_mov_b32_e32 v44, 0x7f800001
	s_xor_b32 exec_lo, exec_lo, s27
	s_cbranch_execz .LBB4_3183
.LBB4_3382:                             ;   in Loop: Header=BB4_3033 Depth=2
	v_cmp_ne_u16_sdwa s28, v43, v51 src0_sel:BYTE_0 src1_sel:DWORD
	v_mov_b32_e32 v44, 0
	s_andn2_b32 s12, s12, exec_lo
	s_and_b32 s28, s28, exec_lo
	s_or_b32 s12, s12, s28
	s_or_b32 exec_lo, exec_lo, s27
	s_and_saveexec_b32 s27, s12
	s_cbranch_execnz .LBB4_3184
	s_branch .LBB4_3185
.LBB4_3383:                             ;   in Loop: Header=BB4_3033 Depth=2
	s_or_saveexec_b32 s27, s27
	v_mov_b32_e32 v44, 0x7f800001
	s_xor_b32 exec_lo, exec_lo, s27
	s_cbranch_execz .LBB4_3197
.LBB4_3384:                             ;   in Loop: Header=BB4_3033 Depth=2
	v_cmp_ne_u16_sdwa s28, v42, v51 src0_sel:BYTE_0 src1_sel:DWORD
	v_mov_b32_e32 v44, 0
	s_andn2_b32 s12, s12, exec_lo
	s_and_b32 s28, s28, exec_lo
	s_or_b32 s12, s12, s28
	s_or_b32 exec_lo, exec_lo, s27
	s_and_saveexec_b32 s27, s12
	s_cbranch_execnz .LBB4_3198
	s_branch .LBB4_3199
.LBB4_3385:                             ;   in Loop: Header=BB4_3033 Depth=2
	s_or_saveexec_b32 s27, s27
	v_mov_b32_e32 v42, 0x7f800001
	s_xor_b32 exec_lo, exec_lo, s27
	s_cbranch_execz .LBB4_3203
.LBB4_3386:                             ;   in Loop: Header=BB4_3033 Depth=2
	v_cmp_ne_u16_sdwa s28, v41, v51 src0_sel:BYTE_0 src1_sel:DWORD
	v_mov_b32_e32 v42, 0
	s_andn2_b32 s12, s12, exec_lo
	s_and_b32 s28, s28, exec_lo
	s_or_b32 s12, s12, s28
	s_or_b32 exec_lo, exec_lo, s27
	s_and_saveexec_b32 s27, s12
	s_cbranch_execnz .LBB4_3204
	s_branch .LBB4_3205
.LBB4_3387:                             ;   in Loop: Header=BB4_3033 Depth=2
	s_or_saveexec_b32 s27, s27
	v_mov_b32_e32 v42, 0x7f800001
	s_xor_b32 exec_lo, exec_lo, s27
	s_cbranch_execz .LBB4_3217
.LBB4_3388:                             ;   in Loop: Header=BB4_3033 Depth=2
	v_cmp_ne_u16_sdwa s28, v119, v51 src0_sel:BYTE_0 src1_sel:DWORD
	v_mov_b32_e32 v42, 0
	s_andn2_b32 s12, s12, exec_lo
	s_and_b32 s28, s28, exec_lo
	s_or_b32 s12, s12, s28
	s_or_b32 exec_lo, exec_lo, s27
	s_and_saveexec_b32 s27, s12
	s_cbranch_execnz .LBB4_3218
	s_branch .LBB4_3219
.LBB4_3389:                             ;   in Loop: Header=BB4_3033 Depth=2
	s_or_saveexec_b32 s27, s27
	v_mov_b32_e32 v119, 0x7f800001
	s_xor_b32 exec_lo, exec_lo, s27
	s_cbranch_execz .LBB4_3223
.LBB4_3390:                             ;   in Loop: Header=BB4_3033 Depth=2
	v_cmp_ne_u16_sdwa s28, v118, v51 src0_sel:BYTE_0 src1_sel:DWORD
	v_mov_b32_e32 v119, 0
	s_andn2_b32 s12, s12, exec_lo
	s_and_b32 s28, s28, exec_lo
	s_or_b32 s12, s12, s28
	s_or_b32 exec_lo, exec_lo, s27
	s_and_saveexec_b32 s27, s12
	s_cbranch_execnz .LBB4_3224
	s_branch .LBB4_3225
.LBB4_3391:                             ;   in Loop: Header=BB4_3033 Depth=2
	s_or_saveexec_b32 s27, s27
	v_mov_b32_e32 v119, 0x7f800001
	s_xor_b32 exec_lo, exec_lo, s27
	s_cbranch_execz .LBB4_3237
.LBB4_3392:                             ;   in Loop: Header=BB4_3033 Depth=2
	v_cmp_ne_u16_sdwa s28, v116, v51 src0_sel:BYTE_0 src1_sel:DWORD
	v_mov_b32_e32 v119, 0
	s_andn2_b32 s12, s12, exec_lo
	s_and_b32 s28, s28, exec_lo
	s_or_b32 s12, s12, s28
	s_or_b32 exec_lo, exec_lo, s27
	s_and_saveexec_b32 s27, s12
	s_cbranch_execnz .LBB4_3238
	s_branch .LBB4_3239
.LBB4_3393:                             ;   in Loop: Header=BB4_3033 Depth=2
	s_or_saveexec_b32 s27, s27
	v_mov_b32_e32 v116, 0x7f800001
	s_xor_b32 exec_lo, exec_lo, s27
	s_cbranch_execz .LBB4_3243
.LBB4_3394:                             ;   in Loop: Header=BB4_3033 Depth=2
	v_cmp_ne_u16_sdwa s28, v115, v51 src0_sel:BYTE_0 src1_sel:DWORD
	v_mov_b32_e32 v116, 0
	s_andn2_b32 s12, s12, exec_lo
	s_and_b32 s28, s28, exec_lo
	s_or_b32 s12, s12, s28
	s_or_b32 exec_lo, exec_lo, s27
	s_and_saveexec_b32 s27, s12
	s_cbranch_execnz .LBB4_3244
	s_branch .LBB4_3245
.LBB4_3395:                             ;   in Loop: Header=BB4_3033 Depth=2
	s_or_saveexec_b32 s27, s27
	v_mov_b32_e32 v116, 0x7f800001
	s_xor_b32 exec_lo, exec_lo, s27
	s_cbranch_execz .LBB4_3257
.LBB4_3396:                             ;   in Loop: Header=BB4_3033 Depth=2
	v_cmp_ne_u16_sdwa s28, v80, v51 src0_sel:BYTE_0 src1_sel:DWORD
	v_mov_b32_e32 v116, 0
	s_andn2_b32 s12, s12, exec_lo
	s_and_b32 s28, s28, exec_lo
	s_or_b32 s12, s12, s28
	s_or_b32 exec_lo, exec_lo, s27
	s_and_saveexec_b32 s27, s12
	s_cbranch_execnz .LBB4_3258
	s_branch .LBB4_3259
.LBB4_3397:                             ;   in Loop: Header=BB4_3033 Depth=2
	s_or_saveexec_b32 s27, s27
	v_mov_b32_e32 v80, 0x7f800001
	s_xor_b32 exec_lo, exec_lo, s27
	s_cbranch_execz .LBB4_3263
.LBB4_3398:                             ;   in Loop: Header=BB4_3033 Depth=2
	v_cmp_ne_u16_sdwa s28, v71, v51 src0_sel:BYTE_0 src1_sel:DWORD
	v_mov_b32_e32 v80, 0
	s_andn2_b32 s12, s12, exec_lo
	s_and_b32 s28, s28, exec_lo
	s_or_b32 s12, s12, s28
	s_or_b32 exec_lo, exec_lo, s27
	s_and_saveexec_b32 s27, s12
	s_cbranch_execnz .LBB4_3264
	s_branch .LBB4_3265
.LBB4_3399:                             ;   in Loop: Header=BB4_3033 Depth=2
	s_or_saveexec_b32 s27, s27
	v_mov_b32_e32 v80, 0x7f800001
	s_xor_b32 exec_lo, exec_lo, s27
	s_cbranch_execz .LBB4_3277
.LBB4_3400:                             ;   in Loop: Header=BB4_3033 Depth=2
	v_cmp_ne_u16_sdwa s28, v69, v51 src0_sel:BYTE_0 src1_sel:DWORD
	v_mov_b32_e32 v80, 0
	s_andn2_b32 s12, s12, exec_lo
	s_and_b32 s28, s28, exec_lo
	s_or_b32 s12, s12, s28
	s_or_b32 exec_lo, exec_lo, s27
	s_and_saveexec_b32 s27, s12
	s_cbranch_execnz .LBB4_3278
	s_branch .LBB4_3279
.LBB4_3401:                             ;   in Loop: Header=BB4_3033 Depth=2
	s_or_saveexec_b32 s27, s27
	v_mov_b32_e32 v69, 0x7f800001
	s_xor_b32 exec_lo, exec_lo, s27
	s_cbranch_execz .LBB4_3283
.LBB4_3402:                             ;   in Loop: Header=BB4_3033 Depth=2
	v_cmp_ne_u16_sdwa s28, v68, v51 src0_sel:BYTE_0 src1_sel:DWORD
	v_mov_b32_e32 v69, 0
	s_andn2_b32 s12, s12, exec_lo
	s_and_b32 s28, s28, exec_lo
	s_or_b32 s12, s12, s28
	s_or_b32 exec_lo, exec_lo, s27
	s_and_saveexec_b32 s27, s12
	s_cbranch_execnz .LBB4_3284
	s_branch .LBB4_3285
.LBB4_3403:                             ;   in Loop: Header=BB4_3033 Depth=2
	s_or_saveexec_b32 s27, s27
	v_mov_b32_e32 v69, 0x7f800001
	s_xor_b32 exec_lo, exec_lo, s27
	s_cbranch_execz .LBB4_3297
.LBB4_3404:                             ;   in Loop: Header=BB4_3033 Depth=2
	v_cmp_ne_u16_sdwa s28, v66, v51 src0_sel:BYTE_0 src1_sel:DWORD
	v_mov_b32_e32 v69, 0
	s_andn2_b32 s12, s12, exec_lo
	s_and_b32 s28, s28, exec_lo
	s_or_b32 s12, s12, s28
	s_or_b32 exec_lo, exec_lo, s27
	s_and_saveexec_b32 s27, s12
	s_cbranch_execnz .LBB4_3298
	s_branch .LBB4_3299
.LBB4_3405:                             ;   in Loop: Header=BB4_3033 Depth=2
	s_or_saveexec_b32 s27, s27
	v_mov_b32_e32 v66, 0x7f800001
	s_xor_b32 exec_lo, exec_lo, s27
	s_cbranch_execz .LBB4_3303
.LBB4_3406:                             ;   in Loop: Header=BB4_3033 Depth=2
	v_cmp_ne_u16_sdwa s28, v65, v51 src0_sel:BYTE_0 src1_sel:DWORD
	v_mov_b32_e32 v66, 0
	s_andn2_b32 s12, s12, exec_lo
	s_and_b32 s28, s28, exec_lo
	s_or_b32 s12, s12, s28
	s_or_b32 exec_lo, exec_lo, s27
	s_and_saveexec_b32 s27, s12
	s_cbranch_execnz .LBB4_3304
	s_branch .LBB4_3305
.LBB4_3407:                             ;   in Loop: Header=BB4_3033 Depth=2
	s_or_saveexec_b32 s27, s27
	v_mov_b32_e32 v66, 0x7f800001
	s_xor_b32 exec_lo, exec_lo, s27
	s_cbranch_execz .LBB4_3317
.LBB4_3408:                             ;   in Loop: Header=BB4_3033 Depth=2
	v_cmp_ne_u16_sdwa s28, v25, v51 src0_sel:BYTE_0 src1_sel:DWORD
	v_mov_b32_e32 v66, 0
	s_andn2_b32 s12, s12, exec_lo
	s_and_b32 s28, s28, exec_lo
	s_or_b32 s12, s12, s28
	s_or_b32 exec_lo, exec_lo, s27
	s_and_saveexec_b32 s27, s12
	s_cbranch_execnz .LBB4_3318
	s_branch .LBB4_3319
.LBB4_3409:                             ;   in Loop: Header=BB4_3033 Depth=2
	s_or_saveexec_b32 s27, s27
	v_mov_b32_e32 v25, 0x7f800001
	s_xor_b32 exec_lo, exec_lo, s27
	s_cbranch_execz .LBB4_3323
.LBB4_3410:                             ;   in Loop: Header=BB4_3033 Depth=2
	v_cmp_ne_u16_sdwa s28, v24, v51 src0_sel:BYTE_0 src1_sel:DWORD
	v_mov_b32_e32 v25, 0
	s_andn2_b32 s12, s12, exec_lo
	s_and_b32 s28, s28, exec_lo
	s_or_b32 s12, s12, s28
	s_or_b32 exec_lo, exec_lo, s27
	s_and_saveexec_b32 s27, s12
	s_cbranch_execnz .LBB4_3324
	s_branch .LBB4_3325
.LBB4_3411:                             ;   in Loop: Header=BB4_3033 Depth=2
	s_or_saveexec_b32 s27, s27
	v_mov_b32_e32 v25, 0x7f800001
	s_xor_b32 exec_lo, exec_lo, s27
	s_cbranch_execz .LBB4_3337
.LBB4_3412:                             ;   in Loop: Header=BB4_3033 Depth=2
	v_cmp_ne_u16_sdwa s28, v22, v51 src0_sel:BYTE_0 src1_sel:DWORD
	v_mov_b32_e32 v25, 0
	s_andn2_b32 s12, s12, exec_lo
	s_and_b32 s28, s28, exec_lo
	s_or_b32 s12, s12, s28
	s_or_b32 exec_lo, exec_lo, s27
	s_and_saveexec_b32 s27, s12
	s_cbranch_execnz .LBB4_3338
	s_branch .LBB4_3339
.LBB4_3413:                             ;   in Loop: Header=BB4_3033 Depth=2
	s_or_saveexec_b32 s27, s27
	v_mov_b32_e32 v22, 0x7f800001
	s_xor_b32 exec_lo, exec_lo, s27
	s_cbranch_execz .LBB4_3343
.LBB4_3414:                             ;   in Loop: Header=BB4_3033 Depth=2
	v_cmp_ne_u16_sdwa s28, v21, v51 src0_sel:BYTE_0 src1_sel:DWORD
	v_mov_b32_e32 v22, 0
	s_andn2_b32 s12, s12, exec_lo
	s_and_b32 s28, s28, exec_lo
	s_or_b32 s12, s12, s28
	s_or_b32 exec_lo, exec_lo, s27
	s_and_saveexec_b32 s27, s12
	s_cbranch_execnz .LBB4_3344
	s_branch .LBB4_3345
.LBB4_3415:                             ;   in Loop: Header=BB4_1791 Depth=1
	s_or_b32 exec_lo, exec_lo, s26
.LBB4_3416:                             ;   in Loop: Header=BB4_1791 Depth=1
	s_or_b32 exec_lo, exec_lo, s25
	v_and_b32_e32 v10, 0xfffffe00, v17
	v_cmp_ne_u32_e32 vcc_lo, v17, v10
	s_and_b32 exec_lo, exec_lo, vcc_lo
	s_cbranch_execz .LBB4_3444
; %bb.3417:                             ;   in Loop: Header=BB4_1791 Depth=1
	v_add_nc_u32_e32 v11, v18, v20
	v_lshlrev_b32_e32 v12, 5, v19
	v_and_b32_e32 v11, 0xffffffe0, v11
	v_sub_nc_u32_e32 v11, v18, v11
	v_sub_nc_u32_e32 v11, v11, v12
	v_and_b32_e32 v12, 0x1ff, v17
	v_sub_nc_u32_e32 v17, v12, v11
	v_cmp_lt_i32_e32 vcc_lo, 0, v17
	s_and_b32 exec_lo, exec_lo, vcc_lo
	s_cbranch_execz .LBB4_3444
; %bb.3418:                             ;   in Loop: Header=BB4_1791 Depth=1
	s_trap 2
	ds_read_b128 v[12:15], v0
	ds_read_b64 v[18:19], v0
	v_add3_u32 v16, v10, v16, v11
	s_mov_b32 s25, 0
	v_ashrrev_i32_e32 v20, 31, v16
	s_waitcnt lgkmcnt(1)
	v_add_co_u32 v10, vcc_lo, v12, v16
	v_add_co_ci_u32_e64 v11, null, v13, v20, vcc_lo
	v_add_co_u32 v12, vcc_lo, v14, v16
	v_add_co_ci_u32_e64 v13, null, v15, v20, vcc_lo
	s_waitcnt lgkmcnt(0)
	v_add_co_u32 v14, vcc_lo, v18, v16
	v_add_co_ci_u32_e64 v15, null, v19, v20, vcc_lo
	s_branch .LBB4_3422
.LBB4_3419:                             ;   in Loop: Header=BB4_3422 Depth=2
	s_or_b32 exec_lo, exec_lo, s12
	v_lshrrev_b32_e32 v19, 20, v19
	v_cmp_gt_i32_e32 vcc_lo, 16, v18
	v_min_i32_e32 v20, 15, v18
	v_and_b32_sdwa v16, v16, v97 dst_sel:DWORD dst_unused:UNUSED_PAD src0_sel:BYTE_3 src1_sel:DWORD
	v_cndmask_b32_e32 v19, 7, v19, vcc_lo
	v_lshlrev_b32_e32 v20, 3, v20
	v_and_b32_e32 v21, 7, v19
	v_or_b32_e32 v18, v18, v19
	v_or3_b32 v16, v20, v16, v21
	v_cmp_ne_u32_e32 vcc_lo, 0, v18
	v_cndmask_b32_e32 v18, 0, v16, vcc_lo
.LBB4_3420:                             ;   in Loop: Header=BB4_3422 Depth=2
	s_or_b32 exec_lo, exec_lo, s27
.LBB4_3421:                             ;   in Loop: Header=BB4_3422 Depth=2
	s_or_b32 exec_lo, exec_lo, s26
	v_sub_nc_u32_e32 v17, v17, v83
	v_add_co_u32 v10, vcc_lo, v10, v83
	v_add_co_ci_u32_e64 v11, null, 0, v11, vcc_lo
	v_add_co_u32 v12, vcc_lo, v12, v83
	flat_store_byte v[14:15], v18 glc slc
	v_add_co_ci_u32_e64 v13, null, 0, v13, vcc_lo
	v_cmp_gt_i32_e32 vcc_lo, 1, v17
	v_add_co_u32 v14, s12, v14, v83
	v_add_co_ci_u32_e64 v15, null, 0, v15, s12
	s_or_b32 s25, vcc_lo, s25
	s_andn2_b32 exec_lo, exec_lo, s25
	s_cbranch_execz .LBB4_3444
.LBB4_3422:                             ;   Parent Loop BB4_1791 Depth=1
                                        ; =>  This Inner Loop Header: Depth=2
	flat_load_ubyte v19, v[10:11] slc
	flat_load_ubyte v16, v[12:13] slc
	s_mov_b32 s12, 0
	s_mov_b32 s26, exec_lo
	s_waitcnt vmcnt(1) lgkmcnt(1)
	v_cmpx_lt_i16_e32 0x7f, v19
	s_xor_b32 s26, exec_lo, s26
	s_cbranch_execz .LBB4_3440
; %bb.3423:                             ;   in Loop: Header=BB4_3422 Depth=2
	s_mov_b32 s12, -1
	s_mov_b32 s27, exec_lo
	v_cmpx_eq_u16_e32 0x80, v19
; %bb.3424:                             ;   in Loop: Header=BB4_3422 Depth=2
	s_xor_b32 s12, exec_lo, -1
; %bb.3425:                             ;   in Loop: Header=BB4_3422 Depth=2
	s_or_b32 exec_lo, exec_lo, s27
	s_and_b32 s12, s12, exec_lo
	s_or_saveexec_b32 s26, s26
	v_mov_b32_e32 v18, 0x7f800001
	s_xor_b32 exec_lo, exec_lo, s26
	s_cbranch_execnz .LBB4_3441
.LBB4_3426:                             ;   in Loop: Header=BB4_3422 Depth=2
	s_or_b32 exec_lo, exec_lo, s26
	s_and_saveexec_b32 s26, s12
	s_cbranch_execz .LBB4_3428
.LBB4_3427:                             ;   in Loop: Header=BB4_3422 Depth=2
	v_and_b32_e32 v18, 0xffff, v19
	v_lshlrev_b32_e32 v19, 24, v19
	v_and_b32_e32 v20, 7, v18
	v_bfe_u32 v23, v18, 3, 4
	v_and_b32_e32 v19, 0x80000000, v19
	v_ffbh_u32_e32 v21, v20
	v_cmp_eq_u32_e32 vcc_lo, 0, v23
	v_min_u32_e32 v21, 32, v21
	v_subrev_nc_u32_e32 v22, 28, v21
	v_sub_nc_u32_e32 v21, 29, v21
	v_lshlrev_b32_e32 v18, v22, v18
	v_cndmask_b32_e32 v21, v23, v21, vcc_lo
	v_and_b32_e32 v18, 7, v18
	v_cndmask_b32_e32 v18, v20, v18, vcc_lo
	v_lshl_add_u32 v20, v21, 23, 0x3b800000
	v_lshlrev_b32_e32 v18, 20, v18
	v_or3_b32 v18, v19, v20, v18
.LBB4_3428:                             ;   in Loop: Header=BB4_3422 Depth=2
	s_or_b32 exec_lo, exec_lo, s26
	s_waitcnt vmcnt(0) lgkmcnt(0)
	v_cmp_gt_i16_sdwa s26, v16, v96 src0_sel:BYTE_0 src1_sel:DWORD
	s_mov_b32 s12, 0
	s_and_saveexec_b32 s27, s26
	s_xor_b32 s26, exec_lo, s27
	s_cbranch_execz .LBB4_3442
; %bb.3429:                             ;   in Loop: Header=BB4_3422 Depth=2
	v_cmp_eq_u16_sdwa s28, v16, v97 src0_sel:BYTE_0 src1_sel:DWORD
	s_mov_b32 s12, -1
	s_and_saveexec_b32 s27, s28
; %bb.3430:                             ;   in Loop: Header=BB4_3422 Depth=2
	s_xor_b32 s12, exec_lo, -1
; %bb.3431:                             ;   in Loop: Header=BB4_3422 Depth=2
	s_or_b32 exec_lo, exec_lo, s27
	s_and_b32 s12, s12, exec_lo
	s_or_saveexec_b32 s26, s26
	v_mov_b32_e32 v19, 0x7f800001
	s_xor_b32 exec_lo, exec_lo, s26
	s_cbranch_execnz .LBB4_3443
.LBB4_3432:                             ;   in Loop: Header=BB4_3422 Depth=2
	s_or_b32 exec_lo, exec_lo, s26
	s_and_saveexec_b32 s26, s12
	s_cbranch_execz .LBB4_3434
.LBB4_3433:                             ;   in Loop: Header=BB4_3422 Depth=2
	v_and_b32_e32 v19, 7, v16
	v_lshrrev_b16 v21, 3, v16
	v_ffbh_u32_e32 v20, v19
	v_and_b32_e32 v21, 15, v21
	v_min_u32_e32 v20, 32, v20
	v_cmp_eq_u32_e32 vcc_lo, 0, v21
	v_subrev_nc_u32_e32 v22, 28, v20
	v_sub_nc_u32_e32 v20, 29, v20
	v_lshlrev_b32_e32 v22, v22, v16
	v_lshlrev_b32_e32 v16, 24, v16
	v_cndmask_b32_e32 v20, v21, v20, vcc_lo
	v_and_b32_e32 v22, 7, v22
	v_and_b32_e32 v16, 0x80000000, v16
	v_lshl_add_u32 v20, v20, 23, 0x3b800000
	v_cndmask_b32_e32 v19, v19, v22, vcc_lo
	v_lshlrev_b32_e32 v19, 20, v19
	v_or3_b32 v19, v16, v20, v19
.LBB4_3434:                             ;   in Loop: Header=BB4_3422 Depth=2
	s_or_b32 exec_lo, exec_lo, s26
	v_add_f32_e32 v16, v18, v19
	v_and_b32_e32 v18, 0x7f800000, v16
	v_cmp_ne_u32_e32 vcc_lo, 0x7f800000, v18
	v_mov_b32_e32 v18, 0x80
	s_and_saveexec_b32 s26, vcc_lo
	s_cbranch_execz .LBB4_3421
; %bb.3435:                             ;   in Loop: Header=BB4_3422 Depth=2
	v_mov_b32_e32 v18, 0
	s_mov_b32 s27, exec_lo
	v_cmpx_ne_u32_e32 0, v16
	s_cbranch_execz .LBB4_3420
; %bb.3436:                             ;   in Loop: Header=BB4_3422 Depth=2
	v_bfe_u32 v18, v16, 23, 8
	v_and_b32_e32 v19, 0x7fffff, v16
	v_sub_nc_u32_e32 v20, 0x78, v18
	v_cmp_gt_u32_e32 vcc_lo, 0x79, v18
	v_or_b32_e32 v21, 0x800000, v19
	v_cndmask_b32_e32 v20, 0, v20, vcc_lo
	v_cmp_eq_u32_e32 vcc_lo, 0, v18
	v_add_nc_u32_e32 v18, 0xffffff89, v18
	v_cndmask_b32_e64 v20, v20, 0x77, vcc_lo
	v_cndmask_b32_e32 v19, v21, v19, vcc_lo
	v_cndmask_b32_e64 v18, v18, 0xffffff8a, vcc_lo
	v_lshl_add_u32 v21, 0x100000, v20, -1
	v_lshrrev_b32_e32 v22, v20, v19
	v_lshlrev_b32_e64 v24, v20, 0x80000
	v_add_nc_u32_e32 v20, v20, v18
	v_and_b32_e32 v19, v21, v19
	v_bfe_u32 v23, v22, 20, 1
	v_cmp_eq_u32_e64 s12, v19, v24
	v_add_nc_u32_e32 v21, -1, v23
	v_cndmask_b32_e64 v19, 0, v21, s12
	v_lshrrev_b32_e32 v21, 23, v22
	s_mov_b32 s12, exec_lo
	v_add_nc_u32_e32 v19, v19, v22
	v_xor_b32_e32 v21, 1, v21
	v_and_b32_e32 v18, 0xfffff, v19
	v_add_nc_u32_e32 v19, v18, v22
                                        ; implicit-def: $vgpr18
	v_cmpx_ne_u32_e64 v20, v21
	s_xor_b32 s12, exec_lo, s12
; %bb.3437:                             ;   in Loop: Header=BB4_3422 Depth=2
	v_cmp_lt_u32_e32 vcc_lo, 0xffffff, v19
	v_sub_nc_u32_e32 v18, v20, v21
	v_cndmask_b32_e64 v20, 0, 1, vcc_lo
	v_add_co_ci_u32_e64 v18, null, 0, v18, vcc_lo
	v_lshrrev_b32_e32 v19, v20, v19
; %bb.3438:                             ;   in Loop: Header=BB4_3422 Depth=2
	s_andn2_saveexec_b32 s12, s12
	s_cbranch_execz .LBB4_3419
; %bb.3439:                             ;   in Loop: Header=BB4_3422 Depth=2
	v_bfe_u32 v18, v19, 23, 1
	s_branch .LBB4_3419
.LBB4_3440:                             ;   in Loop: Header=BB4_3422 Depth=2
	s_or_saveexec_b32 s26, s26
	v_mov_b32_e32 v18, 0x7f800001
	s_xor_b32 exec_lo, exec_lo, s26
	s_cbranch_execz .LBB4_3426
.LBB4_3441:                             ;   in Loop: Header=BB4_3422 Depth=2
	v_cmp_ne_u16_e32 vcc_lo, 0, v19
	v_mov_b32_e32 v18, 0
	s_andn2_b32 s12, s12, exec_lo
	s_and_b32 s27, vcc_lo, exec_lo
	s_or_b32 s12, s12, s27
	s_or_b32 exec_lo, exec_lo, s26
	s_and_saveexec_b32 s26, s12
	s_cbranch_execnz .LBB4_3427
	s_branch .LBB4_3428
.LBB4_3442:                             ;   in Loop: Header=BB4_3422 Depth=2
	s_or_saveexec_b32 s26, s26
	v_mov_b32_e32 v19, 0x7f800001
	s_xor_b32 exec_lo, exec_lo, s26
	s_cbranch_execz .LBB4_3432
.LBB4_3443:                             ;   in Loop: Header=BB4_3422 Depth=2
	v_cmp_ne_u16_sdwa s27, v16, v51 src0_sel:BYTE_0 src1_sel:DWORD
	v_mov_b32_e32 v19, 0
	s_andn2_b32 s12, s12, exec_lo
	s_and_b32 s27, s27, exec_lo
	s_or_b32 s12, s12, s27
	s_or_b32 exec_lo, exec_lo, s26
	s_and_saveexec_b32 s26, s12
	s_cbranch_execnz .LBB4_3433
	s_branch .LBB4_3434
.LBB4_3444:                             ;   in Loop: Header=BB4_1791 Depth=1
	s_or_b32 exec_lo, exec_lo, s13
	v_cmp_ne_u32_e64 s12, 0, v50
	s_and_saveexec_b32 s13, s6
	s_cbranch_execz .LBB4_3463
.LBB4_3445:                             ;   in Loop: Header=BB4_1791 Depth=1
	s_and_saveexec_b32 s25, s19
	s_xor_b32 s25, exec_lo, s25
	s_cbranch_execz .LBB4_3460
; %bb.3446:                             ;   in Loop: Header=BB4_1791 Depth=1
	s_and_saveexec_b32 s26, s7
	s_cbranch_execz .LBB4_3459
; %bb.3447:                             ;   in Loop: Header=BB4_1791 Depth=1
	s_mov_b32 s28, exec_lo
	s_mov_b32 s27, exec_lo
	v_mbcnt_lo_u32_b32 v10, s28, 0
	s_waitcnt vmcnt(0) lgkmcnt(0)
	s_waitcnt_vscnt null, 0x0
	buffer_gl1_inv
	buffer_gl0_inv
	v_cmpx_eq_u32_e32 0, v10
	s_cbranch_execz .LBB4_3449
; %bb.3448:                             ;   in Loop: Header=BB4_1791 Depth=1
	s_bcnt1_i32_b32 s28, s28
	v_mov_b32_e32 v50, s28
	ds_add_u64 v0, v[50:51]
	s_trap 2
.LBB4_3449:                             ;   in Loop: Header=BB4_1791 Depth=1
	s_or_b32 exec_lo, exec_lo, s27
	s_trap 2
	ds_read_b64 v[10:11], v0
	s_waitcnt lgkmcnt(0)
	buffer_gl0_inv
	v_add_co_u32 v38, vcc_lo, v38, v82
	v_add_co_ci_u32_e64 v39, null, 0, v39, vcc_lo
	s_mov_b32 s27, exec_lo
	v_cmpx_lt_u64_e64 v[10:11], v[38:39]
	s_cbranch_execz .LBB4_3458
; %bb.3450:                             ;   in Loop: Header=BB4_1791 Depth=1
	s_mov_b32 s28, 0
	s_mov_b32 s41, 0
                                        ; implicit-def: $sgpr29
                                        ; implicit-def: $sgpr40
	s_inst_prefetch 0x1
	s_branch .LBB4_3452
	.p2align	6
.LBB4_3451:                             ;   in Loop: Header=BB4_3452 Depth=2
	s_or_b32 exec_lo, exec_lo, s43
	s_and_b32 s42, exec_lo, s44
	s_or_b32 s28, s42, s28
	s_andn2_b32 s29, s29, exec_lo
	s_and_b32 s42, s40, exec_lo
	s_or_b32 s29, s29, s42
	s_andn2_b32 exec_lo, exec_lo, s28
	s_cbranch_execz .LBB4_3456
.LBB4_3452:                             ;   Parent Loop BB4_1791 Depth=1
                                        ; =>  This Inner Loop Header: Depth=2
	s_add_i32 s41, s41, 1
	s_cmpk_lg_i32 s41, 0x2710
	s_cselect_b32 s42, -1, 0
	s_and_b32 vcc_lo, exec_lo, s42
	s_cbranch_vccz .LBB4_3454
; %bb.3453:                             ;   in Loop: Header=BB4_3452 Depth=2
	s_mov_b32 s44, -1
	s_or_b32 s40, s40, exec_lo
	s_and_saveexec_b32 s43, s42
	s_cbranch_execz .LBB4_3451
	s_branch .LBB4_3455
	.p2align	6
.LBB4_3454:                             ;   in Loop: Header=BB4_3452 Depth=2
	s_trap 2
	ds_read_b64 v[10:11], v0
	s_andn2_b32 s42, s42, exec_lo
	s_mov_b32 s41, 0
	s_waitcnt lgkmcnt(0)
	flat_load_dword v10, v[10:11] glc dlc
	s_waitcnt vmcnt(0) lgkmcnt(0)
	buffer_gl1_inv
	buffer_gl0_inv
	v_cmp_eq_u32_e32 vcc_lo, 0, v10
	s_and_b32 s43, vcc_lo, exec_lo
	s_or_b32 s42, s42, s43
	s_mov_b32 s44, -1
	s_or_b32 s40, s40, exec_lo
	s_and_saveexec_b32 s43, s42
	s_cbranch_execz .LBB4_3451
.LBB4_3455:                             ;   in Loop: Header=BB4_3452 Depth=2
	s_sleep 1
	s_trap 2
	ds_read_b64 v[10:11], v0
	s_waitcnt lgkmcnt(0)
	buffer_gl0_inv
	s_andn2_b32 s40, s40, exec_lo
	v_cmp_ge_u64_e32 vcc_lo, v[10:11], v[38:39]
	s_orn2_b32 s44, vcc_lo, exec_lo
	s_branch .LBB4_3451
.LBB4_3456:                             ;   in Loop: Header=BB4_1791 Depth=1
	s_inst_prefetch 0x2
	s_or_b32 exec_lo, exec_lo, s28
	s_and_saveexec_b32 s28, s29
	s_xor_b32 s28, exec_lo, s28
	s_cbranch_execz .LBB4_3458
; %bb.3457:                             ;   in Loop: Header=BB4_1791 Depth=1
	ds_write_b32 v0, v86
	s_trap 2
.LBB4_3458:                             ;   in Loop: Header=BB4_1791 Depth=1
	s_or_b32 exec_lo, exec_lo, s27
	;;#ASMSTART
	s_wakeup
	;;#ASMEND
.LBB4_3459:                             ;   in Loop: Header=BB4_1791 Depth=1
	s_or_b32 exec_lo, exec_lo, s26
.LBB4_3460:                             ;   in Loop: Header=BB4_1791 Depth=1
	s_andn2_saveexec_b32 s25, s25
	s_cbranch_execz .LBB4_3462
; %bb.3461:                             ;   in Loop: Header=BB4_1791 Depth=1
	s_waitcnt vmcnt(0) lgkmcnt(0)
	s_waitcnt_vscnt null, 0x0
	buffer_gl1_inv
	buffer_gl0_inv
	s_barrier
.LBB4_3462:                             ;   in Loop: Header=BB4_1791 Depth=1
	s_or_b32 exec_lo, exec_lo, s25
.LBB4_3463:                             ;   in Loop: Header=BB4_1791 Depth=1
	s_or_b32 exec_lo, exec_lo, s13
	v_and_b32_e32 v10, 16, v84
	v_cmp_ne_u32_e32 vcc_lo, 0, v10
	s_and_b32 s13, vcc_lo, s12
	s_and_saveexec_b32 s12, s13
	s_cbranch_execz .LBB4_3465
; %bb.3464:                             ;   in Loop: Header=BB4_1791 Depth=1
	s_waitcnt vmcnt(0) lgkmcnt(0)
	s_waitcnt_vscnt null, 0x0
	buffer_gl1_inv
	buffer_gl0_inv
.LBB4_3465:                             ;   in Loop: Header=BB4_1791 Depth=1
	s_or_b32 exec_lo, exec_lo, s12
	v_and_b32_e32 v10, 32, v84
	s_mov_b32 s12, exec_lo
	v_cmpx_ne_u32_e32 0, v10
	s_cbranch_execz .LBB4_3467
; %bb.3466:                             ;   in Loop: Header=BB4_1791 Depth=1
	v_add_co_u32 v8, vcc_lo, v8, 1
	v_add_co_ci_u32_e64 v9, null, 0, v9, vcc_lo
	s_waitcnt vmcnt(0) lgkmcnt(0)
	s_waitcnt_vscnt null, 0x0
	flat_store_dwordx2 v[32:33], v[8:9]
.LBB4_3467:                             ;   in Loop: Header=BB4_1791 Depth=1
	s_or_b32 exec_lo, exec_lo, s12
	v_mov_b32_e32 v14, v55
.LBB4_3468:                             ;   in Loop: Header=BB4_1791 Depth=1
	s_or_b32 exec_lo, exec_lo, s24
	s_and_saveexec_b32 s13, s23
	s_cbranch_execz .LBB4_1790
; %bb.3469:                             ;   in Loop: Header=BB4_1791 Depth=1
	v_and_b32_e32 v10, 4, v84
	s_mov_b32 s23, exec_lo
	v_cmpx_ne_u32_e32 0, v10
	s_cbranch_execz .LBB4_3491
; %bb.3470:                             ;   in Loop: Header=BB4_1791 Depth=1
	s_waitcnt lgkmcnt(0)
	v_add_co_u32 v10, vcc_lo, v8, 1
	v_add_co_ci_u32_e64 v11, null, 0, v9, vcc_lo
	s_mov_b32 s24, exec_lo
	s_waitcnt vmcnt(0)
	v_cmpx_lt_u64_e64 v[36:37], v[10:11]
	s_cbranch_execz .LBB4_3482
; %bb.3471:                             ;   in Loop: Header=BB4_1791 Depth=1
	v_and_b32_e32 v9, 64, v84
	s_mov_b32 s25, 0
	s_mov_b32 s29, 0
                                        ; implicit-def: $sgpr26
                                        ; implicit-def: $sgpr27
                                        ; implicit-def: $sgpr28
	v_cmp_eq_u32_e32 vcc_lo, 0, v9
	s_branch .LBB4_3475
.LBB4_3472:                             ;   in Loop: Header=BB4_3475 Depth=2
	s_waitcnt vmcnt(0) lgkmcnt(0)
	v_cmp_ge_u64_e64 s12, v[36:37], v[10:11]
	s_or_b32 s42, s42, exec_lo
	s_orn2_b32 s41, s12, exec_lo
.LBB4_3473:                             ;   in Loop: Header=BB4_3475 Depth=2
	s_or_b32 exec_lo, exec_lo, s44
	s_andn2_b32 s12, s28, exec_lo
	s_and_b32 s28, s42, exec_lo
	s_andn2_b32 s27, s27, exec_lo
	s_and_b32 s41, s41, exec_lo
	s_or_b32 s28, s12, s28
	s_or_b32 s27, s27, s41
.LBB4_3474:                             ;   in Loop: Header=BB4_3475 Depth=2
	s_or_b32 exec_lo, exec_lo, s40
	s_and_b32 s12, exec_lo, s27
	s_or_b32 s25, s12, s25
	s_andn2_b32 s12, s26, exec_lo
	s_and_b32 s26, s28, exec_lo
	s_or_b32 s26, s12, s26
	s_andn2_b32 exec_lo, exec_lo, s25
	s_cbranch_execz .LBB4_3479
.LBB4_3475:                             ;   Parent Loop BB4_1791 Depth=1
                                        ; =>  This Inner Loop Header: Depth=2
	s_sleep 1
	s_waitcnt vmcnt(0) lgkmcnt(0)
	flat_load_dwordx2 v[36:37], v[32:33] glc dlc
	s_or_b32 s28, s28, exec_lo
	s_or_b32 s27, s27, exec_lo
                                        ; implicit-def: $vgpr9
	s_and_saveexec_b32 s40, vcc_lo
	s_cbranch_execz .LBB4_3474
; %bb.3476:                             ;   in Loop: Header=BB4_3475 Depth=2
	s_cmpk_lt_i32 s29, 0x270f
	s_mov_b32 s41, -1
	s_cselect_b32 s43, -1, 0
	s_cmpk_gt_i32 s29, 0x270e
	s_cbranch_scc0 .LBB4_3478
; %bb.3477:                             ;   in Loop: Header=BB4_3475 Depth=2
	s_trap 2
	ds_read_b64 v[12:13], v0
	s_andn2_b32 s29, s43, exec_lo
	s_mov_b32 s42, 0
	s_waitcnt vmcnt(0) lgkmcnt(0)
	s_waitcnt_vscnt null, 0x0
	flat_load_dword v9, v[12:13] glc dlc
	s_waitcnt vmcnt(0) lgkmcnt(0)
	buffer_gl1_inv
	buffer_gl0_inv
	v_cmp_eq_u32_e64 s12, 0, v9
	s_and_b32 s12, s12, exec_lo
	s_or_b32 s43, s29, s12
	s_mov_b32 s29, 0
	s_and_saveexec_b32 s44, s43
	s_cbranch_execz .LBB4_3473
	s_branch .LBB4_3472
.LBB4_3478:                             ;   in Loop: Header=BB4_3475 Depth=2
	s_add_i32 s29, s29, 1
	s_mov_b32 s42, -1
                                        ; implicit-def: $vgpr9
	s_and_saveexec_b32 s44, s43
	s_cbranch_execz .LBB4_3473
	s_branch .LBB4_3472
.LBB4_3479:                             ;   in Loop: Header=BB4_1791 Depth=1
	s_or_b32 exec_lo, exec_lo, s25
	s_xor_b32 s12, s26, -1
	s_and_saveexec_b32 s25, s12
	s_xor_b32 s12, exec_lo, s25
	s_cbranch_execz .LBB4_3481
; %bb.3480:                             ;   in Loop: Header=BB4_1791 Depth=1
	v_or_b32_e32 v84, 64, v84
	s_waitcnt vmcnt(0) lgkmcnt(0)
	s_waitcnt_vscnt null, 0x0
	ds_write_b32 v0, v9
	s_trap 2
.LBB4_3481:                             ;   in Loop: Header=BB4_1791 Depth=1
	s_or_b32 exec_lo, exec_lo, s12
.LBB4_3482:                             ;   in Loop: Header=BB4_1791 Depth=1
	s_or_b32 exec_lo, exec_lo, s24
	v_and_b32_e32 v9, 0x100, v84
	v_and_b32_e32 v15, 7, v8
	s_mov_b32 s12, -1
	;;#ASMSTART
	s_wakeup
	;;#ASMEND
	v_cmp_ne_u32_e32 vcc_lo, 0, v9
                                        ; implicit-def: $vgpr8_vgpr9
	s_and_saveexec_b32 s24, vcc_lo
	s_cbranch_execz .LBB4_3486
; %bb.3483:                             ;   in Loop: Header=BB4_1791 Depth=1
	v_mad_u64_u32 v[12:13], null, v15, 24, v[6:7]
	flat_load_dword v8, v[12:13]
	s_waitcnt vmcnt(0) lgkmcnt(0)
	v_cmp_eq_u32_e64 s12, 1, v8
	v_cmp_ne_u32_e32 vcc_lo, 1, v8
                                        ; implicit-def: $vgpr8_vgpr9
	s_and_saveexec_b32 s25, s12
	s_cbranch_execz .LBB4_3485
; %bb.3484:                             ;   in Loop: Header=BB4_1791 Depth=1
	flat_load_dword v8, v[12:13] offset:4 glc dlc
	s_waitcnt vmcnt(0) lgkmcnt(0)
	v_ashrrev_i32_e32 v9, 31, v8
.LBB4_3485:                             ;   in Loop: Header=BB4_1791 Depth=1
	s_or_b32 exec_lo, exec_lo, s25
	s_orn2_b32 s12, vcc_lo, exec_lo
.LBB4_3486:                             ;   in Loop: Header=BB4_1791 Depth=1
	s_or_b32 exec_lo, exec_lo, s24
	s_and_saveexec_b32 s24, s12
; %bb.3487:                             ;   in Loop: Header=BB4_1791 Depth=1
	v_mad_i64_i32 v[8:9], null, v15, v85, 0
; %bb.3488:                             ;   in Loop: Header=BB4_1791 Depth=1
	s_or_b32 exec_lo, exec_lo, s24
	v_add_co_u32 v8, vcc_lo, v34, v8
	v_and_b32_e32 v12, 0x2000, v84
	v_add_co_ci_u32_e64 v9, null, v35, v9, vcc_lo
	s_mov_b32 s12, exec_lo
	ds_write_b64 v0, v[8:9] offset:728
	v_cmpx_ne_u32_e32 0, v12
	s_cbranch_execz .LBB4_3490
; %bb.3489:                             ;   in Loop: Header=BB4_1791 Depth=1
	ds_read_b64 v[8:9], v0 offset:872
	s_waitcnt lgkmcnt(0)
	v_add_co_u32 v8, vcc_lo, v8, 1
	v_add_co_ci_u32_e64 v9, null, 0, v9, vcc_lo
	ds_write_b64 v0, v[8:9] offset:872
.LBB4_3490:                             ;   in Loop: Header=BB4_1791 Depth=1
	s_or_b32 exec_lo, exec_lo, s12
	v_mov_b32_e32 v8, v10
	v_mov_b32_e32 v9, v11
.LBB4_3491:                             ;   in Loop: Header=BB4_1791 Depth=1
	s_or_b32 exec_lo, exec_lo, s23
	s_and_saveexec_b32 s12, s6
	s_cbranch_execz .LBB4_3510
; %bb.3492:                             ;   in Loop: Header=BB4_1791 Depth=1
	s_and_saveexec_b32 s23, s19
	s_xor_b32 s23, exec_lo, s23
	s_cbranch_execz .LBB4_3507
; %bb.3493:                             ;   in Loop: Header=BB4_1791 Depth=1
	s_and_saveexec_b32 s24, s7
	s_cbranch_execz .LBB4_3506
; %bb.3494:                             ;   in Loop: Header=BB4_1791 Depth=1
	s_mov_b32 s26, exec_lo
	s_mov_b32 s25, exec_lo
	v_mbcnt_lo_u32_b32 v10, s26, 0
	s_waitcnt vmcnt(0) lgkmcnt(0)
	s_waitcnt_vscnt null, 0x0
	buffer_gl1_inv
	buffer_gl0_inv
	v_cmpx_eq_u32_e32 0, v10
	s_cbranch_execz .LBB4_3496
; %bb.3495:                             ;   in Loop: Header=BB4_1791 Depth=1
	s_bcnt1_i32_b32 s26, s26
	v_mov_b32_e32 v50, s26
	ds_add_u64 v0, v[50:51]
	s_trap 2
.LBB4_3496:                             ;   in Loop: Header=BB4_1791 Depth=1
	s_or_b32 exec_lo, exec_lo, s25
	s_trap 2
	ds_read_b64 v[10:11], v0
	s_waitcnt lgkmcnt(0)
	buffer_gl0_inv
	v_add_co_u32 v38, vcc_lo, v38, v82
	v_add_co_ci_u32_e64 v39, null, 0, v39, vcc_lo
	s_mov_b32 s25, exec_lo
	v_cmpx_lt_u64_e64 v[10:11], v[38:39]
	s_cbranch_execz .LBB4_3505
; %bb.3497:                             ;   in Loop: Header=BB4_1791 Depth=1
	s_mov_b32 s26, 0
	s_mov_b32 s29, 0
                                        ; implicit-def: $sgpr27
                                        ; implicit-def: $sgpr28
	s_inst_prefetch 0x1
	s_branch .LBB4_3499
	.p2align	6
.LBB4_3498:                             ;   in Loop: Header=BB4_3499 Depth=2
	s_or_b32 exec_lo, exec_lo, s41
	s_and_b32 s40, exec_lo, s42
	s_or_b32 s26, s40, s26
	s_andn2_b32 s27, s27, exec_lo
	s_and_b32 s40, s28, exec_lo
	s_or_b32 s27, s27, s40
	s_andn2_b32 exec_lo, exec_lo, s26
	s_cbranch_execz .LBB4_3503
.LBB4_3499:                             ;   Parent Loop BB4_1791 Depth=1
                                        ; =>  This Inner Loop Header: Depth=2
	s_add_i32 s29, s29, 1
	s_cmpk_lg_i32 s29, 0x2710
	s_cselect_b32 s40, -1, 0
	s_and_b32 vcc_lo, exec_lo, s40
	s_cbranch_vccz .LBB4_3501
; %bb.3500:                             ;   in Loop: Header=BB4_3499 Depth=2
	s_mov_b32 s42, -1
	s_or_b32 s28, s28, exec_lo
	s_and_saveexec_b32 s41, s40
	s_cbranch_execz .LBB4_3498
	s_branch .LBB4_3502
	.p2align	6
.LBB4_3501:                             ;   in Loop: Header=BB4_3499 Depth=2
	s_trap 2
	ds_read_b64 v[10:11], v0
	s_andn2_b32 s40, s40, exec_lo
	s_mov_b32 s29, 0
	s_waitcnt lgkmcnt(0)
	flat_load_dword v10, v[10:11] glc dlc
	s_waitcnt vmcnt(0) lgkmcnt(0)
	buffer_gl1_inv
	buffer_gl0_inv
	v_cmp_eq_u32_e32 vcc_lo, 0, v10
	s_and_b32 s41, vcc_lo, exec_lo
	s_or_b32 s40, s40, s41
	s_mov_b32 s42, -1
	s_or_b32 s28, s28, exec_lo
	s_and_saveexec_b32 s41, s40
	s_cbranch_execz .LBB4_3498
.LBB4_3502:                             ;   in Loop: Header=BB4_3499 Depth=2
	s_sleep 1
	s_trap 2
	ds_read_b64 v[10:11], v0
	s_waitcnt lgkmcnt(0)
	buffer_gl0_inv
	s_andn2_b32 s28, s28, exec_lo
	v_cmp_ge_u64_e32 vcc_lo, v[10:11], v[38:39]
	s_orn2_b32 s42, vcc_lo, exec_lo
	s_branch .LBB4_3498
.LBB4_3503:                             ;   in Loop: Header=BB4_1791 Depth=1
	s_inst_prefetch 0x2
	s_or_b32 exec_lo, exec_lo, s26
	s_and_saveexec_b32 s26, s27
	s_xor_b32 s26, exec_lo, s26
	s_cbranch_execz .LBB4_3505
; %bb.3504:                             ;   in Loop: Header=BB4_1791 Depth=1
	ds_write_b32 v0, v86
	s_trap 2
.LBB4_3505:                             ;   in Loop: Header=BB4_1791 Depth=1
	s_or_b32 exec_lo, exec_lo, s25
	;;#ASMSTART
	s_wakeup
	;;#ASMEND
.LBB4_3506:                             ;   in Loop: Header=BB4_1791 Depth=1
	s_or_b32 exec_lo, exec_lo, s24
.LBB4_3507:                             ;   in Loop: Header=BB4_1791 Depth=1
	s_andn2_saveexec_b32 s23, s23
	s_cbranch_execz .LBB4_3509
; %bb.3508:                             ;   in Loop: Header=BB4_1791 Depth=1
	s_waitcnt vmcnt(0) lgkmcnt(0)
	s_waitcnt_vscnt null, 0x0
	buffer_gl1_inv
	buffer_gl0_inv
	s_barrier
.LBB4_3509:                             ;   in Loop: Header=BB4_1791 Depth=1
	s_or_b32 exec_lo, exec_lo, s23
.LBB4_3510:                             ;   in Loop: Header=BB4_1791 Depth=1
	s_or_b32 exec_lo, exec_lo, s12
	s_trap 2
	ds_read_b32 v10, v0
	v_sub_nc_u32_e32 v11, v54, v14
	v_min_i32_e32 v11, v55, v11
	v_cmp_lt_i32_e32 vcc_lo, 0, v11
	s_waitcnt lgkmcnt(0)
	v_readfirstlane_b32 s12, v10
	v_and_b32_e32 v10, 16, v84
	s_cmp_eq_u32 s12, 0
	v_cmp_ne_u32_e64 s12, 0, v10
	s_cselect_b32 s23, -1, 0
	s_and_b32 s23, vcc_lo, s23
	s_and_b32 s23, s12, s23
	s_and_saveexec_b32 s12, s23
	s_cbranch_execz .LBB4_3512
; %bb.3511:                             ;   in Loop: Header=BB4_1791 Depth=1
	s_waitcnt vmcnt(0)
	s_waitcnt_vscnt null, 0x0
	buffer_gl1_inv
	buffer_gl0_inv
.LBB4_3512:                             ;   in Loop: Header=BB4_1791 Depth=1
	s_or_b32 exec_lo, exec_lo, s12
	v_and_b32_e32 v10, 32, v84
	s_mov_b32 s12, exec_lo
	v_cmpx_ne_u32_e32 0, v10
	s_cbranch_execz .LBB4_1789
; %bb.3513:                             ;   in Loop: Header=BB4_1791 Depth=1
	v_add_co_u32 v8, vcc_lo, v8, 1
	v_add_co_ci_u32_e64 v9, null, 0, v9, vcc_lo
	s_waitcnt vmcnt(0)
	s_waitcnt_vscnt null, 0x0
	flat_store_dwordx2 v[32:33], v[8:9]
	s_branch .LBB4_1789
.LBB4_3514:
	s_or_b32 exec_lo, exec_lo, s20
.LBB4_3515:
	s_or_b32 exec_lo, exec_lo, s18
.LBB4_3516:
	s_or_b32 exec_lo, exec_lo, s14
                                        ; implicit-def: $vgpr26_vgpr27
                                        ; implicit-def: $vgpr4_vgpr5
                                        ; implicit-def: $vgpr50_vgpr51
                                        ; implicit-def: $vgpr85
                                        ; implicit-def: $vgpr36_vgpr37
                                        ; implicit-def: $vgpr34_vgpr35
                                        ; implicit-def: $vgpr32_vgpr33
                                        ; implicit-def: $vgpr0
                                        ; implicit-def: $vgpr64
                                        ; implicit-def: $vgpr48
.LBB4_3517:
	s_andn2_saveexec_b32 s17, s17
	s_cbranch_execz .LBB4_3691
; %bb.3518:
	v_mov_b32_e32 v38, 0
	v_mov_b32_e32 v39, 0
	s_mov_b32 s18, exec_lo
	v_cmpx_ne_u64_e32 0, v[4:5]
	s_cbranch_execz .LBB4_3690
; %bb.3519:
	v_ashrrev_i32_e32 v10, 31, v0
	v_and_b32_e32 v14, 31, v31
	v_lshrrev_b32_e32 v23, 5, v1
	s_ashr_i32 s10, s16, 31
	v_cmp_eq_u32_e32 vcc_lo, 32, v1
	v_lshrrev_b32_e32 v10, 27, v10
	s_lshr_b32 s10, s10, 24
	v_mov_b32_e32 v12, 0
	s_waitcnt vmcnt(1) lgkmcnt(1)
	v_cmp_ne_u64_e64 s7, 0, v[50:51]
	v_mov_b32_e32 v38, 0
	v_add_nc_u32_e32 v10, v0, v10
	v_cmp_ge_i32_e64 s5, v0, v1
	v_cmp_ne_u32_e64 s6, 32, v1
	s_waitcnt vmcnt(0)
	v_cmp_ne_u32_sdwa s19, v1, v30 src0_sel:DWORD src1_sel:WORD_0
	v_mov_b32_e32 v11, 0
	v_and_b32_e32 v15, 0xffffffe0, v10
	v_ashrrev_i32_e32 v24, 5, v10
	v_and_b32_e32 v25, 0x1fe0, v1
	v_mov_b32_e32 v13, 0
	v_mov_b32_e32 v39, 0
	v_sub_nc_u32_e32 v52, v0, v15
	v_lshlrev_b32_e32 v10, 11, v24
	s_add_i32 s16, s16, s10
	v_cmp_eq_u32_e64 s10, 0, v14
	v_lshlrev_b32_e32 v54, 11, v23
	v_lshlrev_b32_e32 v55, 9, v23
	v_lshl_add_u32 v53, v52, 4, v10
	v_cmp_gt_i32_e64 s11, 1, v52
	v_cmp_lt_i32_e64 s12, v52, v64
	v_mov_b32_e32 v65, 1
	s_ashr_i32 s20, s16, 8
	v_ashrrev_i32_e32 v64, 31, v53
	s_mov_b32 s16, 0
	s_xor_b32 s21, vcc_lo, -1
	s_trap 2
	s_branch .LBB4_3523
.LBB4_3520:                             ;   in Loop: Header=BB4_3523 Depth=1
	s_or_b32 exec_lo, exec_lo, s22
	v_add_co_u32 v8, vcc_lo, v8, 1
	v_add_co_ci_u32_e64 v9, null, 0, v9, vcc_lo
	s_waitcnt vmcnt(0) lgkmcnt(0)
	s_waitcnt_vscnt null, 0x0
	flat_store_dwordx2 v[32:33], v[8:9]
.LBB4_3521:                             ;   in Loop: Header=BB4_3523 Depth=1
	s_or_b32 exec_lo, exec_lo, s13
.LBB4_3522:                             ;   in Loop: Header=BB4_3523 Depth=1
	s_or_b32 exec_lo, exec_lo, s14
	v_add_co_u32 v12, vcc_lo, v12, v48
	v_add_co_ci_u32_e64 v13, null, 0, v13, vcc_lo
	v_cmp_ge_u64_e32 vcc_lo, v[12:13], v[4:5]
	s_or_b32 s16, vcc_lo, s16
	s_andn2_b32 exec_lo, exec_lo, s16
	s_cbranch_execz .LBB4_3689
.LBB4_3523:                             ; =>This Loop Header: Depth=1
                                        ;     Child Loop BB4_3532 Depth 2
                                        ;     Child Loop BB4_3556 Depth 2
	;; [unrolled: 1-line block ×10, first 2 shown]
	v_sub_co_u32 v14, vcc_lo, v4, v12
	v_sub_co_ci_u32_e64 v15, null, v5, v13, vcc_lo
	v_cmp_lt_u64_e32 vcc_lo, v[48:49], v[14:15]
	v_cndmask_b32_e32 v14, v14, v48, vcc_lo
	v_cndmask_b32_e64 v15, v15, 0, vcc_lo
	v_add_nc_u32_e32 v10, 15, v14
	v_cmp_eq_u64_e32 vcc_lo, 0, v[14:15]
	v_mov_b32_e32 v15, 0
	v_and_b32_e32 v10, 0x7ffffff0, v10
	s_or_b32 s22, s5, vcc_lo
	s_xor_b32 s13, s22, -1
	v_max_i32_e32 v10, s20, v10
	s_and_saveexec_b32 s23, s13
	s_cbranch_execz .LBB4_3642
; %bb.3524:                             ;   in Loop: Header=BB4_3523 Depth=1
	s_and_saveexec_b32 s13, s4
	s_cbranch_execz .LBB4_3526
; %bb.3525:                             ;   in Loop: Header=BB4_3523 Depth=1
	s_trap 2
	ds_read_b64 v[15:16], v0
	s_waitcnt lgkmcnt(0)
	v_add_co_u32 v17, vcc_lo, v15, v26
	v_add_co_ci_u32_e64 v16, null, v16, v27, vcc_lo
	v_mov_b32_e32 v15, v11
	v_add_co_u32 v17, vcc_lo, v17, v12
	v_add_co_ci_u32_e64 v18, null, v16, v13, vcc_lo
	v_mov_b32_e32 v16, v11
	ds_write_b64 v0, v[17:18]
	ds_write_b64 v0, v[15:16]
.LBB4_3526:                             ;   in Loop: Header=BB4_3523 Depth=1
	s_or_b32 exec_lo, exec_lo, s13
	v_and_b32_e32 v15, 8, v84
	v_min_u32_e32 v10, v10, v14
	s_mov_b32 s14, exec_lo
	v_cmpx_ne_u32_e32 0, v15
	s_cbranch_execz .LBB4_3548
; %bb.3527:                             ;   in Loop: Header=BB4_3523 Depth=1
	s_waitcnt vmcnt(0)
	v_add_co_u32 v17, vcc_lo, v36, 8
	v_add_co_ci_u32_e64 v18, null, 0, v37, vcc_lo
	s_waitcnt lgkmcnt(0)
	v_add_co_u32 v15, vcc_lo, v8, 1
	v_add_co_ci_u32_e64 v16, null, 0, v9, vcc_lo
	s_mov_b32 s24, exec_lo
	v_cmpx_lt_u64_e64 v[17:18], v[15:16]
	s_cbranch_execz .LBB4_3539
; %bb.3528:                             ;   in Loop: Header=BB4_3523 Depth=1
	v_and_b32_e32 v9, 64, v84
	s_mov_b32 s25, 0
	s_mov_b32 s29, 0
                                        ; implicit-def: $sgpr26
                                        ; implicit-def: $sgpr27
                                        ; implicit-def: $sgpr28
	v_cmp_eq_u32_e32 vcc_lo, 0, v9
	s_branch .LBB4_3532
.LBB4_3529:                             ;   in Loop: Header=BB4_3532 Depth=2
	s_waitcnt vmcnt(0) lgkmcnt(0)
	v_add_co_u32 v17, s13, v36, 8
	v_add_co_ci_u32_e64 v18, null, 0, v37, s13
	s_or_b32 s42, s42, exec_lo
	v_cmp_ge_u64_e64 s13, v[17:18], v[15:16]
	s_orn2_b32 s41, s13, exec_lo
.LBB4_3530:                             ;   in Loop: Header=BB4_3532 Depth=2
	s_or_b32 exec_lo, exec_lo, s44
	s_andn2_b32 s13, s28, exec_lo
	s_and_b32 s28, s42, exec_lo
	s_andn2_b32 s27, s27, exec_lo
	s_and_b32 s41, s41, exec_lo
	s_or_b32 s28, s13, s28
	s_or_b32 s27, s27, s41
.LBB4_3531:                             ;   in Loop: Header=BB4_3532 Depth=2
	s_or_b32 exec_lo, exec_lo, s40
	s_and_b32 s13, exec_lo, s27
	s_or_b32 s25, s13, s25
	s_andn2_b32 s13, s26, exec_lo
	s_and_b32 s26, s28, exec_lo
	s_or_b32 s26, s13, s26
	s_andn2_b32 exec_lo, exec_lo, s25
	s_cbranch_execz .LBB4_3536
.LBB4_3532:                             ;   Parent Loop BB4_3523 Depth=1
                                        ; =>  This Inner Loop Header: Depth=2
	s_sleep 1
	s_waitcnt vmcnt(0) lgkmcnt(0)
	flat_load_dwordx2 v[36:37], v[32:33] glc dlc
	s_or_b32 s28, s28, exec_lo
	s_or_b32 s27, s27, exec_lo
                                        ; implicit-def: $vgpr9
	s_and_saveexec_b32 s40, vcc_lo
	s_cbranch_execz .LBB4_3531
; %bb.3533:                             ;   in Loop: Header=BB4_3532 Depth=2
	s_cmpk_lt_i32 s29, 0x270f
	s_mov_b32 s41, -1
	s_cselect_b32 s43, -1, 0
	s_cmpk_gt_i32 s29, 0x270e
	s_cbranch_scc0 .LBB4_3535
; %bb.3534:                             ;   in Loop: Header=BB4_3532 Depth=2
	s_trap 2
	ds_read_b64 v[17:18], v0
	s_andn2_b32 s29, s43, exec_lo
	s_mov_b32 s42, 0
	s_waitcnt vmcnt(0) lgkmcnt(0)
	s_waitcnt_vscnt null, 0x0
	flat_load_dword v9, v[17:18] glc dlc
	s_waitcnt vmcnt(0) lgkmcnt(0)
	buffer_gl1_inv
	buffer_gl0_inv
	v_cmp_eq_u32_e64 s13, 0, v9
	s_and_b32 s13, s13, exec_lo
	s_or_b32 s43, s29, s13
	s_mov_b32 s29, 0
	s_and_saveexec_b32 s44, s43
	s_cbranch_execz .LBB4_3530
	s_branch .LBB4_3529
.LBB4_3535:                             ;   in Loop: Header=BB4_3532 Depth=2
	s_add_i32 s29, s29, 1
	s_mov_b32 s42, -1
                                        ; implicit-def: $vgpr9
	s_and_saveexec_b32 s44, s43
	s_cbranch_execz .LBB4_3530
	s_branch .LBB4_3529
.LBB4_3536:                             ;   in Loop: Header=BB4_3523 Depth=1
	s_or_b32 exec_lo, exec_lo, s25
	s_xor_b32 s13, s26, -1
	s_and_saveexec_b32 s25, s13
	s_xor_b32 s13, exec_lo, s25
	s_cbranch_execz .LBB4_3538
; %bb.3537:                             ;   in Loop: Header=BB4_3523 Depth=1
	v_or_b32_e32 v84, 64, v84
	s_waitcnt vmcnt(0) lgkmcnt(0)
	s_waitcnt_vscnt null, 0x0
	ds_write_b32 v0, v9
	s_trap 2
.LBB4_3538:                             ;   in Loop: Header=BB4_3523 Depth=1
	s_or_b32 exec_lo, exec_lo, s13
.LBB4_3539:                             ;   in Loop: Header=BB4_3523 Depth=1
	s_or_b32 exec_lo, exec_lo, s24
	v_and_b32_e32 v9, 0x100, v84
	v_and_b32_e32 v19, 7, v8
	s_mov_b32 s13, -1
	;;#ASMSTART
	s_wakeup
	;;#ASMEND
	v_cmp_ne_u32_e32 vcc_lo, 0, v9
                                        ; implicit-def: $vgpr8_vgpr9
	s_and_saveexec_b32 s24, vcc_lo
	s_cbranch_execz .LBB4_3543
; %bb.3540:                             ;   in Loop: Header=BB4_3523 Depth=1
	v_mad_u64_u32 v[17:18], null, v19, 24, v[6:7]
	flat_load_dword v8, v[17:18]
	flat_store_dwordx2 v[17:18], v[10:11] offset:8
	s_waitcnt vmcnt(0) lgkmcnt(1)
	v_cmp_eq_u32_e64 s13, 1, v8
	v_cmp_ne_u32_e32 vcc_lo, 1, v8
                                        ; implicit-def: $vgpr8_vgpr9
	s_and_saveexec_b32 s25, s13
	s_cbranch_execz .LBB4_3542
; %bb.3541:                             ;   in Loop: Header=BB4_3523 Depth=1
	flat_load_dword v8, v[17:18] offset:4 glc dlc
	s_waitcnt vmcnt(0) lgkmcnt(0)
	v_ashrrev_i32_e32 v9, 31, v8
.LBB4_3542:                             ;   in Loop: Header=BB4_3523 Depth=1
	s_or_b32 exec_lo, exec_lo, s25
	s_orn2_b32 s13, vcc_lo, exec_lo
.LBB4_3543:                             ;   in Loop: Header=BB4_3523 Depth=1
	s_or_b32 exec_lo, exec_lo, s24
	s_and_saveexec_b32 s24, s13
; %bb.3544:                             ;   in Loop: Header=BB4_3523 Depth=1
	v_mad_i64_i32 v[8:9], null, v19, v85, 0
; %bb.3545:                             ;   in Loop: Header=BB4_3523 Depth=1
	s_or_b32 exec_lo, exec_lo, s24
	v_add_co_u32 v8, vcc_lo, v34, v8
	v_and_b32_e32 v17, 0x2000, v84
	v_add_co_ci_u32_e64 v9, null, v35, v9, vcc_lo
	s_mov_b32 s13, exec_lo
	ds_write_b64 v0, v[8:9] offset:784
	v_cmpx_ne_u32_e32 0, v17
	s_cbranch_execz .LBB4_3547
; %bb.3546:                             ;   in Loop: Header=BB4_3523 Depth=1
	ds_read_b64 v[8:9], v0 offset:872
	s_waitcnt lgkmcnt(0)
	v_add_co_u32 v8, vcc_lo, v8, 1
	v_add_co_ci_u32_e64 v9, null, 0, v9, vcc_lo
	ds_write_b64 v0, v[8:9] offset:872
.LBB4_3547:                             ;   in Loop: Header=BB4_3523 Depth=1
	s_or_b32 exec_lo, exec_lo, s13
	v_mov_b32_e32 v8, v15
	v_mov_b32_e32 v9, v16
.LBB4_3548:                             ;   in Loop: Header=BB4_3523 Depth=1
	s_or_b32 exec_lo, exec_lo, s14
	s_and_saveexec_b32 s13, s6
	s_cbranch_execz .LBB4_3567
; %bb.3549:                             ;   in Loop: Header=BB4_3523 Depth=1
	s_and_saveexec_b32 s14, s19
	s_xor_b32 s14, exec_lo, s14
	s_cbranch_execz .LBB4_3564
; %bb.3550:                             ;   in Loop: Header=BB4_3523 Depth=1
	s_and_saveexec_b32 s24, s10
	s_cbranch_execz .LBB4_3563
; %bb.3551:                             ;   in Loop: Header=BB4_3523 Depth=1
	s_mov_b32 s26, exec_lo
	s_mov_b32 s25, exec_lo
	v_mbcnt_lo_u32_b32 v15, s26, 0
	s_waitcnt vmcnt(0) lgkmcnt(0)
	s_waitcnt_vscnt null, 0x0
	buffer_gl1_inv
	buffer_gl0_inv
	v_cmpx_eq_u32_e32 0, v15
	s_cbranch_execz .LBB4_3553
; %bb.3552:                             ;   in Loop: Header=BB4_3523 Depth=1
	s_bcnt1_i32_b32 s26, s26
	v_mov_b32_e32 v16, v11
	v_mov_b32_e32 v15, s26
	ds_add_u64 v0, v[15:16]
	s_trap 2
.LBB4_3553:                             ;   in Loop: Header=BB4_3523 Depth=1
	s_or_b32 exec_lo, exec_lo, s25
	s_trap 2
	ds_read_b64 v[15:16], v0
	s_waitcnt lgkmcnt(0)
	buffer_gl0_inv
	v_add_co_u32 v38, vcc_lo, v38, v23
	v_add_co_ci_u32_e64 v39, null, 0, v39, vcc_lo
	s_mov_b32 s25, exec_lo
	v_cmpx_lt_u64_e64 v[15:16], v[38:39]
	s_cbranch_execz .LBB4_3562
; %bb.3554:                             ;   in Loop: Header=BB4_3523 Depth=1
	s_mov_b32 s26, 0
	s_mov_b32 s29, 0
                                        ; implicit-def: $sgpr27
                                        ; implicit-def: $sgpr28
	s_inst_prefetch 0x1
	s_branch .LBB4_3556
	.p2align	6
.LBB4_3555:                             ;   in Loop: Header=BB4_3556 Depth=2
	s_or_b32 exec_lo, exec_lo, s41
	s_and_b32 s40, exec_lo, s42
	s_or_b32 s26, s40, s26
	s_andn2_b32 s27, s27, exec_lo
	s_and_b32 s40, s28, exec_lo
	s_or_b32 s27, s27, s40
	s_andn2_b32 exec_lo, exec_lo, s26
	s_cbranch_execz .LBB4_3560
.LBB4_3556:                             ;   Parent Loop BB4_3523 Depth=1
                                        ; =>  This Inner Loop Header: Depth=2
	s_add_i32 s29, s29, 1
	s_cmpk_lg_i32 s29, 0x2710
	s_cselect_b32 s40, -1, 0
	s_and_b32 vcc_lo, exec_lo, s40
	s_cbranch_vccz .LBB4_3558
; %bb.3557:                             ;   in Loop: Header=BB4_3556 Depth=2
	s_mov_b32 s42, -1
	s_or_b32 s28, s28, exec_lo
	s_and_saveexec_b32 s41, s40
	s_cbranch_execz .LBB4_3555
	s_branch .LBB4_3559
	.p2align	6
.LBB4_3558:                             ;   in Loop: Header=BB4_3556 Depth=2
	s_trap 2
	ds_read_b64 v[15:16], v0
	s_andn2_b32 s40, s40, exec_lo
	s_mov_b32 s29, 0
	s_waitcnt lgkmcnt(0)
	flat_load_dword v15, v[15:16] glc dlc
	s_waitcnt vmcnt(0) lgkmcnt(0)
	buffer_gl1_inv
	buffer_gl0_inv
	v_cmp_eq_u32_e32 vcc_lo, 0, v15
	s_and_b32 s41, vcc_lo, exec_lo
	s_or_b32 s40, s40, s41
	s_mov_b32 s42, -1
	s_or_b32 s28, s28, exec_lo
	s_and_saveexec_b32 s41, s40
	s_cbranch_execz .LBB4_3555
.LBB4_3559:                             ;   in Loop: Header=BB4_3556 Depth=2
	s_sleep 1
	s_trap 2
	ds_read_b64 v[15:16], v0
	s_waitcnt lgkmcnt(0)
	buffer_gl0_inv
	s_andn2_b32 s28, s28, exec_lo
	v_cmp_ge_u64_e32 vcc_lo, v[15:16], v[38:39]
	s_orn2_b32 s42, vcc_lo, exec_lo
	s_branch .LBB4_3555
.LBB4_3560:                             ;   in Loop: Header=BB4_3523 Depth=1
	s_inst_prefetch 0x2
	s_or_b32 exec_lo, exec_lo, s26
	s_and_saveexec_b32 s26, s27
	s_xor_b32 s26, exec_lo, s26
	s_cbranch_execz .LBB4_3562
; %bb.3561:                             ;   in Loop: Header=BB4_3523 Depth=1
	ds_write_b32 v0, v65
	s_trap 2
.LBB4_3562:                             ;   in Loop: Header=BB4_3523 Depth=1
	s_or_b32 exec_lo, exec_lo, s25
	;;#ASMSTART
	s_wakeup
	;;#ASMEND
.LBB4_3563:                             ;   in Loop: Header=BB4_3523 Depth=1
	s_or_b32 exec_lo, exec_lo, s24
.LBB4_3564:                             ;   in Loop: Header=BB4_3523 Depth=1
	s_andn2_saveexec_b32 s14, s14
	s_cbranch_execz .LBB4_3566
; %bb.3565:                             ;   in Loop: Header=BB4_3523 Depth=1
	s_waitcnt vmcnt(0) lgkmcnt(0)
	s_waitcnt_vscnt null, 0x0
	buffer_gl1_inv
	buffer_gl0_inv
	s_barrier
.LBB4_3566:                             ;   in Loop: Header=BB4_3523 Depth=1
	s_or_b32 exec_lo, exec_lo, s14
.LBB4_3567:                             ;   in Loop: Header=BB4_3523 Depth=1
	s_or_b32 exec_lo, exec_lo, s13
	s_trap 2
	ds_read_b32 v19, v0
	v_and_b32_e32 v15, 0x4000, v84
	v_cmp_ne_u32_e32 vcc_lo, 0, v15
	s_and_b32 s14, s21, vcc_lo
	s_and_saveexec_b32 s13, s14
	s_cbranch_execz .LBB4_3586
; %bb.3568:                             ;   in Loop: Header=BB4_3523 Depth=1
	s_and_saveexec_b32 s14, s19
	s_xor_b32 s14, exec_lo, s14
	s_cbranch_execz .LBB4_3583
; %bb.3569:                             ;   in Loop: Header=BB4_3523 Depth=1
	s_and_saveexec_b32 s24, s10
	s_cbranch_execz .LBB4_3582
; %bb.3570:                             ;   in Loop: Header=BB4_3523 Depth=1
	s_mov_b32 s26, exec_lo
	s_mov_b32 s25, exec_lo
	v_mbcnt_lo_u32_b32 v15, s26, 0
	s_waitcnt vmcnt(0) lgkmcnt(0)
	s_waitcnt_vscnt null, 0x0
	buffer_gl1_inv
	buffer_gl0_inv
	v_cmpx_eq_u32_e32 0, v15
	s_cbranch_execz .LBB4_3572
; %bb.3571:                             ;   in Loop: Header=BB4_3523 Depth=1
	s_bcnt1_i32_b32 s26, s26
	v_mov_b32_e32 v16, v11
	v_mov_b32_e32 v15, s26
	ds_add_u64 v0, v[15:16]
	s_trap 2
.LBB4_3572:                             ;   in Loop: Header=BB4_3523 Depth=1
	s_or_b32 exec_lo, exec_lo, s25
	s_trap 2
	ds_read_b64 v[15:16], v0
	s_waitcnt lgkmcnt(0)
	buffer_gl0_inv
	v_add_co_u32 v38, vcc_lo, v38, v23
	v_add_co_ci_u32_e64 v39, null, 0, v39, vcc_lo
	s_mov_b32 s25, exec_lo
	v_cmpx_lt_u64_e64 v[15:16], v[38:39]
	s_cbranch_execz .LBB4_3581
; %bb.3573:                             ;   in Loop: Header=BB4_3523 Depth=1
	s_mov_b32 s26, 0
	s_mov_b32 s29, 0
                                        ; implicit-def: $sgpr27
                                        ; implicit-def: $sgpr28
	s_inst_prefetch 0x1
	s_branch .LBB4_3575
	.p2align	6
.LBB4_3574:                             ;   in Loop: Header=BB4_3575 Depth=2
	s_or_b32 exec_lo, exec_lo, s41
	s_and_b32 s40, exec_lo, s42
	s_or_b32 s26, s40, s26
	s_andn2_b32 s27, s27, exec_lo
	s_and_b32 s40, s28, exec_lo
	s_or_b32 s27, s27, s40
	s_andn2_b32 exec_lo, exec_lo, s26
	s_cbranch_execz .LBB4_3579
.LBB4_3575:                             ;   Parent Loop BB4_3523 Depth=1
                                        ; =>  This Inner Loop Header: Depth=2
	s_add_i32 s29, s29, 1
	s_cmpk_lg_i32 s29, 0x2710
	s_cselect_b32 s40, -1, 0
	s_and_b32 vcc_lo, exec_lo, s40
	s_cbranch_vccz .LBB4_3577
; %bb.3576:                             ;   in Loop: Header=BB4_3575 Depth=2
	s_mov_b32 s42, -1
	s_or_b32 s28, s28, exec_lo
	s_and_saveexec_b32 s41, s40
	s_cbranch_execz .LBB4_3574
	s_branch .LBB4_3578
	.p2align	6
.LBB4_3577:                             ;   in Loop: Header=BB4_3575 Depth=2
	s_trap 2
	ds_read_b64 v[15:16], v0
	s_andn2_b32 s40, s40, exec_lo
	s_mov_b32 s29, 0
	s_waitcnt lgkmcnt(0)
	flat_load_dword v15, v[15:16] glc dlc
	s_waitcnt vmcnt(0) lgkmcnt(0)
	buffer_gl1_inv
	buffer_gl0_inv
	v_cmp_eq_u32_e32 vcc_lo, 0, v15
	s_and_b32 s41, vcc_lo, exec_lo
	s_or_b32 s40, s40, s41
	s_mov_b32 s42, -1
	s_or_b32 s28, s28, exec_lo
	s_and_saveexec_b32 s41, s40
	s_cbranch_execz .LBB4_3574
.LBB4_3578:                             ;   in Loop: Header=BB4_3575 Depth=2
	s_sleep 1
	s_trap 2
	ds_read_b64 v[15:16], v0
	s_waitcnt lgkmcnt(0)
	buffer_gl0_inv
	s_andn2_b32 s28, s28, exec_lo
	v_cmp_ge_u64_e32 vcc_lo, v[15:16], v[38:39]
	s_orn2_b32 s42, vcc_lo, exec_lo
	s_branch .LBB4_3574
.LBB4_3579:                             ;   in Loop: Header=BB4_3523 Depth=1
	s_inst_prefetch 0x2
	s_or_b32 exec_lo, exec_lo, s26
	s_and_saveexec_b32 s26, s27
	s_xor_b32 s26, exec_lo, s26
	s_cbranch_execz .LBB4_3581
; %bb.3580:                             ;   in Loop: Header=BB4_3523 Depth=1
	ds_write_b32 v0, v65
	s_trap 2
.LBB4_3581:                             ;   in Loop: Header=BB4_3523 Depth=1
	s_or_b32 exec_lo, exec_lo, s25
	;;#ASMSTART
	s_wakeup
	;;#ASMEND
.LBB4_3582:                             ;   in Loop: Header=BB4_3523 Depth=1
	s_or_b32 exec_lo, exec_lo, s24
.LBB4_3583:                             ;   in Loop: Header=BB4_3523 Depth=1
	s_andn2_saveexec_b32 s14, s14
	s_cbranch_execz .LBB4_3585
; %bb.3584:                             ;   in Loop: Header=BB4_3523 Depth=1
	s_waitcnt vmcnt(0) lgkmcnt(0)
	s_waitcnt_vscnt null, 0x0
	buffer_gl1_inv
	buffer_gl0_inv
	s_barrier
.LBB4_3585:                             ;   in Loop: Header=BB4_3523 Depth=1
	s_or_b32 exec_lo, exec_lo, s14
.LBB4_3586:                             ;   in Loop: Header=BB4_3523 Depth=1
	s_or_b32 exec_lo, exec_lo, s13
	s_trap 2
	ds_read_b64 v[15:16], v0
	s_waitcnt lgkmcnt(0)
	v_cmp_eq_u64_e32 vcc_lo, 0, v[15:16]
	s_cbranch_vccnz .LBB4_3594
; %bb.3587:                             ;   in Loop: Header=BB4_3523 Depth=1
	s_trap 2
	ds_read_b64 v[17:18], v0
	s_waitcnt lgkmcnt(0)
	v_cmp_eq_u64_e32 vcc_lo, 0, v[17:18]
	s_cbranch_vccnz .LBB4_3594
; %bb.3588:                             ;   in Loop: Header=BB4_3523 Depth=1
	s_mov_b32 s13, -1
	s_and_saveexec_b32 s14, s11
	s_cbranch_execz .LBB4_3590
; %bb.3589:                             ;   in Loop: Header=BB4_3523 Depth=1
	ds_read_b32 v20, v0 offset:720
	s_waitcnt lgkmcnt(0)
	v_and_b32_e32 v20, 15, v20
	v_cmp_eq_u32_e32 vcc_lo, 0, v20
	s_orn2_b32 s13, vcc_lo, exec_lo
.LBB4_3590:                             ;   in Loop: Header=BB4_3523 Depth=1
	s_or_b32 exec_lo, exec_lo, s14
	s_and_saveexec_b32 s14, s12
	s_cbranch_execz .LBB4_3592
; %bb.3591:                             ;   in Loop: Header=BB4_3523 Depth=1
	ds_read_b32 v20, v0 offset:784
	s_waitcnt lgkmcnt(0)
	v_and_b32_e32 v20, 15, v20
	v_cmp_eq_u32_e32 vcc_lo, 0, v20
	s_and_b32 s24, s13, vcc_lo
	s_andn2_b32 s13, s13, exec_lo
	s_and_b32 s24, s24, exec_lo
	s_or_b32 s13, s13, s24
.LBB4_3592:                             ;   in Loop: Header=BB4_3523 Depth=1
	s_or_b32 exec_lo, exec_lo, s14
	v_cmp_eq_u32_e32 vcc_lo, 0, v19
	s_xor_b32 s13, s13, -1
	v_mov_b32_e32 v19, 0
	v_cndmask_b32_e64 v20, 0, 1, s13
	v_mov_b32_e32 v21, v0
	v_cndmask_b32_e32 v66, 0, v10, vcc_lo
	v_mov_b32_e32 v68, v24
	s_mov_b32 s13, -1
	v_cmp_ne_u32_e32 vcc_lo, 0, v20
	v_mov_b32_e32 v20, v66
	s_cbranch_vccz .LBB4_3595
; %bb.3593:                             ;   in Loop: Header=BB4_3523 Depth=1
	s_and_saveexec_b32 s14, s13
	s_cbranch_execnz .LBB4_3608
	s_branch .LBB4_3616
.LBB4_3594:                             ;   in Loop: Header=BB4_3523 Depth=1
	s_mov_b32 s13, 0
	s_and_saveexec_b32 s14, s6
	s_cbranch_execnz .LBB4_3617
	s_branch .LBB4_3635
.LBB4_3595:                             ;   in Loop: Header=BB4_3523 Depth=1
	v_lshrrev_b32_e32 v19, 11, v66
	s_mov_b32 s14, exec_lo
	v_sub_nc_u32_e32 v67, v19, v24
	v_cmpx_lt_i32_e32 0, v67
	s_cbranch_execz .LBB4_3599
; %bb.3596:                             ;   in Loop: Header=BB4_3523 Depth=1
	v_mov_b32_e32 v20, v18
	v_mov_b32_e32 v22, v16
	;; [unrolled: 1-line block ×4, first 2 shown]
	s_mov_b32 s24, 0
	s_inst_prefetch 0x1
	.p2align	6
.LBB4_3597:                             ;   Parent Loop BB4_3523 Depth=1
                                        ; =>  This Inner Loop Header: Depth=2
	v_add_co_u32 v86, vcc_lo, v53, v21
	v_add_co_ci_u32_e64 v87, null, v64, v22, vcc_lo
	v_sub_nc_u32_e32 v67, v67, v23
	s_clause 0x3
	global_load_dwordx4 v[68:71], v[86:87], off slc
	global_load_dwordx4 v[80:83], v[86:87], off offset:512 slc
	global_load_dwordx4 v[96:99], v[86:87], off offset:1024 slc
	;; [unrolled: 1-line block ×3, first 2 shown]
	v_add_co_u32 v86, vcc_lo, v53, v19
	v_add_co_ci_u32_e64 v87, null, v64, v20, vcc_lo
	v_add_co_u32 v21, vcc_lo, v21, v54
	v_add_co_ci_u32_e64 v22, null, 0, v22, vcc_lo
	v_add_co_u32 v19, vcc_lo, v19, v54
	v_cmp_gt_i32_e64 s13, 1, v67
	v_add_co_ci_u32_e64 v20, null, 0, v20, vcc_lo
	s_waitcnt vmcnt(3)
	global_store_dwordx4 v[86:87], v[68:71], off glc slc
	s_waitcnt vmcnt(2)
	global_store_dwordx4 v[86:87], v[80:83], off offset:512 glc slc
	s_waitcnt vmcnt(1)
	global_store_dwordx4 v[86:87], v[96:99], off offset:1024 glc slc
	;; [unrolled: 2-line block ×3, first 2 shown]
	s_or_b32 s24, s13, s24
	s_andn2_b32 exec_lo, exec_lo, s24
	s_cbranch_execnz .LBB4_3597
; %bb.3598:                             ;   in Loop: Header=BB4_3523 Depth=1
	s_inst_prefetch 0x2
	s_or_b32 exec_lo, exec_lo, s24
.LBB4_3599:                             ;   in Loop: Header=BB4_3523 Depth=1
	s_or_b32 exec_lo, exec_lo, s14
	v_and_b32_e32 v69, 0x3ffff800, v66
	v_mov_b32_e32 v19, 0
	s_mov_b32 s13, 0
	s_mov_b32 s24, exec_lo
                                        ; implicit-def: $vgpr20
                                        ; implicit-def: $vgpr21
                                        ; implicit-def: $vgpr68
	v_cmpx_ne_u32_e64 v66, v69
	s_cbranch_execz .LBB4_3607
; %bb.3600:                             ;   in Loop: Header=BB4_3523 Depth=1
	v_lshlrev_b32_e32 v19, 5, v67
	v_bfe_u32 v70, v66, 9, 2
	v_and_b32_e32 v68, 0x7ff, v66
	s_mov_b32 s25, exec_lo
	v_sub_nc_u32_e32 v19, v52, v19
	v_ashrrev_i32_e32 v20, 31, v19
	v_lshrrev_b32_e32 v20, 27, v20
	v_add_nc_u32_e32 v20, v19, v20
	v_and_b32_e32 v21, 0xffffffe0, v20
	v_ashrrev_i32_e32 v67, 5, v20
	v_sub_nc_u32_e32 v22, v19, v21
	v_and_b32_e32 v19, 0x1ff, v66
	v_lshlrev_b32_e32 v20, 4, v22
	v_cmp_lt_u32_e32 vcc_lo, 15, v19
	v_lshl_add_u32 v21, v67, 9, v20
	v_add_co_ci_u32_e64 v70, null, 0, v70, vcc_lo
	v_sub_nc_u32_e32 v20, v68, v21
	v_sub_nc_u32_e32 v67, v70, v67
	v_cmpx_lt_i32_e32 15, v20
	s_cbranch_execz .LBB4_3604
; %bb.3601:                             ;   in Loop: Header=BB4_3523 Depth=1
	v_add_nc_u32_e32 v21, v21, v69
	s_mov_b32 s26, 0
	v_ashrrev_i32_e32 v68, 31, v21
	.p2align	6
.LBB4_3602:                             ;   Parent Loop BB4_3523 Depth=1
                                        ; =>  This Inner Loop Header: Depth=2
	v_add_co_u32 v69, s13, v15, v21
	v_add_co_ci_u32_e64 v70, null, v16, v68, s13
	v_sub_nc_u32_e32 v20, v20, v55
	v_sub_nc_u32_e32 v67, v67, v23
	global_load_dwordx4 v[80:83], v[69:70], off slc
	v_add_co_u32 v69, s13, v17, v21
	v_add_co_ci_u32_e64 v70, null, v18, v68, s13
	v_cmp_gt_i32_e64 s13, 16, v20
	v_add_co_u32 v21, s14, v21, v55
	v_add_co_ci_u32_e64 v68, null, 0, v68, s14
	s_or_b32 s26, s13, s26
	s_waitcnt vmcnt(0)
	global_store_dwordx4 v[69:70], v[80:83], off glc slc
	s_andn2_b32 exec_lo, exec_lo, s26
	s_cbranch_execnz .LBB4_3602
; %bb.3603:                             ;   in Loop: Header=BB4_3523 Depth=1
	s_or_b32 exec_lo, exec_lo, s26
.LBB4_3604:                             ;   in Loop: Header=BB4_3523 Depth=1
	s_or_b32 exec_lo, exec_lo, s25
	v_and_b32_e32 v20, 15, v66
	s_mov_b32 s14, 0
	s_mov_b32 s25, exec_lo
                                        ; implicit-def: $vgpr21
                                        ; implicit-def: $vgpr68
	v_cndmask_b32_e32 v20, v19, v20, vcc_lo
	v_mov_b32_e32 v19, 0
	v_cmpx_ne_u32_e32 0, v20
	s_cbranch_execz .LBB4_3606
; %bb.3605:                             ;   in Loop: Header=BB4_3523 Depth=1
	v_cmp_lt_i32_e64 s13, 0, v67
	s_mov_b32 s14, exec_lo
	v_cndmask_b32_e64 v19, 0, v23, s13
	v_sub_nc_u32_e32 v19, v19, v67
	v_lshl_add_u32 v21, v19, 5, v22
	v_and_b32_e32 v22, 0x1f0, v66
	v_ashrrev_i32_e32 v19, 31, v21
	v_cndmask_b32_e32 v22, 0, v22, vcc_lo
	v_lshrrev_b32_e32 v19, 27, v19
	v_add_nc_u32_e32 v67, v21, v19
	v_and_or_b32 v19, 0x3ffffe00, v66, v22
	v_ashrrev_i32_e32 v68, 5, v67
.LBB4_3606:                             ;   in Loop: Header=BB4_3523 Depth=1
	s_or_b32 exec_lo, exec_lo, s25
	s_and_b32 s13, s14, exec_lo
.LBB4_3607:                             ;   in Loop: Header=BB4_3523 Depth=1
	s_or_b32 exec_lo, exec_lo, s24
	s_and_saveexec_b32 s14, s13
	s_cbranch_execz .LBB4_3616
.LBB4_3608:                             ;   in Loop: Header=BB4_3523 Depth=1
	v_lshrrev_b32_e32 v22, 9, v20
	v_ashrrev_i32_e32 v67, 31, v21
	s_mov_b32 s13, exec_lo
	v_sub_nc_u32_e32 v22, v22, v68
	v_lshrrev_b32_e32 v67, 27, v67
	v_cmpx_lt_i32_e32 0, v22
	s_cbranch_execz .LBB4_3612
; %bb.3609:                             ;   in Loop: Header=BB4_3523 Depth=1
	v_add_nc_u32_e32 v69, v21, v67
	v_lshlrev_b32_e32 v68, 9, v68
	s_mov_b32 s24, 0
	v_and_b32_e32 v69, 0xffffffe0, v69
	v_sub_nc_u32_e32 v69, v21, v69
	v_add3_u32 v68, v19, v69, v68
	v_ashrrev_i32_e32 v69, 31, v68
.LBB4_3610:                             ;   Parent Loop BB4_3523 Depth=1
                                        ; =>  This Inner Loop Header: Depth=2
	v_add_co_u32 v70, vcc_lo, v68, v15
	v_add_co_ci_u32_e64 v71, null, v69, v16, vcc_lo
	v_sub_nc_u32_e32 v22, v22, v23
	s_clause 0xf
	flat_load_ubyte v80, v[70:71] slc
	flat_load_ubyte v81, v[70:71] offset:32 slc
	flat_load_ubyte v82, v[70:71] offset:64 slc
	;; [unrolled: 1-line block ×15, first 2 shown]
	v_add_co_u32 v70, vcc_lo, v68, v17
	v_add_co_ci_u32_e64 v71, null, v69, v18, vcc_lo
	v_add_co_u32 v15, vcc_lo, v15, v55
	v_add_co_ci_u32_e64 v16, null, 0, v16, vcc_lo
	;; [unrolled: 2-line block ×3, first 2 shown]
	v_cmp_gt_i32_e32 vcc_lo, 1, v22
	s_waitcnt vmcnt(15) lgkmcnt(15)
	flat_store_byte v[70:71], v80 glc slc
	s_waitcnt vmcnt(14) lgkmcnt(15)
	flat_store_byte v[70:71], v81 offset:32 glc slc
	s_waitcnt vmcnt(13) lgkmcnt(15)
	flat_store_byte v[70:71], v82 offset:64 glc slc
	;; [unrolled: 2-line block ×15, first 2 shown]
	s_or_b32 s24, vcc_lo, s24
	s_andn2_b32 exec_lo, exec_lo, s24
	s_cbranch_execnz .LBB4_3610
; %bb.3611:                             ;   in Loop: Header=BB4_3523 Depth=1
	s_or_b32 exec_lo, exec_lo, s24
.LBB4_3612:                             ;   in Loop: Header=BB4_3523 Depth=1
	s_or_b32 exec_lo, exec_lo, s13
	v_and_b32_e32 v18, 0xfffffe00, v20
	v_cmp_ne_u32_e32 vcc_lo, v20, v18
	s_and_b32 exec_lo, exec_lo, vcc_lo
	s_cbranch_execz .LBB4_3616
; %bb.3613:                             ;   in Loop: Header=BB4_3523 Depth=1
	v_add_nc_u32_e32 v15, v21, v67
	v_lshlrev_b32_e32 v16, 5, v22
	v_and_b32_e32 v15, 0xffffffe0, v15
	v_sub_nc_u32_e32 v15, v21, v15
	v_sub_nc_u32_e32 v21, v15, v16
	v_and_b32_e32 v15, 0x1ff, v20
	v_sub_nc_u32_e32 v17, v15, v21
	v_cmp_lt_i32_e32 vcc_lo, 0, v17
	s_and_b32 exec_lo, exec_lo, vcc_lo
	s_cbranch_execz .LBB4_3616
; %bb.3614:                             ;   in Loop: Header=BB4_3523 Depth=1
	s_trap 2
	ds_read_b64 v[15:16], v0
	v_add3_u32 v18, v18, v19, v21
	s_mov_b32 s24, 0
	v_ashrrev_i32_e32 v19, 31, v18
	.p2align	6
.LBB4_3615:                             ;   Parent Loop BB4_3523 Depth=1
                                        ; =>  This Inner Loop Header: Depth=2
	s_waitcnt lgkmcnt(0)
	v_add_co_u32 v20, vcc_lo, v15, v18
	v_add_co_ci_u32_e64 v21, null, v16, v19, vcc_lo
	v_sub_nc_u32_e32 v17, v17, v25
	v_add_co_u32 v18, s13, v18, v25
	flat_load_ubyte v22, v[20:21] slc
	v_add_co_ci_u32_e64 v19, null, 0, v19, s13
	v_cmp_gt_i32_e32 vcc_lo, 1, v17
	s_or_b32 s24, vcc_lo, s24
	s_waitcnt vmcnt(0) lgkmcnt(0)
	flat_store_byte v[20:21], v22 glc slc
	s_andn2_b32 exec_lo, exec_lo, s24
	s_cbranch_execnz .LBB4_3615
.LBB4_3616:                             ;   in Loop: Header=BB4_3523 Depth=1
	s_or_b32 exec_lo, exec_lo, s14
	v_cmp_ne_u32_e64 s13, 0, v66
	s_and_saveexec_b32 s14, s6
	s_cbranch_execz .LBB4_3635
.LBB4_3617:                             ;   in Loop: Header=BB4_3523 Depth=1
	s_and_saveexec_b32 s24, s19
	s_xor_b32 s24, exec_lo, s24
	s_cbranch_execz .LBB4_3632
; %bb.3618:                             ;   in Loop: Header=BB4_3523 Depth=1
	s_and_saveexec_b32 s25, s10
	s_cbranch_execz .LBB4_3631
; %bb.3619:                             ;   in Loop: Header=BB4_3523 Depth=1
	s_mov_b32 s27, exec_lo
	s_mov_b32 s26, exec_lo
	v_mbcnt_lo_u32_b32 v15, s27, 0
	s_waitcnt vmcnt(0) lgkmcnt(0)
	s_waitcnt_vscnt null, 0x0
	buffer_gl1_inv
	buffer_gl0_inv
	v_cmpx_eq_u32_e32 0, v15
	s_cbranch_execz .LBB4_3621
; %bb.3620:                             ;   in Loop: Header=BB4_3523 Depth=1
	s_bcnt1_i32_b32 s27, s27
	v_mov_b32_e32 v16, v11
	v_mov_b32_e32 v15, s27
	ds_add_u64 v0, v[15:16]
	s_trap 2
.LBB4_3621:                             ;   in Loop: Header=BB4_3523 Depth=1
	s_or_b32 exec_lo, exec_lo, s26
	s_trap 2
	ds_read_b64 v[15:16], v0
	s_waitcnt lgkmcnt(0)
	buffer_gl0_inv
	v_add_co_u32 v38, vcc_lo, v38, v23
	v_add_co_ci_u32_e64 v39, null, 0, v39, vcc_lo
	s_mov_b32 s26, exec_lo
	v_cmpx_lt_u64_e64 v[15:16], v[38:39]
	s_cbranch_execz .LBB4_3630
; %bb.3622:                             ;   in Loop: Header=BB4_3523 Depth=1
	s_mov_b32 s27, 0
	s_mov_b32 s40, 0
                                        ; implicit-def: $sgpr28
                                        ; implicit-def: $sgpr29
	s_inst_prefetch 0x1
	s_branch .LBB4_3624
	.p2align	6
.LBB4_3623:                             ;   in Loop: Header=BB4_3624 Depth=2
	s_or_b32 exec_lo, exec_lo, s42
	s_and_b32 s41, exec_lo, s43
	s_or_b32 s27, s41, s27
	s_andn2_b32 s28, s28, exec_lo
	s_and_b32 s41, s29, exec_lo
	s_or_b32 s28, s28, s41
	s_andn2_b32 exec_lo, exec_lo, s27
	s_cbranch_execz .LBB4_3628
.LBB4_3624:                             ;   Parent Loop BB4_3523 Depth=1
                                        ; =>  This Inner Loop Header: Depth=2
	s_add_i32 s40, s40, 1
	s_cmpk_lg_i32 s40, 0x2710
	s_cselect_b32 s41, -1, 0
	s_and_b32 vcc_lo, exec_lo, s41
	s_cbranch_vccz .LBB4_3626
; %bb.3625:                             ;   in Loop: Header=BB4_3624 Depth=2
	s_mov_b32 s43, -1
	s_or_b32 s29, s29, exec_lo
	s_and_saveexec_b32 s42, s41
	s_cbranch_execz .LBB4_3623
	s_branch .LBB4_3627
	.p2align	6
.LBB4_3626:                             ;   in Loop: Header=BB4_3624 Depth=2
	s_trap 2
	ds_read_b64 v[15:16], v0
	s_andn2_b32 s41, s41, exec_lo
	s_mov_b32 s40, 0
	s_waitcnt lgkmcnt(0)
	flat_load_dword v15, v[15:16] glc dlc
	s_waitcnt vmcnt(0) lgkmcnt(0)
	buffer_gl1_inv
	buffer_gl0_inv
	v_cmp_eq_u32_e32 vcc_lo, 0, v15
	s_and_b32 s42, vcc_lo, exec_lo
	s_or_b32 s41, s41, s42
	s_mov_b32 s43, -1
	s_or_b32 s29, s29, exec_lo
	s_and_saveexec_b32 s42, s41
	s_cbranch_execz .LBB4_3623
.LBB4_3627:                             ;   in Loop: Header=BB4_3624 Depth=2
	s_sleep 1
	s_trap 2
	ds_read_b64 v[15:16], v0
	s_waitcnt lgkmcnt(0)
	buffer_gl0_inv
	s_andn2_b32 s29, s29, exec_lo
	v_cmp_ge_u64_e32 vcc_lo, v[15:16], v[38:39]
	s_orn2_b32 s43, vcc_lo, exec_lo
	s_branch .LBB4_3623
.LBB4_3628:                             ;   in Loop: Header=BB4_3523 Depth=1
	s_inst_prefetch 0x2
	s_or_b32 exec_lo, exec_lo, s27
	s_and_saveexec_b32 s27, s28
	s_xor_b32 s27, exec_lo, s27
	s_cbranch_execz .LBB4_3630
; %bb.3629:                             ;   in Loop: Header=BB4_3523 Depth=1
	ds_write_b32 v0, v65
	s_trap 2
.LBB4_3630:                             ;   in Loop: Header=BB4_3523 Depth=1
	s_or_b32 exec_lo, exec_lo, s26
	;;#ASMSTART
	s_wakeup
	;;#ASMEND
.LBB4_3631:                             ;   in Loop: Header=BB4_3523 Depth=1
	s_or_b32 exec_lo, exec_lo, s25
.LBB4_3632:                             ;   in Loop: Header=BB4_3523 Depth=1
	s_andn2_saveexec_b32 s24, s24
	s_cbranch_execz .LBB4_3634
; %bb.3633:                             ;   in Loop: Header=BB4_3523 Depth=1
	s_waitcnt vmcnt(0) lgkmcnt(0)
	s_waitcnt_vscnt null, 0x0
	buffer_gl1_inv
	buffer_gl0_inv
	s_barrier
.LBB4_3634:                             ;   in Loop: Header=BB4_3523 Depth=1
	s_or_b32 exec_lo, exec_lo, s24
.LBB4_3635:                             ;   in Loop: Header=BB4_3523 Depth=1
	s_or_b32 exec_lo, exec_lo, s14
	v_and_b32_e32 v15, 16, v84
	v_cmp_ne_u32_e32 vcc_lo, 0, v15
	s_and_b32 s14, vcc_lo, s13
	s_and_saveexec_b32 s13, s14
	s_cbranch_execz .LBB4_3637
; %bb.3636:                             ;   in Loop: Header=BB4_3523 Depth=1
	s_waitcnt vmcnt(0) lgkmcnt(0)
	s_waitcnt_vscnt null, 0x0
	buffer_gl1_inv
	buffer_gl0_inv
.LBB4_3637:                             ;   in Loop: Header=BB4_3523 Depth=1
	s_or_b32 exec_lo, exec_lo, s13
	s_mov_b32 s13, exec_lo
	v_cmpx_ne_u32_e32 0, v15
	s_cbranch_execz .LBB4_3641
; %bb.3638:                             ;   in Loop: Header=BB4_3523 Depth=1
	s_and_saveexec_b32 s14, s7
	s_cbranch_execz .LBB4_3640
; %bb.3639:                             ;   in Loop: Header=BB4_3523 Depth=1
	s_waitcnt vmcnt(0) lgkmcnt(0)
	s_waitcnt_vscnt null, 0x0
	flat_store_dword v[50:51], v65
.LBB4_3640:                             ;   in Loop: Header=BB4_3523 Depth=1
	s_or_b32 exec_lo, exec_lo, s14
	v_add_co_u32 v8, vcc_lo, v8, 1
	v_add_co_ci_u32_e64 v9, null, 0, v9, vcc_lo
	s_waitcnt vmcnt(0) lgkmcnt(0)
	s_waitcnt_vscnt null, 0x0
	flat_store_dwordx2 v[32:33], v[8:9]
.LBB4_3641:                             ;   in Loop: Header=BB4_3523 Depth=1
	s_or_b32 exec_lo, exec_lo, s13
	v_mov_b32_e32 v15, v10
.LBB4_3642:                             ;   in Loop: Header=BB4_3523 Depth=1
	s_or_b32 exec_lo, exec_lo, s23
	s_and_saveexec_b32 s14, s22
	s_cbranch_execz .LBB4_3522
; %bb.3643:                             ;   in Loop: Header=BB4_3523 Depth=1
	v_sub_nc_u32_e32 v14, v14, v15
	v_and_b32_e32 v15, 8, v84
	s_mov_b32 s22, exec_lo
	v_min_i32_e32 v14, v10, v14
	v_cmpx_ne_u32_e32 0, v15
	s_cbranch_execz .LBB4_3665
; %bb.3644:                             ;   in Loop: Header=BB4_3523 Depth=1
	s_waitcnt vmcnt(0)
	v_add_co_u32 v18, vcc_lo, v36, 8
	v_add_co_ci_u32_e64 v19, null, 0, v37, vcc_lo
	s_waitcnt lgkmcnt(0)
	v_add_co_u32 v16, vcc_lo, v8, 1
	v_add_co_ci_u32_e64 v17, null, 0, v9, vcc_lo
	s_mov_b32 s23, exec_lo
	v_cmpx_lt_u64_e64 v[18:19], v[16:17]
	s_cbranch_execz .LBB4_3656
; %bb.3645:                             ;   in Loop: Header=BB4_3523 Depth=1
	v_and_b32_e32 v9, 64, v84
	s_mov_b32 s24, 0
	s_mov_b32 s28, 0
                                        ; implicit-def: $sgpr25
                                        ; implicit-def: $sgpr26
                                        ; implicit-def: $sgpr27
	v_cmp_eq_u32_e32 vcc_lo, 0, v9
	s_branch .LBB4_3649
.LBB4_3646:                             ;   in Loop: Header=BB4_3649 Depth=2
	s_waitcnt vmcnt(0) lgkmcnt(0)
	v_add_co_u32 v18, s13, v36, 8
	v_add_co_ci_u32_e64 v19, null, 0, v37, s13
	s_or_b32 s41, s41, exec_lo
	v_cmp_ge_u64_e64 s13, v[18:19], v[16:17]
	s_orn2_b32 s40, s13, exec_lo
.LBB4_3647:                             ;   in Loop: Header=BB4_3649 Depth=2
	s_or_b32 exec_lo, exec_lo, s43
	s_andn2_b32 s13, s27, exec_lo
	s_and_b32 s27, s41, exec_lo
	s_andn2_b32 s26, s26, exec_lo
	s_and_b32 s40, s40, exec_lo
	s_or_b32 s27, s13, s27
	s_or_b32 s26, s26, s40
.LBB4_3648:                             ;   in Loop: Header=BB4_3649 Depth=2
	s_or_b32 exec_lo, exec_lo, s29
	s_and_b32 s13, exec_lo, s26
	s_or_b32 s24, s13, s24
	s_andn2_b32 s13, s25, exec_lo
	s_and_b32 s25, s27, exec_lo
	s_or_b32 s25, s13, s25
	s_andn2_b32 exec_lo, exec_lo, s24
	s_cbranch_execz .LBB4_3653
.LBB4_3649:                             ;   Parent Loop BB4_3523 Depth=1
                                        ; =>  This Inner Loop Header: Depth=2
	s_sleep 1
	s_waitcnt vmcnt(0) lgkmcnt(0)
	flat_load_dwordx2 v[36:37], v[32:33] glc dlc
	s_or_b32 s27, s27, exec_lo
	s_or_b32 s26, s26, exec_lo
                                        ; implicit-def: $vgpr9
	s_and_saveexec_b32 s29, vcc_lo
	s_cbranch_execz .LBB4_3648
; %bb.3650:                             ;   in Loop: Header=BB4_3649 Depth=2
	s_cmpk_lt_i32 s28, 0x270f
	s_mov_b32 s40, -1
	s_cselect_b32 s42, -1, 0
	s_cmpk_gt_i32 s28, 0x270e
	s_cbranch_scc0 .LBB4_3652
; %bb.3651:                             ;   in Loop: Header=BB4_3649 Depth=2
	s_trap 2
	ds_read_b64 v[9:10], v0
	s_andn2_b32 s28, s42, exec_lo
	s_mov_b32 s41, 0
	s_waitcnt vmcnt(0) lgkmcnt(0)
	s_waitcnt_vscnt null, 0x0
	flat_load_dword v9, v[9:10] glc dlc
	s_waitcnt vmcnt(0) lgkmcnt(0)
	buffer_gl1_inv
	buffer_gl0_inv
	v_cmp_eq_u32_e64 s13, 0, v9
	s_and_b32 s13, s13, exec_lo
	s_or_b32 s42, s28, s13
	s_mov_b32 s28, 0
	s_and_saveexec_b32 s43, s42
	s_cbranch_execz .LBB4_3647
	s_branch .LBB4_3646
.LBB4_3652:                             ;   in Loop: Header=BB4_3649 Depth=2
	s_add_i32 s28, s28, 1
	s_mov_b32 s41, -1
                                        ; implicit-def: $vgpr9
	s_and_saveexec_b32 s43, s42
	s_cbranch_execz .LBB4_3647
	s_branch .LBB4_3646
.LBB4_3653:                             ;   in Loop: Header=BB4_3523 Depth=1
	s_or_b32 exec_lo, exec_lo, s24
	s_xor_b32 s13, s25, -1
	s_and_saveexec_b32 s24, s13
	s_xor_b32 s13, exec_lo, s24
	s_cbranch_execz .LBB4_3655
; %bb.3654:                             ;   in Loop: Header=BB4_3523 Depth=1
	v_or_b32_e32 v84, 64, v84
	s_waitcnt vmcnt(0) lgkmcnt(0)
	s_waitcnt_vscnt null, 0x0
	ds_write_b32 v0, v9
	s_trap 2
.LBB4_3655:                             ;   in Loop: Header=BB4_3523 Depth=1
	s_or_b32 exec_lo, exec_lo, s13
.LBB4_3656:                             ;   in Loop: Header=BB4_3523 Depth=1
	s_or_b32 exec_lo, exec_lo, s23
	v_and_b32_e32 v9, 0x100, v84
	v_and_b32_e32 v10, 7, v8
	s_mov_b32 s13, -1
	;;#ASMSTART
	s_wakeup
	;;#ASMEND
	v_cmp_ne_u32_e32 vcc_lo, 0, v9
                                        ; implicit-def: $vgpr8_vgpr9
	s_and_saveexec_b32 s23, vcc_lo
	s_cbranch_execz .LBB4_3660
; %bb.3657:                             ;   in Loop: Header=BB4_3523 Depth=1
	v_mad_u64_u32 v[18:19], null, v10, 24, v[6:7]
	v_ashrrev_i32_e32 v15, 31, v14
	flat_load_dword v8, v[18:19]
	flat_store_dwordx2 v[18:19], v[14:15] offset:8
	s_waitcnt vmcnt(0) lgkmcnt(1)
	v_cmp_eq_u32_e64 s13, 1, v8
	v_cmp_ne_u32_e32 vcc_lo, 1, v8
                                        ; implicit-def: $vgpr8_vgpr9
	s_and_saveexec_b32 s24, s13
	s_cbranch_execz .LBB4_3659
; %bb.3658:                             ;   in Loop: Header=BB4_3523 Depth=1
	flat_load_dword v8, v[18:19] offset:4 glc dlc
	s_waitcnt vmcnt(0) lgkmcnt(0)
	v_ashrrev_i32_e32 v9, 31, v8
.LBB4_3659:                             ;   in Loop: Header=BB4_3523 Depth=1
	s_or_b32 exec_lo, exec_lo, s24
	s_orn2_b32 s13, vcc_lo, exec_lo
.LBB4_3660:                             ;   in Loop: Header=BB4_3523 Depth=1
	s_or_b32 exec_lo, exec_lo, s23
	s_and_saveexec_b32 s23, s13
; %bb.3661:                             ;   in Loop: Header=BB4_3523 Depth=1
	v_mad_i64_i32 v[8:9], null, v10, v85, 0
; %bb.3662:                             ;   in Loop: Header=BB4_3523 Depth=1
	s_or_b32 exec_lo, exec_lo, s23
	v_add_co_u32 v8, vcc_lo, v34, v8
	v_and_b32_e32 v10, 0x2000, v84
	v_add_co_ci_u32_e64 v9, null, v35, v9, vcc_lo
	s_mov_b32 s13, exec_lo
	ds_write_b64 v0, v[8:9] offset:784
	v_cmpx_ne_u32_e32 0, v10
	s_cbranch_execz .LBB4_3664
; %bb.3663:                             ;   in Loop: Header=BB4_3523 Depth=1
	ds_read_b64 v[8:9], v0 offset:872
	s_waitcnt lgkmcnt(0)
	v_add_co_u32 v8, vcc_lo, v8, 1
	v_add_co_ci_u32_e64 v9, null, 0, v9, vcc_lo
	ds_write_b64 v0, v[8:9] offset:872
.LBB4_3664:                             ;   in Loop: Header=BB4_3523 Depth=1
	s_or_b32 exec_lo, exec_lo, s13
	v_mov_b32_e32 v8, v16
	v_mov_b32_e32 v9, v17
.LBB4_3665:                             ;   in Loop: Header=BB4_3523 Depth=1
	s_or_b32 exec_lo, exec_lo, s22
	s_and_saveexec_b32 s13, s6
	s_cbranch_execz .LBB4_3684
; %bb.3666:                             ;   in Loop: Header=BB4_3523 Depth=1
	s_and_saveexec_b32 s22, s19
	s_xor_b32 s22, exec_lo, s22
	s_cbranch_execz .LBB4_3681
; %bb.3667:                             ;   in Loop: Header=BB4_3523 Depth=1
	s_and_saveexec_b32 s23, s10
	s_cbranch_execz .LBB4_3680
; %bb.3668:                             ;   in Loop: Header=BB4_3523 Depth=1
	s_mov_b32 s25, exec_lo
	s_mov_b32 s24, exec_lo
	v_mbcnt_lo_u32_b32 v10, s25, 0
	s_waitcnt vmcnt(0) lgkmcnt(0)
	s_waitcnt_vscnt null, 0x0
	buffer_gl1_inv
	buffer_gl0_inv
	v_cmpx_eq_u32_e32 0, v10
	s_cbranch_execz .LBB4_3670
; %bb.3669:                             ;   in Loop: Header=BB4_3523 Depth=1
	s_bcnt1_i32_b32 s25, s25
	v_mov_b32_e32 v10, s25
	ds_add_u64 v0, v[10:11]
	s_trap 2
.LBB4_3670:                             ;   in Loop: Header=BB4_3523 Depth=1
	s_or_b32 exec_lo, exec_lo, s24
	s_trap 2
	ds_read_b64 v[15:16], v0
	s_waitcnt lgkmcnt(0)
	buffer_gl0_inv
	v_add_co_u32 v38, vcc_lo, v38, v23
	v_add_co_ci_u32_e64 v39, null, 0, v39, vcc_lo
	s_mov_b32 s24, exec_lo
	v_cmpx_lt_u64_e64 v[15:16], v[38:39]
	s_cbranch_execz .LBB4_3679
; %bb.3671:                             ;   in Loop: Header=BB4_3523 Depth=1
	s_mov_b32 s25, 0
	s_mov_b32 s28, 0
                                        ; implicit-def: $sgpr26
                                        ; implicit-def: $sgpr27
	s_inst_prefetch 0x1
	s_branch .LBB4_3673
	.p2align	6
.LBB4_3672:                             ;   in Loop: Header=BB4_3673 Depth=2
	s_or_b32 exec_lo, exec_lo, s40
	s_and_b32 s29, exec_lo, s41
	s_or_b32 s25, s29, s25
	s_andn2_b32 s26, s26, exec_lo
	s_and_b32 s29, s27, exec_lo
	s_or_b32 s26, s26, s29
	s_andn2_b32 exec_lo, exec_lo, s25
	s_cbranch_execz .LBB4_3677
.LBB4_3673:                             ;   Parent Loop BB4_3523 Depth=1
                                        ; =>  This Inner Loop Header: Depth=2
	s_add_i32 s28, s28, 1
	s_cmpk_lg_i32 s28, 0x2710
	s_cselect_b32 s29, -1, 0
	s_and_b32 vcc_lo, exec_lo, s29
	s_cbranch_vccz .LBB4_3675
; %bb.3674:                             ;   in Loop: Header=BB4_3673 Depth=2
	s_mov_b32 s41, -1
	s_or_b32 s27, s27, exec_lo
	s_and_saveexec_b32 s40, s29
	s_cbranch_execz .LBB4_3672
	s_branch .LBB4_3676
	.p2align	6
.LBB4_3675:                             ;   in Loop: Header=BB4_3673 Depth=2
	s_trap 2
	ds_read_b64 v[15:16], v0
	s_andn2_b32 s29, s29, exec_lo
	s_mov_b32 s28, 0
	s_waitcnt lgkmcnt(0)
	flat_load_dword v10, v[15:16] glc dlc
	s_waitcnt vmcnt(0) lgkmcnt(0)
	buffer_gl1_inv
	buffer_gl0_inv
	v_cmp_eq_u32_e32 vcc_lo, 0, v10
	s_and_b32 s40, vcc_lo, exec_lo
	s_or_b32 s29, s29, s40
	s_mov_b32 s41, -1
	s_or_b32 s27, s27, exec_lo
	s_and_saveexec_b32 s40, s29
	s_cbranch_execz .LBB4_3672
.LBB4_3676:                             ;   in Loop: Header=BB4_3673 Depth=2
	s_sleep 1
	s_trap 2
	ds_read_b64 v[15:16], v0
	s_waitcnt lgkmcnt(0)
	buffer_gl0_inv
	s_andn2_b32 s27, s27, exec_lo
	v_cmp_ge_u64_e32 vcc_lo, v[15:16], v[38:39]
	s_orn2_b32 s41, vcc_lo, exec_lo
	s_branch .LBB4_3672
.LBB4_3677:                             ;   in Loop: Header=BB4_3523 Depth=1
	s_inst_prefetch 0x2
	s_or_b32 exec_lo, exec_lo, s25
	s_and_saveexec_b32 s25, s26
	s_xor_b32 s25, exec_lo, s25
	s_cbranch_execz .LBB4_3679
; %bb.3678:                             ;   in Loop: Header=BB4_3523 Depth=1
	ds_write_b32 v0, v65
	s_trap 2
.LBB4_3679:                             ;   in Loop: Header=BB4_3523 Depth=1
	s_or_b32 exec_lo, exec_lo, s24
	;;#ASMSTART
	s_wakeup
	;;#ASMEND
.LBB4_3680:                             ;   in Loop: Header=BB4_3523 Depth=1
	s_or_b32 exec_lo, exec_lo, s23
.LBB4_3681:                             ;   in Loop: Header=BB4_3523 Depth=1
	s_andn2_saveexec_b32 s22, s22
	s_cbranch_execz .LBB4_3683
; %bb.3682:                             ;   in Loop: Header=BB4_3523 Depth=1
	s_waitcnt vmcnt(0) lgkmcnt(0)
	s_waitcnt_vscnt null, 0x0
	buffer_gl1_inv
	buffer_gl0_inv
	s_barrier
.LBB4_3683:                             ;   in Loop: Header=BB4_3523 Depth=1
	s_or_b32 exec_lo, exec_lo, s22
.LBB4_3684:                             ;   in Loop: Header=BB4_3523 Depth=1
	s_or_b32 exec_lo, exec_lo, s13
	s_trap 2
	ds_read_b32 v10, v0
	v_cmp_lt_i32_e32 vcc_lo, 0, v14
	s_waitcnt lgkmcnt(0)
	v_readfirstlane_b32 s13, v10
	v_and_b32_e32 v10, 16, v84
	s_cmp_eq_u32 s13, 0
	v_cmp_ne_u32_e64 s13, 0, v10
	s_cselect_b32 s22, -1, 0
	s_and_b32 s22, vcc_lo, s22
	s_and_b32 s22, s13, s22
	s_and_saveexec_b32 s13, s22
	s_cbranch_execz .LBB4_3686
; %bb.3685:                             ;   in Loop: Header=BB4_3523 Depth=1
	s_waitcnt vmcnt(0)
	s_waitcnt_vscnt null, 0x0
	buffer_gl1_inv
	buffer_gl0_inv
.LBB4_3686:                             ;   in Loop: Header=BB4_3523 Depth=1
	s_or_b32 exec_lo, exec_lo, s13
	s_mov_b32 s13, exec_lo
	v_cmpx_ne_u32_e32 0, v10
	s_cbranch_execz .LBB4_3521
; %bb.3687:                             ;   in Loop: Header=BB4_3523 Depth=1
	s_and_saveexec_b32 s22, s7
	s_cbranch_execz .LBB4_3520
; %bb.3688:                             ;   in Loop: Header=BB4_3523 Depth=1
	s_waitcnt vmcnt(0)
	s_waitcnt_vscnt null, 0x0
	flat_store_dword v[50:51], v65
	s_branch .LBB4_3520
.LBB4_3689:
	s_or_b32 exec_lo, exec_lo, s16
.LBB4_3690:
	s_or_b32 exec_lo, exec_lo, s18
.LBB4_3691:
	s_or_b32 exec_lo, exec_lo, s17
	v_and_b32_e32 v0, 0x800, v84
	s_mov_b32 s5, exec_lo
	v_cmpx_eq_u32_e32 0, v0
	s_cbranch_execz .LBB4_3724
; %bb.3692:
	v_and_b32_e32 v0, 48, v84
	s_mov_b32 s4, exec_lo
	v_cmpx_ne_u32_e32 0, v0
	s_cbranch_execz .LBB4_3694
; %bb.3693:
	s_waitcnt vmcnt(0) lgkmcnt(0)
	flat_store_dwordx2 v[28:29], v[8:9] offset:104
.LBB4_3694:
	s_or_b32 exec_lo, exec_lo, s4
	v_and_b32_e32 v0, 0x88, v84
	s_mov_b32 s6, exec_lo
	v_cmpx_eq_u32_e32 0x88, v0
	s_cbranch_execz .LBB4_3704
; %bb.3695:
	s_waitcnt vmcnt(0) lgkmcnt(0)
	v_add_nc_u32_e32 v0, -1, v8
	s_mov_b32 s7, 0
	v_and_b32_e32 v0, 7, v0
	v_mad_u64_u32 v[4:5], null, v0, 24, v[6:7]
	v_and_b32_e32 v0, 64, v84
	v_cmp_eq_u32_e64 s4, 0, v0
	flat_load_dwordx2 v[6:7], v[4:5] offset:8 glc dlc
	s_waitcnt vmcnt(0) lgkmcnt(0)
	v_cmp_ne_u64_e32 vcc_lo, -1, v[6:7]
	s_and_b32 s4, vcc_lo, s4
	s_and_b32 exec_lo, exec_lo, s4
	s_cbranch_execz .LBB4_3704
; %bb.3696:
	s_mov_b32 s11, 0
                                        ; implicit-def: $sgpr4
                                        ; implicit-def: $sgpr10
	s_inst_prefetch 0x1
	s_branch .LBB4_3699
	.p2align	6
.LBB4_3697:                             ;   in Loop: Header=BB4_3699 Depth=1
	flat_load_dwordx2 v[6:7], v[4:5] offset:8 glc dlc
	s_waitcnt vmcnt(0)
	s_andn2_b32 s10, s10, exec_lo
	s_waitcnt lgkmcnt(0)
	v_cmp_eq_u64_e32 vcc_lo, -1, v[6:7]
	s_orn2_b32 s13, vcc_lo, exec_lo
.LBB4_3698:                             ;   in Loop: Header=BB4_3699 Depth=1
	s_or_b32 exec_lo, exec_lo, s14
	s_and_b32 s12, exec_lo, s13
	s_or_b32 s7, s12, s7
	s_andn2_b32 s4, s4, exec_lo
	s_and_b32 s12, s10, exec_lo
	s_or_b32 s4, s4, s12
	s_andn2_b32 exec_lo, exec_lo, s7
	s_cbranch_execz .LBB4_3702
.LBB4_3699:                             ; =>This Inner Loop Header: Depth=1
	s_cmpk_lt_i32 s11, 0x270f
	s_cselect_b32 s12, -1, 0
	s_and_b32 vcc_lo, exec_lo, s12
	s_cbranch_vccnz .LBB4_3701
; %bb.3700:                             ;   in Loop: Header=BB4_3699 Depth=1
	s_trap 2
	ds_read_b64 v[6:7], v0
	s_andn2_b32 s12, s12, exec_lo
	s_mov_b32 s11, 0
	s_waitcnt lgkmcnt(0)
	s_waitcnt_vscnt null, 0x0
	flat_load_dword v0, v[6:7] glc dlc
	s_waitcnt vmcnt(0) lgkmcnt(0)
	buffer_gl1_inv
	buffer_gl0_inv
	v_cmp_eq_u32_e32 vcc_lo, 0, v0
	s_and_b32 s13, vcc_lo, exec_lo
	s_or_b32 s12, s12, s13
	s_mov_b32 s13, -1
	s_or_b32 s10, s10, exec_lo
	s_and_saveexec_b32 s14, s12
	s_cbranch_execz .LBB4_3698
	s_branch .LBB4_3697
	.p2align	6
.LBB4_3701:                             ;   in Loop: Header=BB4_3699 Depth=1
	s_add_i32 s11, s11, 1
                                        ; implicit-def: $vgpr0
	s_mov_b32 s13, -1
	s_or_b32 s10, s10, exec_lo
	s_and_saveexec_b32 s14, s12
	s_cbranch_execz .LBB4_3698
	s_branch .LBB4_3697
.LBB4_3702:
	s_inst_prefetch 0x2
	s_or_b32 exec_lo, exec_lo, s7
	s_and_saveexec_b32 s7, s4
	s_xor_b32 s7, exec_lo, s7
	s_cbranch_execz .LBB4_3704
; %bb.3703:
	s_waitcnt_vscnt null, 0x0
	ds_write_b32 v0, v0
	s_trap 2
.LBB4_3704:
	s_or_b32 exec_lo, exec_lo, s6
	v_and_b32_e32 v0, 0x2000, v84
	s_mov_b32 s4, exec_lo
	v_cmpx_ne_u32_e32 0, v0
	s_cbranch_execz .LBB4_3706
; %bb.3705:
	s_trap 2
	ds_read_b64 v[4:5], v0
	s_waitcnt lgkmcnt(0)
	flat_store_dwordx2 v[2:3], v[4:5] offset:16
.LBB4_3706:
	s_or_b32 exec_lo, exec_lo, s4
	v_cmp_ne_u32_e32 vcc_lo, 32, v1
	s_and_b32 exec_lo, exec_lo, vcc_lo
	s_cbranch_execz .LBB4_3724
; %bb.3707:
	s_waitcnt vmcnt(0)
	v_cmp_ne_u32_sdwa s4, v1, v30 src0_sel:DWORD src1_sel:WORD_0
	s_and_saveexec_b32 s6, s4
	s_xor_b32 s4, exec_lo, s6
	s_cbranch_execz .LBB4_3722
; %bb.3708:
	v_and_b32_e32 v0, 31, v31
	s_mov_b32 s6, exec_lo
	v_cmpx_eq_u32_e32 0, v0
	s_cbranch_execz .LBB4_3721
; %bb.3709:
	s_mov_b32 s10, exec_lo
	s_mov_b32 s7, exec_lo
	v_mbcnt_lo_u32_b32 v0, s10, 0
	s_waitcnt lgkmcnt(0)
	s_waitcnt_vscnt null, 0x0
	buffer_gl1_inv
	buffer_gl0_inv
	v_cmpx_eq_u32_e32 0, v0
	s_cbranch_execz .LBB4_3711
; %bb.3710:
	s_bcnt1_i32_b32 s10, s10
	v_mov_b32_e32 v3, 0
	v_mov_b32_e32 v2, s10
	ds_add_u64 v0, v[2:3]
	s_trap 2
.LBB4_3711:
	s_or_b32 exec_lo, exec_lo, s7
	s_trap 2
	ds_read_b64 v[2:3], v0
	s_waitcnt lgkmcnt(0)
	buffer_gl0_inv
	v_lshrrev_b32_e32 v0, 5, v1
	s_mov_b32 s7, exec_lo
	v_add_co_u32 v0, vcc_lo, v38, v0
	v_add_co_ci_u32_e64 v1, null, 0, v39, vcc_lo
	v_cmpx_lt_u64_e64 v[2:3], v[0:1]
	s_cbranch_execz .LBB4_3720
; %bb.3712:
	s_mov_b32 s10, 0
	s_mov_b32 s13, 0
                                        ; implicit-def: $sgpr11
                                        ; implicit-def: $sgpr12
	s_inst_prefetch 0x1
	s_branch .LBB4_3714
	.p2align	6
.LBB4_3713:                             ;   in Loop: Header=BB4_3714 Depth=1
	s_or_b32 exec_lo, exec_lo, s16
	s_and_b32 s14, exec_lo, s17
	s_or_b32 s10, s14, s10
	s_andn2_b32 s11, s11, exec_lo
	s_and_b32 s14, s12, exec_lo
	s_or_b32 s11, s11, s14
	s_andn2_b32 exec_lo, exec_lo, s10
	s_cbranch_execz .LBB4_3718
.LBB4_3714:                             ; =>This Inner Loop Header: Depth=1
	s_add_i32 s13, s13, 1
	s_cmpk_lg_i32 s13, 0x2710
	s_cselect_b32 s14, -1, 0
	s_and_b32 vcc_lo, exec_lo, s14
	s_cbranch_vccz .LBB4_3716
; %bb.3715:                             ;   in Loop: Header=BB4_3714 Depth=1
	s_mov_b32 s17, -1
	s_or_b32 s12, s12, exec_lo
	s_and_saveexec_b32 s16, s14
	s_cbranch_execz .LBB4_3713
	s_branch .LBB4_3717
.LBB4_3716:                             ;   in Loop: Header=BB4_3714 Depth=1
	s_trap 2
	ds_read_b64 v[2:3], v0
	s_andn2_b32 s14, s14, exec_lo
	s_mov_b32 s13, 0
	s_waitcnt lgkmcnt(0)
	flat_load_dword v2, v[2:3] glc dlc
	s_waitcnt vmcnt(0) lgkmcnt(0)
	buffer_gl1_inv
	buffer_gl0_inv
	v_cmp_eq_u32_e32 vcc_lo, 0, v2
	s_and_b32 s16, vcc_lo, exec_lo
	s_or_b32 s14, s14, s16
	s_mov_b32 s17, -1
	s_or_b32 s12, s12, exec_lo
	s_and_saveexec_b32 s16, s14
	s_cbranch_execz .LBB4_3713
.LBB4_3717:                             ;   in Loop: Header=BB4_3714 Depth=1
	s_sleep 1
	s_trap 2
	ds_read_b64 v[2:3], v0
	s_waitcnt lgkmcnt(0)
	buffer_gl0_inv
	s_andn2_b32 s12, s12, exec_lo
	v_cmp_ge_u64_e32 vcc_lo, v[2:3], v[0:1]
	s_orn2_b32 s17, vcc_lo, exec_lo
	s_branch .LBB4_3713
.LBB4_3718:
	s_inst_prefetch 0x2
	s_or_b32 exec_lo, exec_lo, s10
	s_and_saveexec_b32 s10, s11
	s_xor_b32 s10, exec_lo, s10
	s_cbranch_execz .LBB4_3720
; %bb.3719:
	v_mov_b32_e32 v0, 1
	ds_write_b32 v0, v0
	s_trap 2
.LBB4_3720:
	s_or_b32 exec_lo, exec_lo, s7
	;;#ASMSTART
	s_wakeup
	;;#ASMEND
.LBB4_3721:
	s_or_b32 exec_lo, exec_lo, s6
.LBB4_3722:
	s_andn2_saveexec_b32 s4, s4
	s_cbranch_execz .LBB4_3724
; %bb.3723:
	s_waitcnt lgkmcnt(0)
	s_waitcnt_vscnt null, 0x0
	buffer_gl1_inv
	buffer_gl0_inv
	s_barrier
.LBB4_3724:
	s_or_b32 exec_lo, exec_lo, s5
.LBB4_3725:
	s_andn2_saveexec_b32 s25, s15
	s_cbranch_execz .LBB4_3727
; %bb.3726:
	s_getpc_b64 s[4:5]
	s_add_u32 s4, s4, __PRETTY_FUNCTION__._ZN10PrimitivesI11rccl_float87FuncSumIS0_E12FanSymmetricILi1EELi0E11ProtoSimpleILi1ELi1ELi0ELi2ELi0ELi0EELi0ELb0ELi0ELi0ELi0EEC2EiiPKiS9_PKvPvmhhhP15ncclDevWorkCollP14ncclDevWorkP2pii@rel32@lo+4
	s_addc_u32 s5, s5, __PRETTY_FUNCTION__._ZN10PrimitivesI11rccl_float87FuncSumIS0_E12FanSymmetricILi1EELi0E11ProtoSimpleILi1ELi1ELi0ELi2ELi0ELi0EELi0ELb0ELi0ELi0ELi0EEC2EiiPKiS9_PKvPvmhhhP15ncclDevWorkCollP14ncclDevWorkP2pii@rel32@hi+12
	v_mov_b32_e32 v0, s4
	v_mov_b32_e32 v1, s5
	s_getpc_b64 s[6:7]
	s_add_u32 s6, s6, __assert_fail@rel32@lo+4
	s_addc_u32 s7, s7, __assert_fail@rel32@hi+12
	s_swappc_b64 s[30:31], s[6:7]
	; divergent unreachable
.LBB4_3727:
	s_or_b32 exec_lo, exec_lo, s25
	s_clause 0x17
	buffer_load_dword v79, off, s[0:3], s33
	buffer_load_dword v78, off, s[0:3], s33 offset:4
	buffer_load_dword v77, off, s[0:3], s33 offset:8
	;; [unrolled: 1-line block ×23, first 2 shown]
	v_readlane_b32 s30, v88, 0
	v_readlane_b32 s31, v88, 1
	s_mov_b32 s32, s33
	s_or_saveexec_b32 s4, -1
	buffer_load_dword v88, off, s[0:3], s33 offset:96 ; 4-byte Folded Reload
	s_mov_b32 exec_lo, s4
	s_mov_b32 s33, s47
	s_waitcnt vmcnt(0) lgkmcnt(0)
	s_setpc_b64 s[30:31]
.Lfunc_end4:
	.size	_ZN12_GLOBAL__N_17runRingI11rccl_float87FuncSumIS1_E11ProtoSimpleILi1ELi1ELi0ELi2ELi0ELi0EELi0ELi2ELi0EEEviiP15ncclDevWorkColl, .Lfunc_end4-_ZN12_GLOBAL__N_17runRingI11rccl_float87FuncSumIS1_E11ProtoSimpleILi1ELi1ELi0ELi2ELi0ELi0EELi0ELi2ELi0EEEviiP15ncclDevWorkColl
                                        ; -- End function
	.set .L_ZN12_GLOBAL__N_17runRingI11rccl_float87FuncSumIS1_E11ProtoSimpleILi1ELi1ELi0ELi2ELi0ELi0EELi0ELi2ELi0EEEviiP15ncclDevWorkColl.num_vgpr, max(120, .L__assert_fail.num_vgpr)
	.set .L_ZN12_GLOBAL__N_17runRingI11rccl_float87FuncSumIS1_E11ProtoSimpleILi1ELi1ELi0ELi2ELi0ELi0EELi0ELi2ELi0EEEviiP15ncclDevWorkColl.num_agpr, max(0, .L__assert_fail.num_agpr)
	.set .L_ZN12_GLOBAL__N_17runRingI11rccl_float87FuncSumIS1_E11ProtoSimpleILi1ELi1ELi0ELi2ELi0ELi0EELi0ELi2ELi0EEEviiP15ncclDevWorkColl.numbered_sgpr, max(48, .L__assert_fail.numbered_sgpr)
	.set .L_ZN12_GLOBAL__N_17runRingI11rccl_float87FuncSumIS1_E11ProtoSimpleILi1ELi1ELi0ELi2ELi0ELi0EELi0ELi2ELi0EEEviiP15ncclDevWorkColl.num_named_barrier, max(0, .L__assert_fail.num_named_barrier)
	.set .L_ZN12_GLOBAL__N_17runRingI11rccl_float87FuncSumIS1_E11ProtoSimpleILi1ELi1ELi0ELi2ELi0ELi0EELi0ELi2ELi0EEEviiP15ncclDevWorkColl.private_seg_size, 112+max(.L__assert_fail.private_seg_size)
	.set .L_ZN12_GLOBAL__N_17runRingI11rccl_float87FuncSumIS1_E11ProtoSimpleILi1ELi1ELi0ELi2ELi0ELi0EELi0ELi2ELi0EEEviiP15ncclDevWorkColl.uses_vcc, or(1, .L__assert_fail.uses_vcc)
	.set .L_ZN12_GLOBAL__N_17runRingI11rccl_float87FuncSumIS1_E11ProtoSimpleILi1ELi1ELi0ELi2ELi0ELi0EELi0ELi2ELi0EEEviiP15ncclDevWorkColl.uses_flat_scratch, or(1, .L__assert_fail.uses_flat_scratch)
	.set .L_ZN12_GLOBAL__N_17runRingI11rccl_float87FuncSumIS1_E11ProtoSimpleILi1ELi1ELi0ELi2ELi0ELi0EELi0ELi2ELi0EEEviiP15ncclDevWorkColl.has_dyn_sized_stack, or(0, .L__assert_fail.has_dyn_sized_stack)
	.set .L_ZN12_GLOBAL__N_17runRingI11rccl_float87FuncSumIS1_E11ProtoSimpleILi1ELi1ELi0ELi2ELi0ELi0EELi0ELi2ELi0EEEviiP15ncclDevWorkColl.has_recursion, or(1, .L__assert_fail.has_recursion)
	.set .L_ZN12_GLOBAL__N_17runRingI11rccl_float87FuncSumIS1_E11ProtoSimpleILi1ELi1ELi0ELi2ELi0ELi0EELi0ELi2ELi0EEEviiP15ncclDevWorkColl.has_indirect_call, or(0, .L__assert_fail.has_indirect_call)
	.section	.AMDGPU.csdata,"",@progbits
; Function info:
; codeLenInByte = 132896
; TotalNumSgprs: 50
; NumVgprs: 120
; ScratchSize: 176
; MemoryBound: 1
	.text
	.p2align	2                               ; -- Begin function _Z47ncclDevFunc_Reduce_RING_SIMPLE_Sum_f8e4m3_0_0_2v
	.type	_Z47ncclDevFunc_Reduce_RING_SIMPLE_Sum_f8e4m3_0_0_2v,@function
_Z47ncclDevFunc_Reduce_RING_SIMPLE_Sum_f8e4m3_0_0_2v: ; @_Z47ncclDevFunc_Reduce_RING_SIMPLE_Sum_f8e4m3_0_0_2v
; %bb.0:
	s_waitcnt vmcnt(0) expcnt(0) lgkmcnt(0)
	s_mov_b32 s61, s33
	s_mov_b32 s33, s32
	s_or_saveexec_b32 s4, -1
	buffer_store_dword v43, off, s[0:3], s33 offset:16 ; 4-byte Folded Spill
	s_mov_b32 exec_lo, s4
	s_addk_i32 s32, 0x400
	buffer_store_dword v40, off, s[0:3], s33 offset:12 ; 4-byte Folded Spill
	buffer_store_dword v41, off, s[0:3], s33 offset:8 ; 4-byte Folded Spill
	;; [unrolled: 1-line block ×3, first 2 shown]
	buffer_store_dword v88, off, s[0:3], s33 ; 4-byte Folded Spill
	v_writelane_b32 v43, s34, 0
	v_writelane_b32 v43, s35, 1
	v_writelane_b32 v43, s30, 2
	v_writelane_b32 v43, s31, 3
	s_trap 2
	ds_read_b32 v0, v0
	v_mov_b32_e32 v40, v31
	s_waitcnt lgkmcnt(0)
	v_cmp_gt_i32_e32 vcc_lo, 1, v0
	s_cbranch_vccnz .LBB5_8
; %bb.1:
	v_and_b32_e32 v41, 0x3ff, v40
	v_mov_b32_e32 v42, 5
	s_mov_b32 s58, s12
	s_mov_b64 s[56:57], s[8:9]
	s_mov_b32 s59, 0
	s_inst_prefetch 0x1
	s_branch .LBB5_3
	.p2align	6
.LBB5_2:                                ;   in Loop: Header=BB5_3 Depth=1
	s_or_b32 exec_lo, exec_lo, s60
	s_trap 2
	ds_read_b32 v0, v0
	s_add_i32 s59, s59, 1
	s_waitcnt lgkmcnt(0)
	v_cmp_lt_i32_e32 vcc_lo, s59, v0
	s_cbranch_vccz .LBB5_8
.LBB5_3:                                ; =>This Inner Loop Header: Depth=1
	s_trap 2
	ds_read_b32 v0, v0
	s_cmp_eq_u32 s59, 0
	s_cbranch_scc1 .LBB5_6
; %bb.4:                                ;   in Loop: Header=BB5_3 Depth=1
	s_trap 2
	s_waitcnt lgkmcnt(0)
	ds_read_b32 v1, v0
	s_waitcnt lgkmcnt(0)
	v_xor_b32_e32 v1, v1, v0
	v_and_b32_e32 v1, 0xff0000, v1
	v_cmp_eq_u32_e32 vcc_lo, 0, v1
	s_cbranch_vccnz .LBB5_6
; %bb.5:                                ;   in Loop: Header=BB5_3 Depth=1
	s_waitcnt_vscnt null, 0x0
	s_barrier
	buffer_gl0_inv
	ds_read_b32 v0, v0
.LBB5_6:                                ;   in Loop: Header=BB5_3 Depth=1
	s_waitcnt lgkmcnt(0)
	v_lshlrev_b32_sdwa v1, v42, v0 dst_sel:DWORD dst_unused:UNUSED_PAD src0_sel:DWORD src1_sel:BYTE_2
	s_mov_b32 s60, exec_lo
	v_cmpx_lt_u32_e64 v41, v1
	s_cbranch_execz .LBB5_2
; %bb.7:                                ;   in Loop: Header=BB5_3 Depth=1
	s_mov_b64 s[4:5], src_shared_base
	v_mov_b32_e32 v31, v40
	v_mov_b32_e32 v0, v41
	;; [unrolled: 1-line block ×3, first 2 shown]
	s_getpc_b64 s[6:7]
	s_add_u32 s6, s6, _ZN12_GLOBAL__N_17runRingI11rccl_float87FuncSumIS1_E11ProtoSimpleILi1ELi1ELi0ELi2ELi0ELi0EELi0ELi2ELi0EEEviiP15ncclDevWorkColl@rel32@lo+4
	s_addc_u32 s7, s7, _ZN12_GLOBAL__N_17runRingI11rccl_float87FuncSumIS1_E11ProtoSimpleILi1ELi1ELi0ELi2ELi0ELi0EELi0ELi2ELi0EEEviiP15ncclDevWorkColl@rel32@hi+12
	s_mov_b64 s[8:9], s[56:57]
	s_mov_b32 s12, s58
	s_swappc_b64 s[30:31], s[6:7]
	s_branch .LBB5_2
.LBB5_8:
	s_inst_prefetch 0x2
	s_clause 0x3
	buffer_load_dword v88, off, s[0:3], s33
	buffer_load_dword v42, off, s[0:3], s33 offset:4
	buffer_load_dword v41, off, s[0:3], s33 offset:8
	;; [unrolled: 1-line block ×3, first 2 shown]
	v_readlane_b32 s30, v43, 2
	v_readlane_b32 s31, v43, 3
	;; [unrolled: 1-line block ×4, first 2 shown]
	s_mov_b32 s32, s33
	s_or_saveexec_b32 s4, -1
	buffer_load_dword v43, off, s[0:3], s33 offset:16 ; 4-byte Folded Reload
	s_mov_b32 exec_lo, s4
	s_mov_b32 s33, s61
	s_waitcnt vmcnt(0)
	s_setpc_b64 s[30:31]
.Lfunc_end5:
	.size	_Z47ncclDevFunc_Reduce_RING_SIMPLE_Sum_f8e4m3_0_0_2v, .Lfunc_end5-_Z47ncclDevFunc_Reduce_RING_SIMPLE_Sum_f8e4m3_0_0_2v
                                        ; -- End function
	.set .L_Z47ncclDevFunc_Reduce_RING_SIMPLE_Sum_f8e4m3_0_0_2v.num_vgpr, max(89, .L_ZN12_GLOBAL__N_17runRingI11rccl_float87FuncSumIS1_E11ProtoSimpleILi1ELi1ELi0ELi2ELi0ELi0EELi0ELi2ELi0EEEviiP15ncclDevWorkColl.num_vgpr)
	.set .L_Z47ncclDevFunc_Reduce_RING_SIMPLE_Sum_f8e4m3_0_0_2v.num_agpr, max(0, .L_ZN12_GLOBAL__N_17runRingI11rccl_float87FuncSumIS1_E11ProtoSimpleILi1ELi1ELi0ELi2ELi0ELi0EELi0ELi2ELi0EEEviiP15ncclDevWorkColl.num_agpr)
	.set .L_Z47ncclDevFunc_Reduce_RING_SIMPLE_Sum_f8e4m3_0_0_2v.numbered_sgpr, max(62, .L_ZN12_GLOBAL__N_17runRingI11rccl_float87FuncSumIS1_E11ProtoSimpleILi1ELi1ELi0ELi2ELi0ELi0EELi0ELi2ELi0EEEviiP15ncclDevWorkColl.numbered_sgpr)
	.set .L_Z47ncclDevFunc_Reduce_RING_SIMPLE_Sum_f8e4m3_0_0_2v.num_named_barrier, max(0, .L_ZN12_GLOBAL__N_17runRingI11rccl_float87FuncSumIS1_E11ProtoSimpleILi1ELi1ELi0ELi2ELi0ELi0EELi0ELi2ELi0EEEviiP15ncclDevWorkColl.num_named_barrier)
	.set .L_Z47ncclDevFunc_Reduce_RING_SIMPLE_Sum_f8e4m3_0_0_2v.private_seg_size, 32+max(.L_ZN12_GLOBAL__N_17runRingI11rccl_float87FuncSumIS1_E11ProtoSimpleILi1ELi1ELi0ELi2ELi0ELi0EELi0ELi2ELi0EEEviiP15ncclDevWorkColl.private_seg_size)
	.set .L_Z47ncclDevFunc_Reduce_RING_SIMPLE_Sum_f8e4m3_0_0_2v.uses_vcc, or(1, .L_ZN12_GLOBAL__N_17runRingI11rccl_float87FuncSumIS1_E11ProtoSimpleILi1ELi1ELi0ELi2ELi0ELi0EELi0ELi2ELi0EEEviiP15ncclDevWorkColl.uses_vcc)
	.set .L_Z47ncclDevFunc_Reduce_RING_SIMPLE_Sum_f8e4m3_0_0_2v.uses_flat_scratch, or(0, .L_ZN12_GLOBAL__N_17runRingI11rccl_float87FuncSumIS1_E11ProtoSimpleILi1ELi1ELi0ELi2ELi0ELi0EELi0ELi2ELi0EEEviiP15ncclDevWorkColl.uses_flat_scratch)
	.set .L_Z47ncclDevFunc_Reduce_RING_SIMPLE_Sum_f8e4m3_0_0_2v.has_dyn_sized_stack, or(0, .L_ZN12_GLOBAL__N_17runRingI11rccl_float87FuncSumIS1_E11ProtoSimpleILi1ELi1ELi0ELi2ELi0ELi0EELi0ELi2ELi0EEEviiP15ncclDevWorkColl.has_dyn_sized_stack)
	.set .L_Z47ncclDevFunc_Reduce_RING_SIMPLE_Sum_f8e4m3_0_0_2v.has_recursion, or(1, .L_ZN12_GLOBAL__N_17runRingI11rccl_float87FuncSumIS1_E11ProtoSimpleILi1ELi1ELi0ELi2ELi0ELi0EELi0ELi2ELi0EEEviiP15ncclDevWorkColl.has_recursion)
	.set .L_Z47ncclDevFunc_Reduce_RING_SIMPLE_Sum_f8e4m3_0_0_2v.has_indirect_call, or(0, .L_ZN12_GLOBAL__N_17runRingI11rccl_float87FuncSumIS1_E11ProtoSimpleILi1ELi1ELi0ELi2ELi0ELi0EELi0ELi2ELi0EEEviiP15ncclDevWorkColl.has_indirect_call)
	.section	.AMDGPU.csdata,"",@progbits
; Function info:
; codeLenInByte = 492
; TotalNumSgprs: 64
; NumVgprs: 120
; ScratchSize: 208
; MemoryBound: 0
	.text
	.p2align	2                               ; -- Begin function _ZN12_GLOBAL__N_17runRingI11rccl_float87FuncSumIS1_E11ProtoSimpleILi1ELi1ELi0ELi4ELi0ELi0EELi0ELi4ELi0EEEviiP15ncclDevWorkColl
	.type	_ZN12_GLOBAL__N_17runRingI11rccl_float87FuncSumIS1_E11ProtoSimpleILi1ELi1ELi0ELi4ELi0ELi0EELi0ELi4ELi0EEEviiP15ncclDevWorkColl,@function
_ZN12_GLOBAL__N_17runRingI11rccl_float87FuncSumIS1_E11ProtoSimpleILi1ELi1ELi0ELi4ELi0ELi0EELi0ELi4ELi0EEEviiP15ncclDevWorkColl: ; @_ZN12_GLOBAL__N_17runRingI11rccl_float87FuncSumIS1_E11ProtoSimpleILi1ELi1ELi0ELi4ELi0ELi0EELi0ELi4ELi0EEEviiP15ncclDevWorkColl
; %bb.0:
	s_waitcnt vmcnt(0) expcnt(0) lgkmcnt(0)
	s_mov_b32 s47, s33
	s_mov_b32 s33, s32
	s_or_saveexec_b32 s4, -1
	buffer_store_dword v127, off, s[0:3], s33 offset:212 ; 4-byte Folded Spill
	s_mov_b32 exec_lo, s4
	s_addk_i32 s32, 0x1c00
	buffer_store_dword v40, off, s[0:3], s33 offset:184 ; 4-byte Folded Spill
	buffer_store_dword v41, off, s[0:3], s33 offset:180 ; 4-byte Folded Spill
	buffer_store_dword v42, off, s[0:3], s33 offset:176 ; 4-byte Folded Spill
	buffer_store_dword v43, off, s[0:3], s33 offset:172 ; 4-byte Folded Spill
	buffer_store_dword v44, off, s[0:3], s33 offset:168 ; 4-byte Folded Spill
	buffer_store_dword v45, off, s[0:3], s33 offset:164 ; 4-byte Folded Spill
	buffer_store_dword v46, off, s[0:3], s33 offset:160 ; 4-byte Folded Spill
	buffer_store_dword v47, off, s[0:3], s33 offset:156 ; 4-byte Folded Spill
	buffer_store_dword v56, off, s[0:3], s33 offset:152 ; 4-byte Folded Spill
	buffer_store_dword v57, off, s[0:3], s33 offset:148 ; 4-byte Folded Spill
	buffer_store_dword v58, off, s[0:3], s33 offset:144 ; 4-byte Folded Spill
	buffer_store_dword v59, off, s[0:3], s33 offset:140 ; 4-byte Folded Spill
	buffer_store_dword v60, off, s[0:3], s33 offset:136 ; 4-byte Folded Spill
	buffer_store_dword v61, off, s[0:3], s33 offset:132 ; 4-byte Folded Spill
	buffer_store_dword v62, off, s[0:3], s33 offset:128 ; 4-byte Folded Spill
	buffer_store_dword v63, off, s[0:3], s33 offset:124 ; 4-byte Folded Spill
	buffer_store_dword v72, off, s[0:3], s33 offset:120 ; 4-byte Folded Spill
	buffer_store_dword v73, off, s[0:3], s33 offset:116 ; 4-byte Folded Spill
	buffer_store_dword v74, off, s[0:3], s33 offset:112 ; 4-byte Folded Spill
	buffer_store_dword v75, off, s[0:3], s33 offset:108 ; 4-byte Folded Spill
	buffer_store_dword v76, off, s[0:3], s33 offset:104 ; 4-byte Folded Spill
	buffer_store_dword v77, off, s[0:3], s33 offset:100 ; 4-byte Folded Spill
	buffer_store_dword v78, off, s[0:3], s33 offset:96 ; 4-byte Folded Spill
	buffer_store_dword v79, off, s[0:3], s33 offset:92 ; 4-byte Folded Spill
	buffer_store_dword v88, off, s[0:3], s33 offset:88 ; 4-byte Folded Spill
	buffer_store_dword v89, off, s[0:3], s33 offset:84 ; 4-byte Folded Spill
	buffer_store_dword v90, off, s[0:3], s33 offset:80 ; 4-byte Folded Spill
	buffer_store_dword v91, off, s[0:3], s33 offset:76 ; 4-byte Folded Spill
	buffer_store_dword v92, off, s[0:3], s33 offset:72 ; 4-byte Folded Spill
	buffer_store_dword v93, off, s[0:3], s33 offset:68 ; 4-byte Folded Spill
	buffer_store_dword v94, off, s[0:3], s33 offset:64 ; 4-byte Folded Spill
	buffer_store_dword v95, off, s[0:3], s33 offset:60 ; 4-byte Folded Spill
	buffer_store_dword v104, off, s[0:3], s33 offset:56 ; 4-byte Folded Spill
	buffer_store_dword v105, off, s[0:3], s33 offset:52 ; 4-byte Folded Spill
	buffer_store_dword v106, off, s[0:3], s33 offset:48 ; 4-byte Folded Spill
	buffer_store_dword v107, off, s[0:3], s33 offset:44 ; 4-byte Folded Spill
	buffer_store_dword v108, off, s[0:3], s33 offset:40 ; 4-byte Folded Spill
	buffer_store_dword v109, off, s[0:3], s33 offset:36 ; 4-byte Folded Spill
	buffer_store_dword v110, off, s[0:3], s33 offset:32 ; 4-byte Folded Spill
	buffer_store_dword v111, off, s[0:3], s33 offset:28 ; 4-byte Folded Spill
	buffer_store_dword v120, off, s[0:3], s33 offset:24 ; 4-byte Folded Spill
	buffer_store_dword v121, off, s[0:3], s33 offset:20 ; 4-byte Folded Spill
	buffer_store_dword v122, off, s[0:3], s33 offset:16 ; 4-byte Folded Spill
	buffer_store_dword v123, off, s[0:3], s33 offset:12 ; 4-byte Folded Spill
	buffer_store_dword v124, off, s[0:3], s33 offset:8 ; 4-byte Folded Spill
	buffer_store_dword v125, off, s[0:3], s33 offset:4 ; 4-byte Folded Spill
	buffer_store_dword v126, off, s[0:3], s33 ; 4-byte Folded Spill
	v_writelane_b32 v127, s30, 0
	v_writelane_b32 v127, s31, 1
	s_trap 2
	ds_read_b64 v[14:15], v0
	ds_read_b32 v6, v0
	flat_load_dwordx2 v[8:9], v[2:3]
                                        ; implicit-def: $vgpr17_vgpr18
                                        ; implicit-def: $vgpr52_vgpr53
	s_waitcnt lgkmcnt(2)
	v_ashrrev_i32_e32 v5, 31, v15
	v_mov_b32_e32 v4, v15
	v_lshlrev_b64 v[4:5], 2, v[4:5]
	v_add_co_u32 v4, vcc_lo, v14, v4
	v_add_co_ci_u32_e64 v5, null, v15, v5, vcc_lo
	v_add_co_u32 v4, vcc_lo, -4, v4
	v_add_co_ci_u32_e64 v5, null, -1, v5, vcc_lo
	flat_load_ushort v16, v[2:3] offset:8
	flat_load_dword v24, v[4:5]
                                        ; implicit-def: $vgpr4_vgpr5
	s_waitcnt vmcnt(2) lgkmcnt(2)
	v_mov_b32_e32 v15, v9
	v_cmp_ne_u32_sdwa s4, v6, v8 src0_sel:DWORD src1_sel:BYTE_0
	s_and_saveexec_b32 s5, s4
	s_xor_b32 s4, exec_lo, s5
	s_cbranch_execz .LBB6_6
; %bb.1:
	v_not_b32_sdwa v9, v8 dst_sel:DWORD dst_unused:UNUSED_PAD src0_sel:BYTE_0
	v_cmp_ne_u32_sdwa s5, v6, v8 src0_sel:DWORD src1_sel:BYTE_1
                                        ; implicit-def: $vgpr17_vgpr18
                                        ; implicit-def: $vgpr4_vgpr5
                                        ; implicit-def: $vgpr52_vgpr53
	s_and_saveexec_b32 s6, s5
	s_xor_b32 s5, exec_lo, s6
	s_cbranch_execz .LBB6_3
; %bb.2:
	s_clause 0x1
	flat_load_dwordx4 v[10:13], v[2:3] offset:72
	flat_load_dwordx2 v[4:5], v[2:3] offset:96
	v_add_nc_u32_e32 v6, v6, v9
                                        ; implicit-def: $vgpr8
                                        ; implicit-def: $vgpr9
	v_ashrrev_i32_e32 v7, 31, v6
	s_waitcnt vmcnt(1) lgkmcnt(1)
	v_mul_lo_u32 v7, v12, v7
	v_mad_u64_u32 v[52:53], null, v12, v6, v[10:11]
	v_mul_lo_u32 v6, v13, v6
	s_waitcnt vmcnt(0) lgkmcnt(0)
	v_lshrrev_b64 v[17:18], 12, v[4:5]
	v_mov_b32_e32 v4, v12
	v_mov_b32_e32 v5, v13
	v_add3_u32 v53, v6, v53, v7
.LBB6_3:
	s_andn2_saveexec_b32 s5, s5
	s_cbranch_execz .LBB6_5
; %bb.4:
	s_clause 0x1
	flat_load_dwordx4 v[10:13], v[2:3] offset:72
	flat_load_dwordx4 v[4:7], v[2:3] offset:88
	s_waitcnt vmcnt(0) lgkmcnt(0)
	v_add_nc_u32_sdwa v6, v8, v9 dst_sel:DWORD dst_unused:UNUSED_PAD src0_sel:BYTE_1 src1_sel:DWORD
	v_ashrrev_i32_e32 v8, 31, v6
	v_mul_lo_u32 v8, v12, v8
	v_mad_u64_u32 v[52:53], null, v12, v6, v[10:11]
	v_mul_lo_u32 v6, v13, v6
	v_lshrrev_b32_e32 v17, 1, v7
	v_add3_u32 v53, v6, v53, v8
.LBB6_5:
	s_or_b32 exec_lo, exec_lo, s5
.LBB6_6:
	s_andn2_saveexec_b32 s4, s4
	s_cbranch_execz .LBB6_8
; %bb.7:
	s_clause 0x1
	flat_load_dwordx2 v[6:7], v[2:3] offset:96
	flat_load_dwordx2 v[4:5], v[2:3] offset:72
	v_mov_b32_e32 v52, 0
	v_mov_b32_e32 v53, 0
	s_waitcnt vmcnt(1) lgkmcnt(1)
	v_lshlrev_b64 v[17:18], 9, v[6:7]
.LBB6_8:
	s_or_b32 exec_lo, exec_lo, s4
	s_trap 2
	ds_read_b64 v[6:7], v0
	s_mov_b32 s5, exec_lo
	s_waitcnt lgkmcnt(0)
	v_cmp_ne_u32_e32 vcc_lo, -1, v6
	v_cndmask_b32_e64 v32, 0, 1, vcc_lo
	v_cmp_ne_u32_e32 vcc_lo, -1, v7
	v_add_co_ci_u32_e64 v6, null, 0, v32, vcc_lo
	v_lshlrev_b32_e32 v7, 1, v6
	v_cmpx_le_u32_e64 v7, v1
	s_xor_b32 s15, exec_lo, s5
	s_cbranch_execnz .LBB6_9
; %bb.6032:
	s_getpc_b64 s[34:35]
.Lpost_getpc1:
	s_add_u32 s34, s34, (.LBB6_6029-.Lpost_getpc1)&4294967295
	s_addc_u32 s35, s35, (.LBB6_6029-.Lpost_getpc1)>>32
	s_setpc_b64 s[34:35]
.LBB6_9:
	s_clause 0x1
	flat_load_dwordx4 v[10:13], v[2:3] offset:16
	flat_load_dwordx2 v[18:19], v[2:3] offset:104
	s_trap 2
	s_load_dword s4, s[8:9], 0x0
	v_mov_b32_e32 v2, 0
	v_mov_b32_e32 v117, 4
	s_waitcnt lgkmcnt(0)
	s_cmp_lt_u32 s12, s4
	s_cselect_b32 s4, 12, 18
	s_add_u32 s4, s8, s4
	s_addc_u32 s5, s9, 0
	global_load_ushort v58, v2, s[4:5]
	ds_read_b32 v2, v0
	s_mov_b32 s5, exec_lo
	s_waitcnt lgkmcnt(0)
	v_readfirstlane_b32 s16, v2
	v_cmpx_ge_i32_e64 v0, v32
	s_cbranch_execz .LBB6_19
; %bb.10:
	v_cmp_ge_u32_e64 s4, v0, v6
                                        ; implicit-def: $vgpr117
	s_and_saveexec_b32 s6, s4
	s_xor_b32 s4, exec_lo, s6
	s_cbranch_execz .LBB6_16
; %bb.11:
	v_cndmask_b32_e64 v2, 0, 1, vcc_lo
	s_mov_b32 s6, exec_lo
	v_sub_nc_u32_e32 v2, v1, v2
	v_cmpx_ge_u32_e64 v0, v2
	s_xor_b32 s6, exec_lo, s6
; %bb.12:
                                        ; implicit-def: $vgpr6
; %bb.13:
	s_or_saveexec_b32 s6, s6
	v_mov_b32_e32 v117, 16
	s_xor_b32 exec_lo, exec_lo, s6
; %bb.14:
	v_sub_nc_u32_e32 v2, v1, v6
	v_cmp_lt_i32_e32 vcc_lo, v0, v2
	v_cndmask_b32_e64 v117, 32, 0, vcc_lo
; %bb.15:
	s_or_b32 exec_lo, exec_lo, s6
.LBB6_16:
	s_andn2_saveexec_b32 s4, s4
; %bb.17:
	v_mov_b32_e32 v117, 8
; %bb.18:
	s_or_b32 exec_lo, exec_lo, s4
.LBB6_19:
	s_or_b32 exec_lo, exec_lo, s5
	v_and_b32_e32 v2, 36, v117
	v_mov_b32_e32 v20, -1
	v_cmp_ne_u32_e32 vcc_lo, 0, v2
	s_and_saveexec_b32 s4, vcc_lo
	s_cbranch_execz .LBB6_21
; %bb.20:
	s_trap 2
	ds_read_b32 v20, v0
.LBB6_21:
	s_or_b32 exec_lo, exec_lo, s4
	v_and_b32_e32 v2, 24, v117
	s_mov_b32 s5, exec_lo
	v_cmpx_ne_u32_e32 0, v2
	s_cbranch_execz .LBB6_23
; %bb.22:
	s_trap 2
	s_waitcnt lgkmcnt(0)
	ds_read_b32 v20, v0
.LBB6_23:
	s_or_b32 exec_lo, exec_lo, s5
	s_waitcnt vmcnt(4)
	v_lshrrev_b64 v[2:3], 31, v[15:16]
	v_mov_b32_e32 v54, 0
	v_mov_b32_e32 v6, 0
	v_mov_b32_e32 v55, 0
	s_waitcnt lgkmcnt(0)
	v_ashrrev_i32_e32 v21, 31, v20
	v_mov_b32_e32 v7, 0
	v_and_b32_e32 v2, 3, v2
                                        ; implicit-def: $vgpr8_vgpr9
                                        ; kill: killed $vgpr8_vgpr9
                                        ; implicit-def: $vgpr118
                                        ; implicit-def: $vgpr68_vgpr69
                                        ; implicit-def: $vgpr66_vgpr67
                                        ; implicit-def: $vgpr64_vgpr65
	v_and_b32_e32 v2, 0xffff, v2
	s_and_saveexec_b32 s4, vcc_lo
	s_cbranch_execz .LBB6_33
; %bb.24:
	s_trap 2
	ds_read_b64 v[6:7], v0
	v_lshlrev_b64 v[8:9], 3, v[20:21]
	s_mov_b32 s5, exec_lo
	s_waitcnt lgkmcnt(0)
	v_add_co_u32 v6, vcc_lo, v6, v8
	v_add_co_ci_u32_e64 v7, null, v7, v9, vcc_lo
	flat_load_dwordx2 v[6:7], v[6:7]
	s_waitcnt vmcnt(0) lgkmcnt(0)
	v_mad_u64_u32 v[22:23], null, 0xa8, v2, v[6:7]
                                        ; implicit-def: $vgpr6_vgpr7
                                        ; kill: killed $vgpr6_vgpr7
	flat_load_dword v3, v[22:23] offset:640
	s_waitcnt vmcnt(0) lgkmcnt(0)
	v_cmpx_eq_u32_e32 1, v3
	s_cbranch_execz .LBB6_26
; %bb.25:
	flat_load_dwordx2 v[8:9], v[22:23] offset:648
	v_or_b32_e32 v117, 0x2000, v117
	s_waitcnt vmcnt(0) lgkmcnt(0)
	flat_load_dwordx2 v[6:7], v[8:9]
	s_trap 2
	s_waitcnt vmcnt(0) lgkmcnt(0)
	ds_write_b64 v0, v[6:7]
	flat_load_dwordx2 v[6:7], v[8:9] offset:8
	s_waitcnt vmcnt(0) lgkmcnt(0)
	ds_write_b64 v0, v[6:7]
	buffer_store_dword v8, off, s[0:3], s33 offset:192 ; 4-byte Folded Spill
	buffer_store_dword v9, off, s[0:3], s33 offset:196 ; 4-byte Folded Spill
	flat_load_dwordx2 v[6:7], v[8:9] offset:16
	s_waitcnt vmcnt(0) lgkmcnt(0)
	ds_write_b64 v0, v[6:7]
.LBB6_26:
	s_or_b32 exec_lo, exec_lo, s5
	flat_load_dwordx2 v[8:9], v[22:23] offset:608
	v_and_b32_e32 v3, 32, v117
	s_mov_b32 s5, exec_lo
                                        ; implicit-def: $vgpr64_vgpr65
	v_cmpx_ne_u32_e32 0, v3
	s_cbranch_execz .LBB6_28
; %bb.27:
	flat_load_dwordx2 v[64:65], v[22:23] offset:560
	s_waitcnt vmcnt(0) lgkmcnt(0)
	s_waitcnt_vscnt null, 0x0
	flat_store_dwordx2 v[64:65], v[8:9]
.LBB6_28:
	s_or_b32 exec_lo, exec_lo, s5
	v_add_co_u32 v54, vcc_lo, 0x1f8, v22
	v_mov_b32_e32 v6, 0
	v_and_b32_e32 v3, 4, v117
	v_add_co_ci_u32_e64 v55, null, 0, v23, vcc_lo
	v_mov_b32_e32 v7, 0
	s_mov_b32 s5, exec_lo
                                        ; implicit-def: $vgpr118
                                        ; implicit-def: $vgpr68_vgpr69
                                        ; implicit-def: $vgpr66_vgpr67
	v_cmpx_ne_u32_e32 0, v3
	s_cbranch_execz .LBB6_32
; %bb.29:
	v_and_b32_e32 v3, 0x800, v117
	s_mov_b32 s6, exec_lo
	v_cmpx_eq_u32_e32 0, v3
	s_cbranch_execz .LBB6_31
; %bb.30:
	s_trap 2
	ds_write_b64 v0, v[54:55]
.LBB6_31:
	s_or_b32 exec_lo, exec_lo, s6
	flat_load_dwordx2 v[64:65], v[22:23] offset:552
	v_or_b32_e32 v3, 0x100, v117
	s_waitcnt vmcnt(0) lgkmcnt(0)
	flat_load_dwordx2 v[68:69], v[64:65] glc dlc
	s_clause 0x2
	flat_load_dwordx2 v[6:7], v[22:23] offset:600
	flat_load_dword v118, v[22:23] offset:576
	flat_load_dwordx2 v[66:67], v[22:23] offset:520
	s_waitcnt vmcnt(2) lgkmcnt(2)
	v_cmp_eq_u64_e32 vcc_lo, 0, v[6:7]
	v_cndmask_b32_e32 v117, v3, v117, vcc_lo
.LBB6_32:
	s_or_b32 exec_lo, exec_lo, s5
.LBB6_33:
	s_or_b32 exec_lo, exec_lo, s4
	v_and_b32_e32 v3, 24, v117
	s_mov_b32 s4, exec_lo
                                        ; implicit-def: $vgpr82_vgpr83
	v_cmpx_ne_u32_e32 0, v3
	s_cbranch_execz .LBB6_41
; %bb.34:
	s_trap 2
	ds_read_b64 v[6:7], v0
	s_waitcnt vmcnt(0) lgkmcnt(1)
	v_lshlrev_b64 v[8:9], 3, v[20:21]
	s_mov_b32 s5, exec_lo
                                        ; implicit-def: $vgpr82_vgpr83
	s_waitcnt lgkmcnt(0)
	v_add_co_u32 v6, vcc_lo, v6, v8
	v_add_co_ci_u32_e64 v7, null, v7, v9, vcc_lo
	flat_load_dwordx2 v[6:7], v[6:7]
	s_waitcnt vmcnt(0) lgkmcnt(0)
	v_mad_u64_u32 v[54:55], null, 0xa8, v2, v[6:7]
	v_or_b32_e32 v2, 0x100, v117
	flat_load_dwordx4 v[6:9], v[54:55] offset:96
	s_waitcnt vmcnt(0) lgkmcnt(0)
	v_cmp_eq_u64_e32 vcc_lo, 0, v[6:7]
	v_cndmask_b32_e32 v117, v2, v117, vcc_lo
	v_and_b32_e32 v2, 16, v117
	v_cmpx_ne_u32_e32 0, v2
	s_cbranch_execz .LBB6_36
; %bb.35:
	s_clause 0x2
	flat_load_dwordx2 v[64:65], v[54:55] offset:48
	flat_load_dwordx2 v[82:83], v[54:55] offset:120
	;; [unrolled: 1-line block ×3, first 2 shown]
.LBB6_36:
	s_or_b32 exec_lo, exec_lo, s5
	v_and_b32_e32 v2, 8, v117
	s_mov_b32 s5, exec_lo
	v_cmpx_ne_u32_e32 0, v2
	s_cbranch_execz .LBB6_40
; %bb.37:
	v_and_b32_e32 v2, 0x800, v117
	s_mov_b32 s6, exec_lo
	v_cmpx_eq_u32_e32 0, v2
	s_cbranch_execz .LBB6_39
; %bb.38:
	s_trap 2
	ds_write_b64 v0, v[54:55]
.LBB6_39:
	s_or_b32 exec_lo, exec_lo, s6
	s_waitcnt vmcnt(2) lgkmcnt(2)
	flat_load_dwordx2 v[64:65], v[54:55] offset:56
	s_waitcnt vmcnt(0) lgkmcnt(0)
	flat_load_dwordx2 v[68:69], v[64:65] glc dlc
	s_clause 0x1
	flat_load_dword v118, v[54:55] offset:72
	flat_load_dwordx2 v[66:67], v[54:55] offset:16
.LBB6_40:
	s_or_b32 exec_lo, exec_lo, s5
.LBB6_41:
	s_or_b32 exec_lo, exec_lo, s4
	v_cmp_eq_u32_e64 s4, 0, v0
	s_and_saveexec_b32 s5, s4
	s_cbranch_execz .LBB6_43
; %bb.42:
	s_waitcnt vmcnt(2)
	v_mov_b32_e32 v2, v12
	v_mov_b32_e32 v12, 0
	v_mov_b32_e32 v3, v13
	v_mov_b32_e32 v13, v12
	ds_write2_b64 v0, v[2:3], v[10:11] offset1:1
	s_trap 2
	ds_write_b64 v0, v[12:13]
	s_waitcnt vmcnt(1)
	ds_write_b64 v0, v[18:19]
.LBB6_43:
	s_or_b32 exec_lo, exec_lo, s5
	v_bfe_u32 v2, v15, 1, 30
	v_and_b32_e32 v80, 0x3ffffe00, v17
	v_mov_b32_e32 v81, 0
                                        ; implicit-def: $vgpr70_vgpr71
	s_mov_b32 s5, exec_lo
	s_waitcnt vmcnt(3)
	v_cmpx_ne_u32_e64 v24, v2
	s_xor_b32 s17, exec_lo, s5
	s_cbranch_execnz .LBB6_44
; %bb.6034:
	s_getpc_b64 s[34:35]
.Lpost_getpc2:
	s_add_u32 s34, s34, (.LBB6_5821-.Lpost_getpc2)&4294967295
	s_addc_u32 s35, s35, (.LBB6_5821-.Lpost_getpc2)>>32
	s_setpc_b64 s[34:35]
.LBB6_44:
                                        ; implicit-def: $vgpr70_vgpr71
	s_mov_b32 s5, exec_lo
	v_cmpx_ne_u32_e64 v14, v2
	s_xor_b32 s18, exec_lo, s5
	s_cbranch_execz .LBB6_2938
; %bb.45:
	v_mov_b32_e32 v70, 0
	v_mov_b32_e32 v71, 0
	s_mov_b32 s19, exec_lo
	v_cmpx_ne_u64_e32 0, v[4:5]
	s_cbranch_execz .LBB6_2937
; %bb.46:
	v_ashrrev_i32_e32 v2, 31, v0
	v_and_b32_e32 v3, 31, v31
	v_lshrrev_b32_e32 v119, 5, v1
	s_ashr_i32 s10, s16, 31
	v_cmp_eq_u32_e32 vcc_lo, 32, v1
	v_lshrrev_b32_e32 v2, 27, v2
	s_lshr_b32 s10, s10, 24
	v_mov_b32_e32 v86, 0
	s_waitcnt vmcnt(1) lgkmcnt(1)
	v_cmp_eq_u64_e64 s7, 0, v[82:83]
	v_mov_b32_e32 v70, 0
	v_add_nc_u32_e32 v2, v0, v2
	v_cmp_ge_i32_e64 s5, v0, v1
	v_cmp_ne_u32_e64 s6, 32, v1
	s_waitcnt vmcnt(0)
	buffer_store_dword v58, off, s[0:3], s33 offset:188 ; 4-byte Folded Spill
	v_cmp_ne_u32_sdwa s20, v1, v58 src0_sel:DWORD src1_sel:WORD_0
	v_and_b32_e32 v10, 0xffffffe0, v2
	v_ashrrev_i32_e32 v41, 5, v2
	v_mov_b32_e32 v84, 0
	v_and_b32_e32 v40, 0x1fe0, v1
	v_mov_b32_e32 v87, 0
	v_sub_nc_u32_e32 v10, v0, v10
	v_lshlrev_b32_e32 v2, 11, v41
	v_mov_b32_e32 v42, 1
	s_add_i32 s13, s16, s10
	v_cmp_eq_u32_e64 s10, 0, v3
	v_lshlrev_b32_e32 v45, 11, v119
	v_lshl_add_u32 v2, v10, 4, v2
	v_lshlrev_b32_e32 v47, 9, v119
	v_lshlrev_b32_e32 v56, 10, v119
	v_cmp_le_i32_e64 s11, v10, v32
	v_cmp_lt_i32_e64 s12, v10, v32
	buffer_store_dword v2, off, s[0:3], s33 offset:204 ; 4-byte Folded Spill
	v_ashrrev_i32_e32 v2, 31, v2
	v_mov_b32_e32 v58, 0x7f
	v_mov_b32_e32 v59, 0x80
	;; [unrolled: 1-line block ×7, first 2 shown]
	s_ashr_i32 s22, s13, 8
	s_mov_b32 s21, 0
	s_xor_b32 s23, vcc_lo, -1
	buffer_store_dword v10, off, s[0:3], s33 offset:200 ; 4-byte Folded Spill
	buffer_store_dword v2, off, s[0:3], s33 offset:208 ; 4-byte Folded Spill
	s_trap 2
	s_branch .LBB6_49
.LBB6_47:                               ;   in Loop: Header=BB6_49 Depth=1
	s_or_b32 exec_lo, exec_lo, s13
.LBB6_48:                               ;   in Loop: Header=BB6_49 Depth=1
	s_or_b32 exec_lo, exec_lo, s14
	v_add_co_u32 v86, vcc_lo, v86, v80
	v_add_co_ci_u32_e64 v87, null, 0, v87, vcc_lo
	v_cmp_ge_u64_e32 vcc_lo, v[86:87], v[4:5]
	s_or_b32 s21, vcc_lo, s21
	s_andn2_b32 exec_lo, exec_lo, s21
	s_cbranch_execz .LBB6_2936
.LBB6_49:                               ; =>This Loop Header: Depth=1
                                        ;     Child Loop BB6_58 Depth 2
                                        ;     Child Loop BB6_86 Depth 2
	;; [unrolled: 1-line block ×10, first 2 shown]
	v_sub_co_u32 v2, vcc_lo, v4, v86
	v_sub_co_ci_u32_e64 v3, null, v5, v87, vcc_lo
	v_cmp_lt_u64_e32 vcc_lo, v[80:81], v[2:3]
	v_cndmask_b32_e32 v96, v2, v80, vcc_lo
	v_cndmask_b32_e64 v97, v3, 0, vcc_lo
	v_add_nc_u32_e32 v2, 15, v96
	v_cmp_eq_u64_e32 vcc_lo, 0, v[96:97]
	v_and_b32_e32 v2, 0x7ffffff0, v2
	s_or_b32 s24, s5, vcc_lo
	s_xor_b32 s13, s24, -1
	v_max_i32_e32 v97, s22, v2
	v_mov_b32_e32 v2, 0
	s_and_saveexec_b32 s25, s13
	s_cbranch_execz .LBB6_2884
; %bb.50:                               ;   in Loop: Header=BB6_49 Depth=1
	s_and_saveexec_b32 s13, s4
	s_cbranch_execz .LBB6_52
; %bb.51:                               ;   in Loop: Header=BB6_49 Depth=1
	s_trap 2
	ds_read_b64 v[2:3], v0
	v_mov_b32_e32 v85, v84
	s_waitcnt lgkmcnt(0)
	v_add_co_u32 v2, vcc_lo, v2, v52
	v_add_co_ci_u32_e64 v3, null, v3, v53, vcc_lo
	v_add_co_u32 v2, vcc_lo, v2, v86
	v_add_co_ci_u32_e64 v3, null, v3, v87, vcc_lo
	ds_write_b64 v0, v[2:3]
	ds_write_b64 v0, v[84:85]
.LBB6_52:                               ;   in Loop: Header=BB6_49 Depth=1
	s_or_b32 exec_lo, exec_lo, s13
	v_and_b32_e32 v2, 12, v117
	v_min_u32_e32 v97, v97, v96
	s_mov_b32 s14, exec_lo
	v_cmpx_ne_u32_e32 0, v2
	s_cbranch_execz .LBB6_78
; %bb.53:                               ;   in Loop: Header=BB6_49 Depth=1
	v_and_b32_e32 v2, 8, v117
	s_mov_b32 s26, exec_lo
	s_waitcnt vmcnt(0)
	v_add_co_u32 v12, vcc_lo, v68, v2
	v_add_co_ci_u32_e64 v13, null, 0, v69, vcc_lo
	s_waitcnt lgkmcnt(0)
	v_add_co_u32 v10, vcc_lo, v8, 1
	v_add_co_ci_u32_e64 v11, null, 0, v9, vcc_lo
	v_cmpx_lt_u64_e64 v[12:13], v[10:11]
	s_cbranch_execz .LBB6_65
; %bb.54:                               ;   in Loop: Header=BB6_49 Depth=1
	v_and_b32_e32 v3, 64, v117
	s_mov_b32 s27, 0
	s_mov_b32 s41, 0
                                        ; implicit-def: $sgpr28
                                        ; implicit-def: $sgpr29
                                        ; implicit-def: $sgpr40
	v_cmp_eq_u32_e32 vcc_lo, 0, v3
	s_branch .LBB6_58
.LBB6_55:                               ;   in Loop: Header=BB6_58 Depth=2
	s_waitcnt vmcnt(0) lgkmcnt(0)
	v_add_co_u32 v12, s13, v68, v2
	v_add_co_ci_u32_e64 v13, null, 0, v69, s13
	s_or_b32 s44, s44, exec_lo
	v_cmp_ge_u64_e64 s13, v[12:13], v[10:11]
	s_orn2_b32 s43, s13, exec_lo
.LBB6_56:                               ;   in Loop: Header=BB6_58 Depth=2
	s_or_b32 exec_lo, exec_lo, s46
	s_andn2_b32 s13, s40, exec_lo
	s_and_b32 s40, s44, exec_lo
	s_andn2_b32 s29, s29, exec_lo
	s_and_b32 s43, s43, exec_lo
	s_or_b32 s40, s13, s40
	s_or_b32 s29, s29, s43
.LBB6_57:                               ;   in Loop: Header=BB6_58 Depth=2
	s_or_b32 exec_lo, exec_lo, s42
	s_and_b32 s13, exec_lo, s29
	s_or_b32 s27, s13, s27
	s_andn2_b32 s13, s28, exec_lo
	s_and_b32 s28, s40, exec_lo
	s_or_b32 s28, s13, s28
	s_andn2_b32 exec_lo, exec_lo, s27
	s_cbranch_execz .LBB6_62
.LBB6_58:                               ;   Parent Loop BB6_49 Depth=1
                                        ; =>  This Inner Loop Header: Depth=2
	s_sleep 1
	s_waitcnt vmcnt(0) lgkmcnt(0)
	flat_load_dwordx2 v[68:69], v[64:65] glc dlc
	s_or_b32 s40, s40, exec_lo
	s_or_b32 s29, s29, exec_lo
                                        ; implicit-def: $vgpr3
	s_and_saveexec_b32 s42, vcc_lo
	s_cbranch_execz .LBB6_57
; %bb.59:                               ;   in Loop: Header=BB6_58 Depth=2
	s_cmpk_lt_i32 s41, 0x270f
	s_mov_b32 s43, -1
	s_cselect_b32 s45, -1, 0
	s_cmpk_gt_i32 s41, 0x270e
	s_cbranch_scc0 .LBB6_61
; %bb.60:                               ;   in Loop: Header=BB6_58 Depth=2
	s_trap 2
	ds_read_b64 v[12:13], v0
	s_andn2_b32 s41, s45, exec_lo
	s_mov_b32 s44, 0
	s_waitcnt vmcnt(0) lgkmcnt(0)
	s_waitcnt_vscnt null, 0x0
	flat_load_dword v3, v[12:13] glc dlc
	s_waitcnt vmcnt(0) lgkmcnt(0)
	buffer_gl1_inv
	buffer_gl0_inv
	v_cmp_eq_u32_e64 s13, 0, v3
	s_and_b32 s13, s13, exec_lo
	s_or_b32 s45, s41, s13
	s_mov_b32 s41, 0
	s_and_saveexec_b32 s46, s45
	s_cbranch_execz .LBB6_56
	s_branch .LBB6_55
.LBB6_61:                               ;   in Loop: Header=BB6_58 Depth=2
	s_add_i32 s41, s41, 1
	s_mov_b32 s44, -1
                                        ; implicit-def: $vgpr3
	s_and_saveexec_b32 s46, s45
	s_cbranch_execz .LBB6_56
	s_branch .LBB6_55
.LBB6_62:                               ;   in Loop: Header=BB6_49 Depth=1
	s_or_b32 exec_lo, exec_lo, s27
	s_xor_b32 s13, s28, -1
	s_and_saveexec_b32 s27, s13
	s_xor_b32 s13, exec_lo, s27
	s_cbranch_execz .LBB6_64
; %bb.63:                               ;   in Loop: Header=BB6_49 Depth=1
	v_or_b32_e32 v117, 64, v117
	s_waitcnt vmcnt(0) lgkmcnt(0)
	s_waitcnt_vscnt null, 0x0
	ds_write_b32 v0, v3
	s_trap 2
.LBB6_64:                               ;   in Loop: Header=BB6_49 Depth=1
	s_or_b32 exec_lo, exec_lo, s13
.LBB6_65:                               ;   in Loop: Header=BB6_49 Depth=1
	s_or_b32 exec_lo, exec_lo, s26
	v_and_b32_e32 v3, 0x108, v117
	;;#ASMSTART
	s_wakeup
	;;#ASMEND
	v_cmp_ne_u32_e32 vcc_lo, 0x108, v3
	v_and_b32_e32 v3, 7, v8
	s_and_saveexec_b32 s13, vcc_lo
	s_xor_b32 s13, exec_lo, s13
                                        ; implicit-def: $vgpr14
; %bb.66:                               ;   in Loop: Header=BB6_49 Depth=1
	v_mov_b32_e32 v14, v84
; %bb.67:                               ;   in Loop: Header=BB6_49 Depth=1
	s_andn2_saveexec_b32 s13, s13
	s_cbranch_execz .LBB6_69
; %bb.68:                               ;   in Loop: Header=BB6_49 Depth=1
	v_mad_u64_u32 v[8:9], null, v3, 24, v[6:7]
	v_mov_b32_e32 v98, v84
	v_mov_b32_e32 v14, v84
	flat_store_dwordx2 v[8:9], v[97:98] offset:8
.LBB6_69:                               ;   in Loop: Header=BB6_49 Depth=1
	s_or_b32 exec_lo, exec_lo, s13
	v_and_b32_e32 v8, 0x100, v117
	s_mov_b32 s13, -1
	v_cmp_ne_u32_e32 vcc_lo, 0, v8
                                        ; implicit-def: $vgpr8_vgpr9
	s_and_saveexec_b32 s26, vcc_lo
	s_cbranch_execz .LBB6_73
; %bb.70:                               ;   in Loop: Header=BB6_49 Depth=1
	v_mad_u64_u32 v[12:13], null, v3, 24, v[6:7]
	v_mov_b32_e32 v8, v13
	v_mad_u64_u32 v[8:9], null, v14, 24, v[8:9]
	v_mov_b32_e32 v13, v8
	flat_load_dword v8, v[12:13]
	s_waitcnt vmcnt(0) lgkmcnt(0)
	v_cmp_eq_u32_e64 s13, 1, v8
	v_cmp_ne_u32_e32 vcc_lo, 1, v8
                                        ; implicit-def: $vgpr8_vgpr9
	s_and_saveexec_b32 s27, s13
	s_cbranch_execz .LBB6_72
; %bb.71:                               ;   in Loop: Header=BB6_49 Depth=1
	flat_load_dword v8, v[12:13] offset:4 glc dlc
	s_waitcnt vmcnt(0) lgkmcnt(0)
	v_ashrrev_i32_e32 v9, 31, v8
.LBB6_72:                               ;   in Loop: Header=BB6_49 Depth=1
	s_or_b32 exec_lo, exec_lo, s27
	s_orn2_b32 s13, vcc_lo, exec_lo
.LBB6_73:                               ;   in Loop: Header=BB6_49 Depth=1
	s_or_b32 exec_lo, exec_lo, s26
	s_and_saveexec_b32 s26, s13
	s_cbranch_execz .LBB6_75
; %bb.74:                               ;   in Loop: Header=BB6_49 Depth=1
	v_ashrrev_i32_e32 v8, 31, v118
	v_mul_lo_u32 v12, v14, v118
	v_mul_lo_u32 v13, v3, v8
	v_mad_u64_u32 v[8:9], null, v3, v118, 0
	v_add3_u32 v9, v9, v13, v12
.LBB6_75:                               ;   in Loop: Header=BB6_49 Depth=1
	s_or_b32 exec_lo, exec_lo, s26
	v_cmp_eq_u32_e32 vcc_lo, 0, v2
	v_mov_b32_e32 v2, 0x90
	v_and_b32_e32 v13, 0x2000, v117
	s_mov_b32 s13, exec_lo
	v_cndmask_b32_e32 v12, 0xc8, v2, vcc_lo
	v_add_co_u32 v2, vcc_lo, v66, v8
	v_add_co_ci_u32_e64 v3, null, v67, v9, vcc_lo
	v_add_nc_u32_e32 v8, v0, v12
	ds_write_b64 v8, v[2:3] offset:584
	v_cmpx_ne_u32_e32 0, v13
	s_cbranch_execz .LBB6_77
; %bb.76:                               ;   in Loop: Header=BB6_49 Depth=1
	ds_read_b64 v[2:3], v0 offset:872
	s_waitcnt lgkmcnt(0)
	v_add_co_u32 v2, vcc_lo, v2, 1
	v_add_co_ci_u32_e64 v3, null, 0, v3, vcc_lo
	ds_write_b64 v0, v[2:3] offset:872
.LBB6_77:                               ;   in Loop: Header=BB6_49 Depth=1
	s_or_b32 exec_lo, exec_lo, s13
	v_mov_b32_e32 v8, v10
	v_mov_b32_e32 v9, v11
.LBB6_78:                               ;   in Loop: Header=BB6_49 Depth=1
	s_or_b32 exec_lo, exec_lo, s14
	s_and_saveexec_b32 s13, s6
	s_cbranch_execz .LBB6_97
; %bb.79:                               ;   in Loop: Header=BB6_49 Depth=1
	s_and_saveexec_b32 s14, s20
	s_xor_b32 s14, exec_lo, s14
	s_cbranch_execz .LBB6_94
; %bb.80:                               ;   in Loop: Header=BB6_49 Depth=1
	s_and_saveexec_b32 s26, s10
	s_cbranch_execz .LBB6_93
; %bb.81:                               ;   in Loop: Header=BB6_49 Depth=1
	s_mov_b32 s28, exec_lo
	s_mov_b32 s27, exec_lo
	v_mbcnt_lo_u32_b32 v2, s28, 0
	s_waitcnt vmcnt(0) lgkmcnt(0)
	s_waitcnt_vscnt null, 0x0
	buffer_gl1_inv
	buffer_gl0_inv
	v_cmpx_eq_u32_e32 0, v2
	s_cbranch_execz .LBB6_83
; %bb.82:                               ;   in Loop: Header=BB6_49 Depth=1
	s_bcnt1_i32_b32 s28, s28
	v_mov_b32_e32 v3, v84
	v_mov_b32_e32 v2, s28
	ds_add_u64 v0, v[2:3]
	s_trap 2
.LBB6_83:                               ;   in Loop: Header=BB6_49 Depth=1
	s_or_b32 exec_lo, exec_lo, s27
	s_trap 2
	ds_read_b64 v[2:3], v0
	s_waitcnt lgkmcnt(0)
	buffer_gl0_inv
	v_add_co_u32 v70, vcc_lo, v70, v119
	v_add_co_ci_u32_e64 v71, null, 0, v71, vcc_lo
	s_mov_b32 s27, exec_lo
	v_cmpx_lt_u64_e64 v[2:3], v[70:71]
	s_cbranch_execz .LBB6_92
; %bb.84:                               ;   in Loop: Header=BB6_49 Depth=1
	s_mov_b32 s28, 0
	s_mov_b32 s41, 0
                                        ; implicit-def: $sgpr29
                                        ; implicit-def: $sgpr40
	s_inst_prefetch 0x1
	s_branch .LBB6_86
	.p2align	6
.LBB6_85:                               ;   in Loop: Header=BB6_86 Depth=2
	s_or_b32 exec_lo, exec_lo, s43
	s_and_b32 s42, exec_lo, s44
	s_or_b32 s28, s42, s28
	s_andn2_b32 s29, s29, exec_lo
	s_and_b32 s42, s40, exec_lo
	s_or_b32 s29, s29, s42
	s_andn2_b32 exec_lo, exec_lo, s28
	s_cbranch_execz .LBB6_90
.LBB6_86:                               ;   Parent Loop BB6_49 Depth=1
                                        ; =>  This Inner Loop Header: Depth=2
	s_add_i32 s41, s41, 1
	s_cmpk_lg_i32 s41, 0x2710
	s_cselect_b32 s42, -1, 0
	s_and_b32 vcc_lo, exec_lo, s42
	s_cbranch_vccz .LBB6_88
; %bb.87:                               ;   in Loop: Header=BB6_86 Depth=2
	s_mov_b32 s44, -1
	s_or_b32 s40, s40, exec_lo
	s_and_saveexec_b32 s43, s42
	s_cbranch_execz .LBB6_85
	s_branch .LBB6_89
	.p2align	6
.LBB6_88:                               ;   in Loop: Header=BB6_86 Depth=2
	s_trap 2
	ds_read_b64 v[2:3], v0
	s_andn2_b32 s42, s42, exec_lo
	s_mov_b32 s41, 0
	s_waitcnt lgkmcnt(0)
	flat_load_dword v2, v[2:3] glc dlc
	s_waitcnt vmcnt(0) lgkmcnt(0)
	buffer_gl1_inv
	buffer_gl0_inv
	v_cmp_eq_u32_e32 vcc_lo, 0, v2
	s_and_b32 s43, vcc_lo, exec_lo
	s_or_b32 s42, s42, s43
	s_mov_b32 s44, -1
	s_or_b32 s40, s40, exec_lo
	s_and_saveexec_b32 s43, s42
	s_cbranch_execz .LBB6_85
.LBB6_89:                               ;   in Loop: Header=BB6_86 Depth=2
	s_sleep 1
	s_trap 2
	ds_read_b64 v[2:3], v0
	s_waitcnt lgkmcnt(0)
	buffer_gl0_inv
	s_andn2_b32 s40, s40, exec_lo
	v_cmp_ge_u64_e32 vcc_lo, v[2:3], v[70:71]
	s_orn2_b32 s44, vcc_lo, exec_lo
	s_branch .LBB6_85
.LBB6_90:                               ;   in Loop: Header=BB6_49 Depth=1
	s_inst_prefetch 0x2
	s_or_b32 exec_lo, exec_lo, s28
	s_and_saveexec_b32 s28, s29
	s_xor_b32 s28, exec_lo, s28
	s_cbranch_execz .LBB6_92
; %bb.91:                               ;   in Loop: Header=BB6_49 Depth=1
	ds_write_b32 v0, v42
	s_trap 2
.LBB6_92:                               ;   in Loop: Header=BB6_49 Depth=1
	s_or_b32 exec_lo, exec_lo, s27
	;;#ASMSTART
	s_wakeup
	;;#ASMEND
.LBB6_93:                               ;   in Loop: Header=BB6_49 Depth=1
	s_or_b32 exec_lo, exec_lo, s26
.LBB6_94:                               ;   in Loop: Header=BB6_49 Depth=1
	s_andn2_saveexec_b32 s14, s14
	s_cbranch_execz .LBB6_96
; %bb.95:                               ;   in Loop: Header=BB6_49 Depth=1
	s_waitcnt vmcnt(0) lgkmcnt(0)
	s_waitcnt_vscnt null, 0x0
	buffer_gl1_inv
	buffer_gl0_inv
	s_barrier
.LBB6_96:                               ;   in Loop: Header=BB6_49 Depth=1
	s_or_b32 exec_lo, exec_lo, s14
.LBB6_97:                               ;   in Loop: Header=BB6_49 Depth=1
	s_or_b32 exec_lo, exec_lo, s13
	s_trap 2
	ds_read_b32 v2, v0
	v_and_b32_e32 v3, 0x4000, v117
	v_cmp_ne_u32_e32 vcc_lo, 0, v3
	s_and_b32 s14, s23, vcc_lo
	s_and_saveexec_b32 s13, s14
	s_cbranch_execz .LBB6_116
; %bb.98:                               ;   in Loop: Header=BB6_49 Depth=1
	s_and_saveexec_b32 s14, s20
	s_xor_b32 s14, exec_lo, s14
	s_cbranch_execz .LBB6_113
; %bb.99:                               ;   in Loop: Header=BB6_49 Depth=1
	s_and_saveexec_b32 s26, s10
	s_cbranch_execz .LBB6_112
; %bb.100:                              ;   in Loop: Header=BB6_49 Depth=1
	s_mov_b32 s28, exec_lo
	s_mov_b32 s27, exec_lo
	v_mbcnt_lo_u32_b32 v3, s28, 0
	s_waitcnt vmcnt(0) lgkmcnt(0)
	s_waitcnt_vscnt null, 0x0
	buffer_gl1_inv
	buffer_gl0_inv
	v_cmpx_eq_u32_e32 0, v3
	s_cbranch_execz .LBB6_102
; %bb.101:                              ;   in Loop: Header=BB6_49 Depth=1
	s_bcnt1_i32_b32 s28, s28
	v_mov_b32_e32 v11, v84
	v_mov_b32_e32 v10, s28
	ds_add_u64 v0, v[10:11]
	s_trap 2
.LBB6_102:                              ;   in Loop: Header=BB6_49 Depth=1
	s_or_b32 exec_lo, exec_lo, s27
	s_trap 2
	ds_read_b64 v[10:11], v0
	s_waitcnt lgkmcnt(0)
	buffer_gl0_inv
	v_add_co_u32 v70, vcc_lo, v70, v119
	v_add_co_ci_u32_e64 v71, null, 0, v71, vcc_lo
	s_mov_b32 s27, exec_lo
	v_cmpx_lt_u64_e64 v[10:11], v[70:71]
	s_cbranch_execz .LBB6_111
; %bb.103:                              ;   in Loop: Header=BB6_49 Depth=1
	s_mov_b32 s28, 0
	s_mov_b32 s41, 0
                                        ; implicit-def: $sgpr29
                                        ; implicit-def: $sgpr40
	s_inst_prefetch 0x1
	s_branch .LBB6_105
	.p2align	6
.LBB6_104:                              ;   in Loop: Header=BB6_105 Depth=2
	s_or_b32 exec_lo, exec_lo, s43
	s_and_b32 s42, exec_lo, s44
	s_or_b32 s28, s42, s28
	s_andn2_b32 s29, s29, exec_lo
	s_and_b32 s42, s40, exec_lo
	s_or_b32 s29, s29, s42
	s_andn2_b32 exec_lo, exec_lo, s28
	s_cbranch_execz .LBB6_109
.LBB6_105:                              ;   Parent Loop BB6_49 Depth=1
                                        ; =>  This Inner Loop Header: Depth=2
	s_add_i32 s41, s41, 1
	s_cmpk_lg_i32 s41, 0x2710
	s_cselect_b32 s42, -1, 0
	s_and_b32 vcc_lo, exec_lo, s42
	s_cbranch_vccz .LBB6_107
; %bb.106:                              ;   in Loop: Header=BB6_105 Depth=2
	s_mov_b32 s44, -1
	s_or_b32 s40, s40, exec_lo
	s_and_saveexec_b32 s43, s42
	s_cbranch_execz .LBB6_104
	s_branch .LBB6_108
	.p2align	6
.LBB6_107:                              ;   in Loop: Header=BB6_105 Depth=2
	s_trap 2
	ds_read_b64 v[10:11], v0
	s_andn2_b32 s42, s42, exec_lo
	s_mov_b32 s41, 0
	s_waitcnt lgkmcnt(0)
	flat_load_dword v3, v[10:11] glc dlc
	s_waitcnt vmcnt(0) lgkmcnt(0)
	buffer_gl1_inv
	buffer_gl0_inv
	v_cmp_eq_u32_e32 vcc_lo, 0, v3
	s_and_b32 s43, vcc_lo, exec_lo
	s_or_b32 s42, s42, s43
	s_mov_b32 s44, -1
	s_or_b32 s40, s40, exec_lo
	s_and_saveexec_b32 s43, s42
	s_cbranch_execz .LBB6_104
.LBB6_108:                              ;   in Loop: Header=BB6_105 Depth=2
	s_sleep 1
	s_trap 2
	ds_read_b64 v[10:11], v0
	s_waitcnt lgkmcnt(0)
	buffer_gl0_inv
	s_andn2_b32 s40, s40, exec_lo
	v_cmp_ge_u64_e32 vcc_lo, v[10:11], v[70:71]
	s_orn2_b32 s44, vcc_lo, exec_lo
	s_branch .LBB6_104
.LBB6_109:                              ;   in Loop: Header=BB6_49 Depth=1
	s_inst_prefetch 0x2
	s_or_b32 exec_lo, exec_lo, s28
	s_and_saveexec_b32 s28, s29
	s_xor_b32 s28, exec_lo, s28
	s_cbranch_execz .LBB6_111
; %bb.110:                              ;   in Loop: Header=BB6_49 Depth=1
	ds_write_b32 v0, v42
	s_trap 2
.LBB6_111:                              ;   in Loop: Header=BB6_49 Depth=1
	s_or_b32 exec_lo, exec_lo, s27
	;;#ASMSTART
	s_wakeup
	;;#ASMEND
.LBB6_112:                              ;   in Loop: Header=BB6_49 Depth=1
	s_or_b32 exec_lo, exec_lo, s26
.LBB6_113:                              ;   in Loop: Header=BB6_49 Depth=1
	s_andn2_saveexec_b32 s14, s14
	s_cbranch_execz .LBB6_115
; %bb.114:                              ;   in Loop: Header=BB6_49 Depth=1
	s_waitcnt vmcnt(0) lgkmcnt(0)
	s_waitcnt_vscnt null, 0x0
	buffer_gl1_inv
	buffer_gl0_inv
	s_barrier
.LBB6_115:                              ;   in Loop: Header=BB6_49 Depth=1
	s_or_b32 exec_lo, exec_lo, s14
.LBB6_116:                              ;   in Loop: Header=BB6_49 Depth=1
	s_or_b32 exec_lo, exec_lo, s13
	s_trap 2
	ds_read_b64 v[98:99], v0
	s_waitcnt lgkmcnt(0)
	v_cmp_eq_u64_e32 vcc_lo, 0, v[98:99]
	s_cbranch_vccnz .LBB6_124
; %bb.117:                              ;   in Loop: Header=BB6_49 Depth=1
	s_trap 2
	ds_read_b64 v[100:101], v0
	s_waitcnt lgkmcnt(0)
	v_cmp_eq_u64_e32 vcc_lo, 0, v[100:101]
	s_cbranch_vccnz .LBB6_124
; %bb.118:                              ;   in Loop: Header=BB6_49 Depth=1
	s_mov_b32 s13, -1
	s_and_saveexec_b32 s14, s11
	s_cbranch_execz .LBB6_120
; %bb.119:                              ;   in Loop: Header=BB6_49 Depth=1
	ds_read_b32 v3, v0 offset:720
	s_waitcnt lgkmcnt(0)
	v_and_b32_e32 v3, 15, v3
	v_cmp_eq_u32_e32 vcc_lo, 0, v3
	s_orn2_b32 s13, vcc_lo, exec_lo
.LBB6_120:                              ;   in Loop: Header=BB6_49 Depth=1
	s_or_b32 exec_lo, exec_lo, s14
	s_and_saveexec_b32 s14, s12
	s_cbranch_execz .LBB6_122
; %bb.121:                              ;   in Loop: Header=BB6_49 Depth=1
	ds_read_b32 v3, v0 offset:784
	s_waitcnt lgkmcnt(0)
	v_and_b32_e32 v3, 15, v3
	v_cmp_eq_u32_e32 vcc_lo, 0, v3
	s_and_b32 s26, s13, vcc_lo
	s_andn2_b32 s13, s13, exec_lo
	s_and_b32 s26, s26, exec_lo
	s_or_b32 s13, s13, s26
.LBB6_122:                              ;   in Loop: Header=BB6_49 Depth=1
	s_or_b32 exec_lo, exec_lo, s14
	v_cmp_eq_u32_e32 vcc_lo, 0, v2
	s_xor_b32 s13, s13, -1
	v_mov_b32_e32 v16, 0
	v_cndmask_b32_e64 v3, 0, 1, s13
	v_mov_b32_e32 v18, v0
	v_cndmask_b32_e32 v85, 0, v97, vcc_lo
	v_mov_b32_e32 v2, v41
	s_mov_b32 s13, -1
	v_cmp_ne_u32_e32 vcc_lo, 0, v3
	v_mov_b32_e32 v17, v85
	s_cbranch_vccz .LBB6_125
; %bb.123:                              ;   in Loop: Header=BB6_49 Depth=1
	s_and_saveexec_b32 s14, s13
	s_cbranch_execnz .LBB6_2058
	s_branch .LBB6_2858
.LBB6_124:                              ;   in Loop: Header=BB6_49 Depth=1
	s_mov_b32 s13, 0
	s_and_saveexec_b32 s14, s6
	s_cbranch_execnz .LBB6_2859
	s_branch .LBB6_2877
.LBB6_125:                              ;   in Loop: Header=BB6_49 Depth=1
	v_lshrrev_b32_e32 v2, 11, v85
	s_mov_b32 s14, exec_lo
	v_sub_nc_u32_e32 v72, v2, v41
	v_cmpx_lt_i32_e32 0, v72
	s_cbranch_execz .LBB6_1665
; %bb.126:                              ;   in Loop: Header=BB6_49 Depth=1
	s_trap 2
	s_clause 0x1
	buffer_load_dword v10, off, s[0:3], s33 offset:204
	buffer_load_dword v11, off, s[0:3], s33 offset:208
	ds_read_b64 v[2:3], v0
	s_mov_b32 s26, 0
	s_waitcnt vmcnt(1)
	v_add_co_u32 v102, vcc_lo, v98, v10
	s_waitcnt vmcnt(0)
	v_add_co_ci_u32_e64 v103, null, v99, v11, vcc_lo
	s_waitcnt lgkmcnt(0)
	v_add_co_u32 v112, vcc_lo, v2, v10
	v_add_co_ci_u32_e64 v113, null, v3, v11, vcc_lo
	v_add_co_u32 v114, vcc_lo, v100, v10
	v_add_co_ci_u32_e64 v115, null, v101, v11, vcc_lo
	s_branch .LBB6_130
.LBB6_127:                              ;   in Loop: Header=BB6_130 Depth=2
	s_or_b32 exec_lo, exec_lo, s13
	v_lshrrev_b32_e32 v13, 20, v43
	v_min_i32_e32 v17, 15, v116
	v_cmp_gt_i32_e32 vcc_lo, 16, v116
	v_and_b32_sdwa v3, v3, v59 dst_sel:DWORD dst_unused:UNUSED_PAD src0_sel:BYTE_3 src1_sel:DWORD
	v_lshlrev_b32_e32 v17, 3, v17
	v_cndmask_b32_e32 v13, 7, v13, vcc_lo
	v_and_b32_e32 v17, 0xf8, v17
	v_or_b32_e32 v116, v116, v13
	v_and_b32_e32 v13, 7, v13
	v_cmp_ne_u32_e32 vcc_lo, 0, v116
	v_or3_b32 v3, v3, v17, v13
	v_lshlrev_b32_e32 v3, 8, v3
	v_cndmask_b32_e32 v13, 0, v3, vcc_lo
.LBB6_128:                              ;   in Loop: Header=BB6_130 Depth=2
	s_or_b32 exec_lo, exec_lo, s28
.LBB6_129:                              ;   in Loop: Header=BB6_130 Depth=2
	s_or_b32 exec_lo, exec_lo, s27
	v_or_b32_sdwa v3, v37, v77 dst_sel:WORD_1 dst_unused:UNUSED_PAD src0_sel:DWORD src1_sel:DWORD
	v_or_b32_sdwa v17, v36, v75 dst_sel:WORD_1 dst_unused:UNUSED_PAD src0_sel:DWORD src1_sel:DWORD
	;; [unrolled: 1-line block ×4, first 2 shown]
	v_sub_nc_u32_e32 v72, v72, v119
	v_or3_b32 v37, v76, v48, v3
	v_or_b32_sdwa v3, v38, v79 dst_sel:WORD_1 dst_unused:UNUSED_PAD src0_sel:DWORD src1_sel:DWORD
	v_or3_b32 v36, v74, v73, v17
	v_or_b32_sdwa v17, v18, v107 dst_sel:WORD_1 dst_unused:UNUSED_PAD src0_sel:DWORD src1_sel:DWORD
	v_add_co_u32 v102, vcc_lo, v102, v45
	v_or3_b32 v38, v78, v49, v3
	v_or_b32_sdwa v3, v39, v89 dst_sel:WORD_1 dst_unused:UNUSED_PAD src0_sel:DWORD src1_sel:DWORD
	v_or3_b32 v17, v106, v35, v17
	v_or3_b32 v10, v122, v25, v10
	;; [unrolled: 1-line block ×3, first 2 shown]
	v_add_co_ci_u32_e64 v103, null, 0, v103, vcc_lo
	v_or3_b32 v39, v88, v50, v3
	v_or_b32_sdwa v3, v19, v109 dst_sel:WORD_1 dst_unused:UNUSED_PAD src0_sel:DWORD src1_sel:DWORD
	v_add_co_u32 v112, vcc_lo, v112, v45
	v_add_co_ci_u32_e64 v113, null, 0, v113, vcc_lo
	v_or3_b32 v18, v108, v22, v3
	v_or_b32_sdwa v3, v20, v111 dst_sel:WORD_1 dst_unused:UNUSED_PAD src0_sel:DWORD src1_sel:DWORD
	global_store_dwordx4 v[114:115], v[36:39], off glc slc
	v_cmp_gt_i32_e32 vcc_lo, 1, v72
	v_or3_b32 v19, v110, v23, v3
	v_or_b32_sdwa v3, v21, v121 dst_sel:WORD_1 dst_unused:UNUSED_PAD src0_sel:DWORD src1_sel:DWORD
	v_or_b32_sdwa v21, v26, v91 dst_sel:WORD_1 dst_unused:UNUSED_PAD src0_sel:DWORD src1_sel:DWORD
	s_or_b32 s26, vcc_lo, s26
	v_or3_b32 v20, v120, v24, v3
	v_or_b32_sdwa v3, v27, v93 dst_sel:WORD_1 dst_unused:UNUSED_PAD src0_sel:DWORD src1_sel:DWORD
	v_or3_b32 v21, v90, v51, v21
	v_or3_b32 v22, v92, v32, v3
	v_or_b32_sdwa v3, v28, v95 dst_sel:WORD_1 dst_unused:UNUSED_PAD src0_sel:DWORD src1_sel:DWORD
	v_or3_b32 v23, v94, v33, v3
	v_or_b32_sdwa v3, v29, v105 dst_sel:WORD_1 dst_unused:UNUSED_PAD src0_sel:DWORD src1_sel:DWORD
	v_or3_b32 v24, v104, v34, v3
	v_or_b32_sdwa v3, v11, v125 dst_sel:WORD_1 dst_unused:UNUSED_PAD src0_sel:DWORD src1_sel:DWORD
	v_or3_b32 v11, v124, v14, v3
	v_or_b32_sdwa v3, v12, v57 dst_sel:WORD_1 dst_unused:UNUSED_PAD src0_sel:DWORD src1_sel:DWORD
	v_or3_b32 v12, v126, v15, v3
	global_store_dwordx4 v[114:115], v[21:24], off offset:512 glc slc
	global_store_dwordx4 v[114:115], v[17:20], off offset:1024 glc slc
	;; [unrolled: 1-line block ×3, first 2 shown]
	v_add_co_u32 v114, s13, v114, v45
	v_add_co_ci_u32_e64 v115, null, 0, v115, s13
	s_andn2_b32 exec_lo, exec_lo, s26
	s_cbranch_execz .LBB6_1664
.LBB6_130:                              ;   Parent Loop BB6_49 Depth=1
                                        ; =>  This Inner Loop Header: Depth=2
	s_clause 0x3
	global_load_dwordx4 v[48:51], v[102:103], off slc
	global_load_dwordx4 v[32:35], v[102:103], off offset:512 slc
	global_load_dwordx4 v[22:25], v[102:103], off offset:1024 slc
	;; [unrolled: 1-line block ×3, first 2 shown]
	s_clause 0x3
	global_load_dwordx4 v[36:39], v[112:113], off slc
	global_load_dwordx4 v[26:29], v[112:113], off offset:512 slc
	global_load_dwordx4 v[18:21], v[112:113], off offset:1024 slc
	;; [unrolled: 1-line block ×3, first 2 shown]
	s_mov_b32 s13, 0
	s_waitcnt vmcnt(7)
	v_cmp_gt_i16_sdwa s27, v48, v58 src0_sel:BYTE_0 src1_sel:DWORD
	s_and_saveexec_b32 s28, s27
	s_xor_b32 s27, exec_lo, s28
	s_cbranch_execz .LBB6_1408
; %bb.131:                              ;   in Loop: Header=BB6_130 Depth=2
	v_cmp_eq_u16_sdwa s29, v48, v59 src0_sel:BYTE_0 src1_sel:DWORD
	s_mov_b32 s13, -1
	s_and_saveexec_b32 s28, s29
; %bb.132:                              ;   in Loop: Header=BB6_130 Depth=2
	s_xor_b32 s13, exec_lo, -1
; %bb.133:                              ;   in Loop: Header=BB6_130 Depth=2
	s_or_b32 exec_lo, exec_lo, s28
	s_and_b32 s13, s13, exec_lo
	s_or_saveexec_b32 s27, s27
	v_mov_b32_e32 v2, 0x7f800001
	s_xor_b32 exec_lo, exec_lo, s27
	s_cbranch_execnz .LBB6_1409
.LBB6_134:                              ;   in Loop: Header=BB6_130 Depth=2
	s_or_b32 exec_lo, exec_lo, s27
	s_and_saveexec_b32 s27, s13
	s_cbranch_execz .LBB6_136
.LBB6_135:                              ;   in Loop: Header=BB6_130 Depth=2
	v_and_b32_e32 v2, 7, v48
	v_bfe_u32 v116, v48, 3, 4
	v_lshlrev_b32_e32 v43, 24, v48
	v_ffbh_u32_e32 v3, v2
	v_cmp_eq_u32_e32 vcc_lo, 0, v116
	v_min_u32_e32 v3, 32, v3
	v_subrev_nc_u32_e32 v30, 28, v3
	v_sub_nc_u32_e32 v3, 29, v3
	v_lshlrev_b32_e32 v30, v30, v48
	v_cndmask_b32_e32 v3, v116, v3, vcc_lo
	v_and_b32_e32 v30, 7, v30
	v_lshl_add_u32 v3, v3, 23, 0x3b800000
	v_cndmask_b32_e32 v2, v2, v30, vcc_lo
	v_and_b32_e32 v30, 0x80000000, v43
	v_lshlrev_b32_e32 v2, 20, v2
	v_or3_b32 v2, v30, v3, v2
.LBB6_136:                              ;   in Loop: Header=BB6_130 Depth=2
	s_or_b32 exec_lo, exec_lo, s27
	s_waitcnt vmcnt(3)
	v_cmp_gt_i16_sdwa s27, v36, v58 src0_sel:BYTE_0 src1_sel:DWORD
	s_mov_b32 s13, 0
	s_and_saveexec_b32 s28, s27
	s_xor_b32 s27, exec_lo, s28
	s_cbranch_execz .LBB6_1410
; %bb.137:                              ;   in Loop: Header=BB6_130 Depth=2
	v_cmp_eq_u16_sdwa s29, v36, v59 src0_sel:BYTE_0 src1_sel:DWORD
	s_mov_b32 s13, -1
	s_and_saveexec_b32 s28, s29
; %bb.138:                              ;   in Loop: Header=BB6_130 Depth=2
	s_xor_b32 s13, exec_lo, -1
; %bb.139:                              ;   in Loop: Header=BB6_130 Depth=2
	s_or_b32 exec_lo, exec_lo, s28
	s_and_b32 s13, s13, exec_lo
	s_or_saveexec_b32 s27, s27
	v_mov_b32_e32 v3, 0x7f800001
	s_xor_b32 exec_lo, exec_lo, s27
	s_cbranch_execnz .LBB6_1411
.LBB6_140:                              ;   in Loop: Header=BB6_130 Depth=2
	s_or_b32 exec_lo, exec_lo, s27
	s_and_saveexec_b32 s27, s13
	s_cbranch_execz .LBB6_142
.LBB6_141:                              ;   in Loop: Header=BB6_130 Depth=2
	v_and_b32_e32 v3, 7, v36
	v_bfe_u32 v43, v36, 3, 4
	v_lshlrev_b32_e32 v46, 24, v36
	v_ffbh_u32_e32 v30, v3
	v_cmp_eq_u32_e32 vcc_lo, 0, v43
	v_min_u32_e32 v30, 32, v30
	v_subrev_nc_u32_e32 v116, 28, v30
	v_sub_nc_u32_e32 v30, 29, v30
	v_lshlrev_b32_e32 v116, v116, v36
	v_cndmask_b32_e32 v30, v43, v30, vcc_lo
	v_and_b32_e32 v116, 7, v116
	v_lshl_add_u32 v30, v30, 23, 0x3b800000
	v_cndmask_b32_e32 v3, v3, v116, vcc_lo
	v_and_b32_e32 v116, 0x80000000, v46
	v_lshlrev_b32_e32 v3, 20, v3
	v_or3_b32 v3, v116, v30, v3
.LBB6_142:                              ;   in Loop: Header=BB6_130 Depth=2
	s_or_b32 exec_lo, exec_lo, s27
	v_add_f32_e32 v2, v2, v3
	v_mov_b32_e32 v73, 0x80
	s_mov_b32 s27, exec_lo
	v_and_b32_e32 v3, 0x7f800000, v2
	v_cmpx_ne_u32_e32 0x7f800000, v3
	s_cbranch_execz .LBB6_150
; %bb.143:                              ;   in Loop: Header=BB6_130 Depth=2
	v_mov_b32_e32 v73, 0
	s_mov_b32 s28, exec_lo
	v_cmpx_ne_u32_e32 0, v2
	s_cbranch_execz .LBB6_149
; %bb.144:                              ;   in Loop: Header=BB6_130 Depth=2
	v_bfe_u32 v3, v2, 23, 8
	v_and_b32_e32 v30, 0x7fffff, v2
	v_sub_nc_u32_e32 v116, 0x78, v3
	v_cmp_gt_u32_e32 vcc_lo, 0x79, v3
	v_or_b32_e32 v43, 0x800000, v30
	v_cndmask_b32_e32 v116, 0, v116, vcc_lo
	v_cmp_eq_u32_e32 vcc_lo, 0, v3
	v_add_nc_u32_e32 v3, 0xffffff89, v3
	v_cndmask_b32_e64 v116, v116, 0x77, vcc_lo
	v_cndmask_b32_e32 v30, v43, v30, vcc_lo
	v_cndmask_b32_e64 v3, v3, 0xffffff8a, vcc_lo
	v_lshl_add_u32 v43, 0x100000, v116, -1
	v_lshrrev_b32_e32 v46, v116, v30
	v_lshlrev_b32_e64 v73, v116, 0x80000
	v_add_nc_u32_e32 v116, v116, v3
	v_and_b32_e32 v30, v43, v30
	v_bfe_u32 v57, v46, 20, 1
	v_cmp_eq_u32_e64 s13, v30, v73
	v_add_nc_u32_e32 v43, -1, v57
	v_cndmask_b32_e64 v30, 0, v43, s13
	v_lshrrev_b32_e32 v43, 23, v46
	s_mov_b32 s13, exec_lo
	v_add_nc_u32_e32 v30, v30, v46
	v_xor_b32_e32 v43, 1, v43
	v_and_b32_e32 v3, 0xfffff, v30
	v_add_nc_u32_e32 v30, v3, v46
                                        ; implicit-def: $vgpr3
	v_cmpx_ne_u32_e64 v116, v43
	s_xor_b32 s13, exec_lo, s13
; %bb.145:                              ;   in Loop: Header=BB6_130 Depth=2
	v_cmp_lt_u32_e32 vcc_lo, 0xffffff, v30
	v_sub_nc_u32_e32 v3, v116, v43
	v_cndmask_b32_e64 v116, 0, 1, vcc_lo
	v_add_co_ci_u32_e64 v3, null, 0, v3, vcc_lo
	v_lshrrev_b32_e32 v30, v116, v30
; %bb.146:                              ;   in Loop: Header=BB6_130 Depth=2
	s_andn2_saveexec_b32 s13, s13
; %bb.147:                              ;   in Loop: Header=BB6_130 Depth=2
	v_bfe_u32 v3, v30, 23, 1
; %bb.148:                              ;   in Loop: Header=BB6_130 Depth=2
	s_or_b32 exec_lo, exec_lo, s13
	v_lshrrev_b32_e32 v30, 20, v30
	v_min_i32_e32 v116, 15, v3
	v_cmp_gt_i32_e32 vcc_lo, 16, v3
	v_and_b32_sdwa v2, v2, v59 dst_sel:DWORD dst_unused:UNUSED_PAD src0_sel:BYTE_3 src1_sel:DWORD
	v_lshlrev_b32_e32 v116, 3, v116
	v_cndmask_b32_e32 v30, 7, v30, vcc_lo
	v_and_b32_e32 v116, 0xf8, v116
	v_and_b32_e32 v43, 7, v30
	v_or_b32_e32 v3, v3, v30
	v_or3_b32 v2, v116, v2, v43
	v_cmp_ne_u32_e32 vcc_lo, 0, v3
	v_cndmask_b32_e32 v73, 0, v2, vcc_lo
.LBB6_149:                              ;   in Loop: Header=BB6_130 Depth=2
	s_or_b32 exec_lo, exec_lo, s28
.LBB6_150:                              ;   in Loop: Header=BB6_130 Depth=2
	s_or_b32 exec_lo, exec_lo, s27
	v_cmp_gt_i16_sdwa s27, v48, v58 src0_sel:BYTE_1 src1_sel:DWORD
	s_mov_b32 s13, 0
	s_and_saveexec_b32 s28, s27
	s_xor_b32 s27, exec_lo, s28
	s_cbranch_execz .LBB6_1412
; %bb.151:                              ;   in Loop: Header=BB6_130 Depth=2
	v_cmp_eq_u16_sdwa s29, v48, v59 src0_sel:BYTE_1 src1_sel:DWORD
	s_mov_b32 s13, -1
	s_and_saveexec_b32 s28, s29
; %bb.152:                              ;   in Loop: Header=BB6_130 Depth=2
	s_xor_b32 s13, exec_lo, -1
; %bb.153:                              ;   in Loop: Header=BB6_130 Depth=2
	s_or_b32 exec_lo, exec_lo, s28
	s_and_b32 s13, s13, exec_lo
	s_or_saveexec_b32 s27, s27
	v_mov_b32_e32 v2, 0x7f800001
	s_xor_b32 exec_lo, exec_lo, s27
	s_cbranch_execnz .LBB6_1413
.LBB6_154:                              ;   in Loop: Header=BB6_130 Depth=2
	s_or_b32 exec_lo, exec_lo, s27
	s_and_saveexec_b32 s27, s13
	s_cbranch_execz .LBB6_156
.LBB6_155:                              ;   in Loop: Header=BB6_130 Depth=2
	v_and_b32_sdwa v2, v60, v48 dst_sel:DWORD dst_unused:UNUSED_PAD src0_sel:DWORD src1_sel:BYTE_1
	v_and_b32_e32 v3, 7, v2
	v_bfe_u32 v43, v2, 3, 4
	v_ffbh_u32_e32 v30, v3
	v_cmp_eq_u32_e32 vcc_lo, 0, v43
	v_min_u32_e32 v30, 32, v30
	v_subrev_nc_u32_e32 v116, 28, v30
	v_sub_nc_u32_e32 v30, 29, v30
	v_lshlrev_b32_e32 v2, v116, v2
	v_lshlrev_b32_sdwa v116, v61, v48 dst_sel:DWORD dst_unused:UNUSED_PAD src0_sel:DWORD src1_sel:BYTE_1
	v_cndmask_b32_e32 v30, v43, v30, vcc_lo
	v_and_b32_e32 v2, 7, v2
	v_lshl_add_u32 v30, v30, 23, 0x3b800000
	v_cndmask_b32_e32 v2, v3, v2, vcc_lo
	v_and_b32_e32 v3, 0x80000000, v116
	v_lshlrev_b32_e32 v2, 20, v2
	v_or3_b32 v2, v3, v30, v2
.LBB6_156:                              ;   in Loop: Header=BB6_130 Depth=2
	s_or_b32 exec_lo, exec_lo, s27
	v_cmp_gt_i16_sdwa s27, v36, v58 src0_sel:BYTE_1 src1_sel:DWORD
	s_mov_b32 s13, 0
	s_and_saveexec_b32 s28, s27
	s_xor_b32 s27, exec_lo, s28
	s_cbranch_execz .LBB6_1414
; %bb.157:                              ;   in Loop: Header=BB6_130 Depth=2
	v_cmp_eq_u16_sdwa s29, v36, v59 src0_sel:BYTE_1 src1_sel:DWORD
	s_mov_b32 s13, -1
	s_and_saveexec_b32 s28, s29
; %bb.158:                              ;   in Loop: Header=BB6_130 Depth=2
	s_xor_b32 s13, exec_lo, -1
; %bb.159:                              ;   in Loop: Header=BB6_130 Depth=2
	s_or_b32 exec_lo, exec_lo, s28
	s_and_b32 s13, s13, exec_lo
	s_or_saveexec_b32 s27, s27
	v_mov_b32_e32 v3, 0x7f800001
	s_xor_b32 exec_lo, exec_lo, s27
	s_cbranch_execnz .LBB6_1415
.LBB6_160:                              ;   in Loop: Header=BB6_130 Depth=2
	s_or_b32 exec_lo, exec_lo, s27
	s_and_saveexec_b32 s27, s13
	s_cbranch_execz .LBB6_162
.LBB6_161:                              ;   in Loop: Header=BB6_130 Depth=2
	v_and_b32_sdwa v3, v60, v36 dst_sel:DWORD dst_unused:UNUSED_PAD src0_sel:DWORD src1_sel:BYTE_1
	v_and_b32_e32 v30, 7, v3
	v_bfe_u32 v46, v3, 3, 4
	v_ffbh_u32_e32 v116, v30
	v_cmp_eq_u32_e32 vcc_lo, 0, v46
	v_min_u32_e32 v116, 32, v116
	v_subrev_nc_u32_e32 v43, 28, v116
	v_sub_nc_u32_e32 v116, 29, v116
	v_lshlrev_b32_e32 v3, v43, v3
	v_lshlrev_b32_sdwa v43, v61, v36 dst_sel:DWORD dst_unused:UNUSED_PAD src0_sel:DWORD src1_sel:BYTE_1
	v_cndmask_b32_e32 v116, v46, v116, vcc_lo
	v_and_b32_e32 v3, 7, v3
	v_lshl_add_u32 v116, v116, 23, 0x3b800000
	v_cndmask_b32_e32 v3, v30, v3, vcc_lo
	v_and_b32_e32 v30, 0x80000000, v43
	v_lshlrev_b32_e32 v3, 20, v3
	v_or3_b32 v3, v30, v116, v3
.LBB6_162:                              ;   in Loop: Header=BB6_130 Depth=2
	s_or_b32 exec_lo, exec_lo, s27
	v_add_f32_e32 v2, v2, v3
	v_mov_b32_e32 v74, 0x8000
	s_mov_b32 s27, exec_lo
	v_and_b32_e32 v3, 0x7f800000, v2
	v_cmpx_ne_u32_e32 0x7f800000, v3
	s_cbranch_execz .LBB6_170
; %bb.163:                              ;   in Loop: Header=BB6_130 Depth=2
	v_mov_b32_e32 v74, 0
	s_mov_b32 s28, exec_lo
	v_cmpx_ne_u32_e32 0, v2
	s_cbranch_execz .LBB6_169
; %bb.164:                              ;   in Loop: Header=BB6_130 Depth=2
	v_bfe_u32 v3, v2, 23, 8
	v_and_b32_e32 v30, 0x7fffff, v2
	v_sub_nc_u32_e32 v116, 0x78, v3
	v_cmp_gt_u32_e32 vcc_lo, 0x79, v3
	v_or_b32_e32 v43, 0x800000, v30
	v_cndmask_b32_e32 v116, 0, v116, vcc_lo
	v_cmp_eq_u32_e32 vcc_lo, 0, v3
	v_add_nc_u32_e32 v3, 0xffffff89, v3
	v_cndmask_b32_e64 v116, v116, 0x77, vcc_lo
	v_cndmask_b32_e32 v30, v43, v30, vcc_lo
	v_cndmask_b32_e64 v3, v3, 0xffffff8a, vcc_lo
	v_lshl_add_u32 v43, 0x100000, v116, -1
	v_lshrrev_b32_e32 v46, v116, v30
	v_lshlrev_b32_e64 v74, v116, 0x80000
	v_add_nc_u32_e32 v116, v116, v3
	v_and_b32_e32 v30, v43, v30
	v_bfe_u32 v57, v46, 20, 1
	v_cmp_eq_u32_e64 s13, v30, v74
	v_add_nc_u32_e32 v43, -1, v57
	v_cndmask_b32_e64 v30, 0, v43, s13
	v_lshrrev_b32_e32 v43, 23, v46
	s_mov_b32 s13, exec_lo
	v_add_nc_u32_e32 v30, v30, v46
	v_xor_b32_e32 v43, 1, v43
	v_and_b32_e32 v3, 0xfffff, v30
	v_add_nc_u32_e32 v30, v3, v46
                                        ; implicit-def: $vgpr3
	v_cmpx_ne_u32_e64 v116, v43
	s_xor_b32 s13, exec_lo, s13
; %bb.165:                              ;   in Loop: Header=BB6_130 Depth=2
	v_cmp_lt_u32_e32 vcc_lo, 0xffffff, v30
	v_sub_nc_u32_e32 v3, v116, v43
	v_cndmask_b32_e64 v116, 0, 1, vcc_lo
	v_add_co_ci_u32_e64 v3, null, 0, v3, vcc_lo
	v_lshrrev_b32_e32 v30, v116, v30
; %bb.166:                              ;   in Loop: Header=BB6_130 Depth=2
	s_andn2_saveexec_b32 s13, s13
; %bb.167:                              ;   in Loop: Header=BB6_130 Depth=2
	v_bfe_u32 v3, v30, 23, 1
; %bb.168:                              ;   in Loop: Header=BB6_130 Depth=2
	s_or_b32 exec_lo, exec_lo, s13
	v_lshrrev_b32_e32 v30, 20, v30
	v_min_i32_e32 v116, 15, v3
	v_cmp_gt_i32_e32 vcc_lo, 16, v3
	v_and_b32_sdwa v2, v2, v59 dst_sel:DWORD dst_unused:UNUSED_PAD src0_sel:BYTE_3 src1_sel:DWORD
	v_lshlrev_b32_e32 v116, 3, v116
	v_cndmask_b32_e32 v30, 7, v30, vcc_lo
	v_and_b32_e32 v116, 0xf8, v116
	v_and_b32_e32 v43, 7, v30
	v_or_b32_e32 v3, v3, v30
	v_or3_b32 v2, v2, v116, v43
	v_cmp_ne_u32_e32 vcc_lo, 0, v3
	v_lshlrev_b32_e32 v2, 8, v2
	v_cndmask_b32_e32 v74, 0, v2, vcc_lo
.LBB6_169:                              ;   in Loop: Header=BB6_130 Depth=2
	s_or_b32 exec_lo, exec_lo, s28
.LBB6_170:                              ;   in Loop: Header=BB6_130 Depth=2
	s_or_b32 exec_lo, exec_lo, s27
	v_and_b32_sdwa v3, v48, v62 dst_sel:DWORD dst_unused:UNUSED_PAD src0_sel:WORD_1 src1_sel:DWORD
	s_mov_b32 s13, 0
	s_mov_b32 s27, exec_lo
	v_cmpx_lt_i16_e32 0x7f, v3
	s_xor_b32 s27, exec_lo, s27
	s_cbranch_execz .LBB6_1416
; %bb.171:                              ;   in Loop: Header=BB6_130 Depth=2
	s_mov_b32 s13, -1
	s_mov_b32 s28, exec_lo
	v_cmpx_eq_u16_e32 0x80, v3
; %bb.172:                              ;   in Loop: Header=BB6_130 Depth=2
	s_xor_b32 s13, exec_lo, -1
; %bb.173:                              ;   in Loop: Header=BB6_130 Depth=2
	s_or_b32 exec_lo, exec_lo, s28
	s_and_b32 s13, s13, exec_lo
                                        ; implicit-def: $vgpr3
	s_or_saveexec_b32 s27, s27
	v_mov_b32_e32 v2, 0x7f800001
	s_xor_b32 exec_lo, exec_lo, s27
	s_cbranch_execnz .LBB6_1417
.LBB6_174:                              ;   in Loop: Header=BB6_130 Depth=2
	s_or_b32 exec_lo, exec_lo, s27
	s_and_saveexec_b32 s27, s13
	s_cbranch_execz .LBB6_176
.LBB6_175:                              ;   in Loop: Header=BB6_130 Depth=2
	v_bfe_u32 v2, v48, 16, 3
	v_bfe_u32 v116, v48, 19, 4
	v_lshlrev_b32_e32 v43, 8, v48
	v_ffbh_u32_e32 v3, v2
	v_cmp_eq_u32_e32 vcc_lo, 0, v116
	v_min_u32_e32 v3, 32, v3
	v_subrev_nc_u32_e32 v30, 28, v3
	v_sub_nc_u32_e32 v3, 29, v3
	v_lshlrev_b32_sdwa v30, v30, v48 dst_sel:DWORD dst_unused:UNUSED_PAD src0_sel:DWORD src1_sel:WORD_1
	v_cndmask_b32_e32 v3, v116, v3, vcc_lo
	v_and_b32_e32 v30, 7, v30
	v_lshl_add_u32 v3, v3, 23, 0x3b800000
	v_cndmask_b32_e32 v2, v2, v30, vcc_lo
	v_and_b32_e32 v30, 0x80000000, v43
	v_lshlrev_b32_e32 v2, 20, v2
	v_or3_b32 v2, v30, v3, v2
.LBB6_176:                              ;   in Loop: Header=BB6_130 Depth=2
	s_or_b32 exec_lo, exec_lo, s27
	v_and_b32_sdwa v30, v36, v62 dst_sel:DWORD dst_unused:UNUSED_PAD src0_sel:WORD_1 src1_sel:DWORD
	s_mov_b32 s13, 0
	s_mov_b32 s27, exec_lo
	v_cmpx_lt_i16_e32 0x7f, v30
	s_xor_b32 s27, exec_lo, s27
	s_cbranch_execz .LBB6_1418
; %bb.177:                              ;   in Loop: Header=BB6_130 Depth=2
	s_mov_b32 s13, -1
	s_mov_b32 s28, exec_lo
	v_cmpx_eq_u16_e32 0x80, v30
; %bb.178:                              ;   in Loop: Header=BB6_130 Depth=2
	s_xor_b32 s13, exec_lo, -1
; %bb.179:                              ;   in Loop: Header=BB6_130 Depth=2
	s_or_b32 exec_lo, exec_lo, s28
	s_and_b32 s13, s13, exec_lo
                                        ; implicit-def: $vgpr30
	s_or_saveexec_b32 s27, s27
	v_mov_b32_e32 v3, 0x7f800001
	s_xor_b32 exec_lo, exec_lo, s27
	s_cbranch_execnz .LBB6_1419
.LBB6_180:                              ;   in Loop: Header=BB6_130 Depth=2
	s_or_b32 exec_lo, exec_lo, s27
	s_and_saveexec_b32 s27, s13
	s_cbranch_execz .LBB6_182
.LBB6_181:                              ;   in Loop: Header=BB6_130 Depth=2
	v_bfe_u32 v3, v36, 16, 3
	v_bfe_u32 v43, v36, 19, 4
	v_lshlrev_b32_e32 v46, 8, v36
	v_ffbh_u32_e32 v30, v3
	v_cmp_eq_u32_e32 vcc_lo, 0, v43
	v_min_u32_e32 v30, 32, v30
	v_subrev_nc_u32_e32 v116, 28, v30
	v_sub_nc_u32_e32 v30, 29, v30
	v_lshlrev_b32_sdwa v116, v116, v36 dst_sel:DWORD dst_unused:UNUSED_PAD src0_sel:DWORD src1_sel:WORD_1
	v_cndmask_b32_e32 v30, v43, v30, vcc_lo
	v_and_b32_e32 v116, 7, v116
	v_lshl_add_u32 v30, v30, 23, 0x3b800000
	v_cndmask_b32_e32 v3, v3, v116, vcc_lo
	v_and_b32_e32 v116, 0x80000000, v46
	v_lshlrev_b32_e32 v3, 20, v3
	v_or3_b32 v3, v116, v30, v3
.LBB6_182:                              ;   in Loop: Header=BB6_130 Depth=2
	s_or_b32 exec_lo, exec_lo, s27
	v_add_f32_e32 v2, v2, v3
	v_mov_b32_e32 v75, 0x80
	s_mov_b32 s27, exec_lo
	v_and_b32_e32 v3, 0x7f800000, v2
	v_cmpx_ne_u32_e32 0x7f800000, v3
	s_cbranch_execz .LBB6_190
; %bb.183:                              ;   in Loop: Header=BB6_130 Depth=2
	v_mov_b32_e32 v75, 0
	s_mov_b32 s28, exec_lo
	v_cmpx_ne_u32_e32 0, v2
	s_cbranch_execz .LBB6_189
; %bb.184:                              ;   in Loop: Header=BB6_130 Depth=2
	v_bfe_u32 v3, v2, 23, 8
	v_and_b32_e32 v30, 0x7fffff, v2
	v_sub_nc_u32_e32 v116, 0x78, v3
	v_cmp_gt_u32_e32 vcc_lo, 0x79, v3
	v_or_b32_e32 v43, 0x800000, v30
	v_cndmask_b32_e32 v116, 0, v116, vcc_lo
	v_cmp_eq_u32_e32 vcc_lo, 0, v3
	v_add_nc_u32_e32 v3, 0xffffff89, v3
	v_cndmask_b32_e64 v116, v116, 0x77, vcc_lo
	v_cndmask_b32_e32 v30, v43, v30, vcc_lo
	v_cndmask_b32_e64 v3, v3, 0xffffff8a, vcc_lo
	v_lshl_add_u32 v43, 0x100000, v116, -1
	v_lshrrev_b32_e32 v46, v116, v30
	v_lshlrev_b32_e64 v75, v116, 0x80000
	v_add_nc_u32_e32 v116, v116, v3
	v_and_b32_e32 v30, v43, v30
	v_bfe_u32 v57, v46, 20, 1
	v_cmp_eq_u32_e64 s13, v30, v75
	v_add_nc_u32_e32 v43, -1, v57
	v_cndmask_b32_e64 v30, 0, v43, s13
	v_lshrrev_b32_e32 v43, 23, v46
	s_mov_b32 s13, exec_lo
	v_add_nc_u32_e32 v30, v30, v46
	v_xor_b32_e32 v43, 1, v43
	v_and_b32_e32 v3, 0xfffff, v30
	v_add_nc_u32_e32 v30, v3, v46
                                        ; implicit-def: $vgpr3
	v_cmpx_ne_u32_e64 v116, v43
	s_xor_b32 s13, exec_lo, s13
; %bb.185:                              ;   in Loop: Header=BB6_130 Depth=2
	v_cmp_lt_u32_e32 vcc_lo, 0xffffff, v30
	v_sub_nc_u32_e32 v3, v116, v43
	v_cndmask_b32_e64 v116, 0, 1, vcc_lo
	v_add_co_ci_u32_e64 v3, null, 0, v3, vcc_lo
	v_lshrrev_b32_e32 v30, v116, v30
; %bb.186:                              ;   in Loop: Header=BB6_130 Depth=2
	s_andn2_saveexec_b32 s13, s13
; %bb.187:                              ;   in Loop: Header=BB6_130 Depth=2
	v_bfe_u32 v3, v30, 23, 1
; %bb.188:                              ;   in Loop: Header=BB6_130 Depth=2
	s_or_b32 exec_lo, exec_lo, s13
	v_lshrrev_b32_e32 v30, 20, v30
	v_min_i32_e32 v116, 15, v3
	v_cmp_gt_i32_e32 vcc_lo, 16, v3
	v_and_b32_sdwa v2, v2, v59 dst_sel:DWORD dst_unused:UNUSED_PAD src0_sel:BYTE_3 src1_sel:DWORD
	v_lshlrev_b32_e32 v116, 3, v116
	v_cndmask_b32_e32 v30, 7, v30, vcc_lo
	v_and_b32_e32 v116, 0xf8, v116
	v_and_b32_e32 v43, 7, v30
	v_or_b32_e32 v3, v3, v30
	v_or3_b32 v2, v116, v2, v43
	v_cmp_ne_u32_e32 vcc_lo, 0, v3
	v_cndmask_b32_e32 v75, 0, v2, vcc_lo
.LBB6_189:                              ;   in Loop: Header=BB6_130 Depth=2
	s_or_b32 exec_lo, exec_lo, s28
.LBB6_190:                              ;   in Loop: Header=BB6_130 Depth=2
	s_or_b32 exec_lo, exec_lo, s27
	v_cmp_gt_i16_sdwa s27, v48, v58 src0_sel:BYTE_3 src1_sel:DWORD
	s_mov_b32 s13, 0
	s_and_saveexec_b32 s28, s27
	s_xor_b32 s27, exec_lo, s28
	s_cbranch_execz .LBB6_1420
; %bb.191:                              ;   in Loop: Header=BB6_130 Depth=2
	v_cmp_eq_u16_sdwa s29, v48, v59 src0_sel:BYTE_3 src1_sel:DWORD
	s_mov_b32 s13, -1
	s_and_saveexec_b32 s28, s29
; %bb.192:                              ;   in Loop: Header=BB6_130 Depth=2
	s_xor_b32 s13, exec_lo, -1
; %bb.193:                              ;   in Loop: Header=BB6_130 Depth=2
	s_or_b32 exec_lo, exec_lo, s28
	s_and_b32 s13, s13, exec_lo
	s_or_saveexec_b32 s27, s27
	v_mov_b32_e32 v2, 0x7f800001
	s_xor_b32 exec_lo, exec_lo, s27
	s_cbranch_execnz .LBB6_1421
.LBB6_194:                              ;   in Loop: Header=BB6_130 Depth=2
	s_or_b32 exec_lo, exec_lo, s27
	s_and_saveexec_b32 s27, s13
	s_cbranch_execz .LBB6_196
.LBB6_195:                              ;   in Loop: Header=BB6_130 Depth=2
	v_bfe_u32 v2, v48, 24, 3
	v_bfe_u32 v116, v48, 27, 4
	v_ffbh_u32_e32 v3, v2
	v_cmp_eq_u32_e32 vcc_lo, 0, v116
	v_min_u32_e32 v3, 32, v3
	v_subrev_nc_u32_e32 v30, 28, v3
	v_sub_nc_u32_e32 v3, 29, v3
	v_lshlrev_b32_sdwa v30, v30, v48 dst_sel:DWORD dst_unused:UNUSED_PAD src0_sel:DWORD src1_sel:BYTE_3
	v_cndmask_b32_e32 v3, v116, v3, vcc_lo
	v_and_b32_e32 v30, 7, v30
	v_lshl_add_u32 v3, v3, 23, 0x3b800000
	v_cndmask_b32_e32 v2, v2, v30, vcc_lo
	v_and_b32_e32 v30, 0x80000000, v48
	v_lshlrev_b32_e32 v2, 20, v2
	v_or3_b32 v2, v30, v3, v2
.LBB6_196:                              ;   in Loop: Header=BB6_130 Depth=2
	s_or_b32 exec_lo, exec_lo, s27
	v_cmp_gt_i16_sdwa s27, v36, v58 src0_sel:BYTE_3 src1_sel:DWORD
	s_mov_b32 s13, 0
	s_and_saveexec_b32 s28, s27
	s_xor_b32 s27, exec_lo, s28
	s_cbranch_execz .LBB6_1422
; %bb.197:                              ;   in Loop: Header=BB6_130 Depth=2
	v_cmp_eq_u16_sdwa s29, v36, v59 src0_sel:BYTE_3 src1_sel:DWORD
	s_mov_b32 s13, -1
	s_and_saveexec_b32 s28, s29
; %bb.198:                              ;   in Loop: Header=BB6_130 Depth=2
	s_xor_b32 s13, exec_lo, -1
; %bb.199:                              ;   in Loop: Header=BB6_130 Depth=2
	s_or_b32 exec_lo, exec_lo, s28
	s_and_b32 s13, s13, exec_lo
	s_or_saveexec_b32 s27, s27
	v_mov_b32_e32 v3, 0x7f800001
	s_xor_b32 exec_lo, exec_lo, s27
	s_cbranch_execnz .LBB6_1423
.LBB6_200:                              ;   in Loop: Header=BB6_130 Depth=2
	s_or_b32 exec_lo, exec_lo, s27
	s_and_saveexec_b32 s27, s13
	s_cbranch_execz .LBB6_202
.LBB6_201:                              ;   in Loop: Header=BB6_130 Depth=2
	v_bfe_u32 v3, v36, 24, 3
	v_bfe_u32 v116, v36, 27, 4
	v_ffbh_u32_e32 v30, v3
	v_cmp_eq_u32_e32 vcc_lo, 0, v116
	v_min_u32_e32 v30, 32, v30
	v_subrev_nc_u32_e32 v48, 28, v30
	v_sub_nc_u32_e32 v30, 29, v30
	v_lshlrev_b32_sdwa v48, v48, v36 dst_sel:DWORD dst_unused:UNUSED_PAD src0_sel:DWORD src1_sel:BYTE_3
	v_cndmask_b32_e32 v30, v116, v30, vcc_lo
	v_and_b32_e32 v36, 0x80000000, v36
	v_and_b32_e32 v48, 7, v48
	v_lshl_add_u32 v30, v30, 23, 0x3b800000
	v_cndmask_b32_e32 v3, v3, v48, vcc_lo
	v_lshlrev_b32_e32 v3, 20, v3
	v_or3_b32 v3, v36, v30, v3
.LBB6_202:                              ;   in Loop: Header=BB6_130 Depth=2
	s_or_b32 exec_lo, exec_lo, s27
	v_add_f32_e32 v2, v2, v3
	v_mov_b32_e32 v36, 0x8000
	s_mov_b32 s27, exec_lo
	v_and_b32_e32 v3, 0x7f800000, v2
	v_cmpx_ne_u32_e32 0x7f800000, v3
	s_cbranch_execz .LBB6_210
; %bb.203:                              ;   in Loop: Header=BB6_130 Depth=2
	v_mov_b32_e32 v36, 0
	s_mov_b32 s28, exec_lo
	v_cmpx_ne_u32_e32 0, v2
	s_cbranch_execz .LBB6_209
; %bb.204:                              ;   in Loop: Header=BB6_130 Depth=2
	v_bfe_u32 v3, v2, 23, 8
	v_and_b32_e32 v30, 0x7fffff, v2
	v_sub_nc_u32_e32 v36, 0x78, v3
	v_cmp_gt_u32_e32 vcc_lo, 0x79, v3
	v_or_b32_e32 v48, 0x800000, v30
	v_cndmask_b32_e32 v36, 0, v36, vcc_lo
	v_cmp_eq_u32_e32 vcc_lo, 0, v3
	v_add_nc_u32_e32 v3, 0xffffff89, v3
	v_cndmask_b32_e64 v36, v36, 0x77, vcc_lo
	v_cndmask_b32_e32 v30, v48, v30, vcc_lo
	v_cndmask_b32_e64 v3, v3, 0xffffff8a, vcc_lo
	v_lshl_add_u32 v48, 0x100000, v36, -1
	v_lshrrev_b32_e32 v116, v36, v30
	v_lshlrev_b32_e64 v46, v36, 0x80000
	v_add_nc_u32_e32 v36, v36, v3
	v_and_b32_e32 v30, v48, v30
	v_bfe_u32 v43, v116, 20, 1
	v_cmp_eq_u32_e64 s13, v30, v46
	v_add_nc_u32_e32 v48, -1, v43
	v_cndmask_b32_e64 v30, 0, v48, s13
	v_lshrrev_b32_e32 v48, 23, v116
	s_mov_b32 s13, exec_lo
	v_add_nc_u32_e32 v30, v30, v116
	v_xor_b32_e32 v48, 1, v48
	v_and_b32_e32 v3, 0xfffff, v30
	v_add_nc_u32_e32 v30, v3, v116
                                        ; implicit-def: $vgpr3
	v_cmpx_ne_u32_e64 v36, v48
	s_xor_b32 s13, exec_lo, s13
; %bb.205:                              ;   in Loop: Header=BB6_130 Depth=2
	v_cmp_lt_u32_e32 vcc_lo, 0xffffff, v30
	v_sub_nc_u32_e32 v3, v36, v48
	v_cndmask_b32_e64 v36, 0, 1, vcc_lo
	v_add_co_ci_u32_e64 v3, null, 0, v3, vcc_lo
	v_lshrrev_b32_e32 v30, v36, v30
; %bb.206:                              ;   in Loop: Header=BB6_130 Depth=2
	s_andn2_saveexec_b32 s13, s13
; %bb.207:                              ;   in Loop: Header=BB6_130 Depth=2
	v_bfe_u32 v3, v30, 23, 1
; %bb.208:                              ;   in Loop: Header=BB6_130 Depth=2
	s_or_b32 exec_lo, exec_lo, s13
	v_lshrrev_b32_e32 v30, 20, v30
	v_min_i32_e32 v36, 15, v3
	v_cmp_gt_i32_e32 vcc_lo, 16, v3
	v_and_b32_sdwa v2, v2, v59 dst_sel:DWORD dst_unused:UNUSED_PAD src0_sel:BYTE_3 src1_sel:DWORD
	v_lshlrev_b32_e32 v36, 3, v36
	v_cndmask_b32_e32 v30, 7, v30, vcc_lo
	v_and_b32_e32 v36, 0xf8, v36
	v_and_b32_e32 v48, 7, v30
	v_or_b32_e32 v3, v3, v30
	v_or3_b32 v2, v2, v36, v48
	v_cmp_ne_u32_e32 vcc_lo, 0, v3
	v_lshlrev_b32_e32 v2, 8, v2
	v_cndmask_b32_e32 v36, 0, v2, vcc_lo
.LBB6_209:                              ;   in Loop: Header=BB6_130 Depth=2
	s_or_b32 exec_lo, exec_lo, s28
.LBB6_210:                              ;   in Loop: Header=BB6_130 Depth=2
	s_or_b32 exec_lo, exec_lo, s27
	v_cmp_gt_i16_sdwa s27, v49, v58 src0_sel:BYTE_0 src1_sel:DWORD
	s_mov_b32 s13, 0
	s_and_saveexec_b32 s28, s27
	s_xor_b32 s27, exec_lo, s28
	s_cbranch_execz .LBB6_1424
; %bb.211:                              ;   in Loop: Header=BB6_130 Depth=2
	v_cmp_eq_u16_sdwa s29, v49, v59 src0_sel:BYTE_0 src1_sel:DWORD
	s_mov_b32 s13, -1
	s_and_saveexec_b32 s28, s29
; %bb.212:                              ;   in Loop: Header=BB6_130 Depth=2
	s_xor_b32 s13, exec_lo, -1
; %bb.213:                              ;   in Loop: Header=BB6_130 Depth=2
	s_or_b32 exec_lo, exec_lo, s28
	s_and_b32 s13, s13, exec_lo
	s_or_saveexec_b32 s27, s27
	v_mov_b32_e32 v2, 0x7f800001
	s_xor_b32 exec_lo, exec_lo, s27
	s_cbranch_execnz .LBB6_1425
.LBB6_214:                              ;   in Loop: Header=BB6_130 Depth=2
	s_or_b32 exec_lo, exec_lo, s27
	s_and_saveexec_b32 s27, s13
	s_cbranch_execz .LBB6_216
.LBB6_215:                              ;   in Loop: Header=BB6_130 Depth=2
	v_and_b32_e32 v2, 7, v49
	v_bfe_u32 v48, v49, 3, 4
	v_lshlrev_b32_e32 v116, 24, v49
	v_ffbh_u32_e32 v3, v2
	v_cmp_eq_u32_e32 vcc_lo, 0, v48
	v_min_u32_e32 v3, 32, v3
	v_subrev_nc_u32_e32 v30, 28, v3
	v_sub_nc_u32_e32 v3, 29, v3
	v_lshlrev_b32_e32 v30, v30, v49
	v_cndmask_b32_e32 v3, v48, v3, vcc_lo
	v_and_b32_e32 v30, 7, v30
	v_lshl_add_u32 v3, v3, 23, 0x3b800000
	v_cndmask_b32_e32 v2, v2, v30, vcc_lo
	v_and_b32_e32 v30, 0x80000000, v116
	v_lshlrev_b32_e32 v2, 20, v2
	v_or3_b32 v2, v30, v3, v2
.LBB6_216:                              ;   in Loop: Header=BB6_130 Depth=2
	s_or_b32 exec_lo, exec_lo, s27
	v_cmp_gt_i16_sdwa s27, v37, v58 src0_sel:BYTE_0 src1_sel:DWORD
	s_mov_b32 s13, 0
	s_and_saveexec_b32 s28, s27
	s_xor_b32 s27, exec_lo, s28
	s_cbranch_execz .LBB6_1426
; %bb.217:                              ;   in Loop: Header=BB6_130 Depth=2
	v_cmp_eq_u16_sdwa s29, v37, v59 src0_sel:BYTE_0 src1_sel:DWORD
	s_mov_b32 s13, -1
	s_and_saveexec_b32 s28, s29
; %bb.218:                              ;   in Loop: Header=BB6_130 Depth=2
	s_xor_b32 s13, exec_lo, -1
; %bb.219:                              ;   in Loop: Header=BB6_130 Depth=2
	s_or_b32 exec_lo, exec_lo, s28
	s_and_b32 s13, s13, exec_lo
	s_or_saveexec_b32 s27, s27
	v_mov_b32_e32 v3, 0x7f800001
	s_xor_b32 exec_lo, exec_lo, s27
	s_cbranch_execnz .LBB6_1427
.LBB6_220:                              ;   in Loop: Header=BB6_130 Depth=2
	s_or_b32 exec_lo, exec_lo, s27
	s_and_saveexec_b32 s27, s13
	s_cbranch_execz .LBB6_222
.LBB6_221:                              ;   in Loop: Header=BB6_130 Depth=2
	v_and_b32_e32 v3, 7, v37
	v_bfe_u32 v116, v37, 3, 4
	v_lshlrev_b32_e32 v43, 24, v37
	v_ffbh_u32_e32 v30, v3
	v_cmp_eq_u32_e32 vcc_lo, 0, v116
	v_min_u32_e32 v30, 32, v30
	v_subrev_nc_u32_e32 v48, 28, v30
	v_sub_nc_u32_e32 v30, 29, v30
	v_lshlrev_b32_e32 v48, v48, v37
	v_cndmask_b32_e32 v30, v116, v30, vcc_lo
	v_and_b32_e32 v48, 7, v48
	v_lshl_add_u32 v30, v30, 23, 0x3b800000
	v_cndmask_b32_e32 v3, v3, v48, vcc_lo
	v_and_b32_e32 v48, 0x80000000, v43
	v_lshlrev_b32_e32 v3, 20, v3
	v_or3_b32 v3, v48, v30, v3
.LBB6_222:                              ;   in Loop: Header=BB6_130 Depth=2
	s_or_b32 exec_lo, exec_lo, s27
	v_add_f32_e32 v2, v2, v3
	v_mov_b32_e32 v48, 0x80
	s_mov_b32 s27, exec_lo
	v_and_b32_e32 v3, 0x7f800000, v2
	v_cmpx_ne_u32_e32 0x7f800000, v3
	s_cbranch_execz .LBB6_230
; %bb.223:                              ;   in Loop: Header=BB6_130 Depth=2
	v_mov_b32_e32 v48, 0
	s_mov_b32 s28, exec_lo
	v_cmpx_ne_u32_e32 0, v2
	s_cbranch_execz .LBB6_229
; %bb.224:                              ;   in Loop: Header=BB6_130 Depth=2
	v_bfe_u32 v3, v2, 23, 8
	v_and_b32_e32 v30, 0x7fffff, v2
	v_sub_nc_u32_e32 v48, 0x78, v3
	v_cmp_gt_u32_e32 vcc_lo, 0x79, v3
	v_or_b32_e32 v116, 0x800000, v30
	v_cndmask_b32_e32 v48, 0, v48, vcc_lo
	v_cmp_eq_u32_e32 vcc_lo, 0, v3
	v_add_nc_u32_e32 v3, 0xffffff89, v3
	v_cndmask_b32_e64 v48, v48, 0x77, vcc_lo
	v_cndmask_b32_e32 v30, v116, v30, vcc_lo
	v_cndmask_b32_e64 v3, v3, 0xffffff8a, vcc_lo
	v_lshl_add_u32 v116, 0x100000, v48, -1
	v_lshrrev_b32_e32 v43, v48, v30
	v_lshlrev_b32_e64 v57, v48, 0x80000
	v_add_nc_u32_e32 v48, v48, v3
	v_and_b32_e32 v30, v116, v30
	v_bfe_u32 v46, v43, 20, 1
	v_cmp_eq_u32_e64 s13, v30, v57
	v_add_nc_u32_e32 v116, -1, v46
	v_cndmask_b32_e64 v30, 0, v116, s13
	v_lshrrev_b32_e32 v116, 23, v43
	s_mov_b32 s13, exec_lo
	v_add_nc_u32_e32 v30, v30, v43
	v_xor_b32_e32 v116, 1, v116
	v_and_b32_e32 v3, 0xfffff, v30
	v_add_nc_u32_e32 v30, v3, v43
                                        ; implicit-def: $vgpr3
	v_cmpx_ne_u32_e64 v48, v116
	s_xor_b32 s13, exec_lo, s13
; %bb.225:                              ;   in Loop: Header=BB6_130 Depth=2
	v_cmp_lt_u32_e32 vcc_lo, 0xffffff, v30
	v_sub_nc_u32_e32 v3, v48, v116
	v_cndmask_b32_e64 v48, 0, 1, vcc_lo
	v_add_co_ci_u32_e64 v3, null, 0, v3, vcc_lo
	v_lshrrev_b32_e32 v30, v48, v30
; %bb.226:                              ;   in Loop: Header=BB6_130 Depth=2
	s_andn2_saveexec_b32 s13, s13
; %bb.227:                              ;   in Loop: Header=BB6_130 Depth=2
	v_bfe_u32 v3, v30, 23, 1
; %bb.228:                              ;   in Loop: Header=BB6_130 Depth=2
	s_or_b32 exec_lo, exec_lo, s13
	v_lshrrev_b32_e32 v30, 20, v30
	v_min_i32_e32 v48, 15, v3
	v_cmp_gt_i32_e32 vcc_lo, 16, v3
	v_and_b32_sdwa v2, v2, v59 dst_sel:DWORD dst_unused:UNUSED_PAD src0_sel:BYTE_3 src1_sel:DWORD
	v_lshlrev_b32_e32 v48, 3, v48
	v_cndmask_b32_e32 v30, 7, v30, vcc_lo
	v_and_b32_e32 v48, 0xf8, v48
	v_and_b32_e32 v116, 7, v30
	v_or_b32_e32 v3, v3, v30
	v_or3_b32 v2, v48, v2, v116
	v_cmp_ne_u32_e32 vcc_lo, 0, v3
	v_cndmask_b32_e32 v48, 0, v2, vcc_lo
.LBB6_229:                              ;   in Loop: Header=BB6_130 Depth=2
	s_or_b32 exec_lo, exec_lo, s28
.LBB6_230:                              ;   in Loop: Header=BB6_130 Depth=2
	s_or_b32 exec_lo, exec_lo, s27
	v_cmp_gt_i16_sdwa s27, v49, v58 src0_sel:BYTE_1 src1_sel:DWORD
	s_mov_b32 s13, 0
	s_and_saveexec_b32 s28, s27
	s_xor_b32 s27, exec_lo, s28
	s_cbranch_execz .LBB6_1428
; %bb.231:                              ;   in Loop: Header=BB6_130 Depth=2
	v_cmp_eq_u16_sdwa s29, v49, v59 src0_sel:BYTE_1 src1_sel:DWORD
	s_mov_b32 s13, -1
	s_and_saveexec_b32 s28, s29
; %bb.232:                              ;   in Loop: Header=BB6_130 Depth=2
	s_xor_b32 s13, exec_lo, -1
; %bb.233:                              ;   in Loop: Header=BB6_130 Depth=2
	s_or_b32 exec_lo, exec_lo, s28
	s_and_b32 s13, s13, exec_lo
	s_or_saveexec_b32 s27, s27
	v_mov_b32_e32 v2, 0x7f800001
	s_xor_b32 exec_lo, exec_lo, s27
	s_cbranch_execnz .LBB6_1429
.LBB6_234:                              ;   in Loop: Header=BB6_130 Depth=2
	s_or_b32 exec_lo, exec_lo, s27
	s_and_saveexec_b32 s27, s13
	s_cbranch_execz .LBB6_236
.LBB6_235:                              ;   in Loop: Header=BB6_130 Depth=2
	v_and_b32_sdwa v2, v60, v49 dst_sel:DWORD dst_unused:UNUSED_PAD src0_sel:DWORD src1_sel:BYTE_1
	v_and_b32_e32 v3, 7, v2
	v_bfe_u32 v43, v2, 3, 4
	v_ffbh_u32_e32 v30, v3
	v_cmp_eq_u32_e32 vcc_lo, 0, v43
	v_min_u32_e32 v30, 32, v30
	v_subrev_nc_u32_e32 v116, 28, v30
	v_sub_nc_u32_e32 v30, 29, v30
	v_lshlrev_b32_e32 v2, v116, v2
	v_lshlrev_b32_sdwa v116, v61, v49 dst_sel:DWORD dst_unused:UNUSED_PAD src0_sel:DWORD src1_sel:BYTE_1
	v_cndmask_b32_e32 v30, v43, v30, vcc_lo
	v_and_b32_e32 v2, 7, v2
	v_lshl_add_u32 v30, v30, 23, 0x3b800000
	v_cndmask_b32_e32 v2, v3, v2, vcc_lo
	v_and_b32_e32 v3, 0x80000000, v116
	v_lshlrev_b32_e32 v2, 20, v2
	v_or3_b32 v2, v3, v30, v2
.LBB6_236:                              ;   in Loop: Header=BB6_130 Depth=2
	s_or_b32 exec_lo, exec_lo, s27
	v_cmp_gt_i16_sdwa s27, v37, v58 src0_sel:BYTE_1 src1_sel:DWORD
	s_mov_b32 s13, 0
	s_and_saveexec_b32 s28, s27
	s_xor_b32 s27, exec_lo, s28
	s_cbranch_execz .LBB6_1430
; %bb.237:                              ;   in Loop: Header=BB6_130 Depth=2
	v_cmp_eq_u16_sdwa s29, v37, v59 src0_sel:BYTE_1 src1_sel:DWORD
	s_mov_b32 s13, -1
	s_and_saveexec_b32 s28, s29
; %bb.238:                              ;   in Loop: Header=BB6_130 Depth=2
	s_xor_b32 s13, exec_lo, -1
; %bb.239:                              ;   in Loop: Header=BB6_130 Depth=2
	s_or_b32 exec_lo, exec_lo, s28
	s_and_b32 s13, s13, exec_lo
	s_or_saveexec_b32 s27, s27
	v_mov_b32_e32 v3, 0x7f800001
	s_xor_b32 exec_lo, exec_lo, s27
	s_cbranch_execnz .LBB6_1431
.LBB6_240:                              ;   in Loop: Header=BB6_130 Depth=2
	s_or_b32 exec_lo, exec_lo, s27
	s_and_saveexec_b32 s27, s13
	s_cbranch_execz .LBB6_242
.LBB6_241:                              ;   in Loop: Header=BB6_130 Depth=2
	v_and_b32_sdwa v3, v60, v37 dst_sel:DWORD dst_unused:UNUSED_PAD src0_sel:DWORD src1_sel:BYTE_1
	v_and_b32_e32 v30, 7, v3
	v_bfe_u32 v46, v3, 3, 4
	v_ffbh_u32_e32 v116, v30
	v_cmp_eq_u32_e32 vcc_lo, 0, v46
	v_min_u32_e32 v116, 32, v116
	v_subrev_nc_u32_e32 v43, 28, v116
	v_sub_nc_u32_e32 v116, 29, v116
	v_lshlrev_b32_e32 v3, v43, v3
	v_lshlrev_b32_sdwa v43, v61, v37 dst_sel:DWORD dst_unused:UNUSED_PAD src0_sel:DWORD src1_sel:BYTE_1
	v_cndmask_b32_e32 v116, v46, v116, vcc_lo
	v_and_b32_e32 v3, 7, v3
	v_lshl_add_u32 v116, v116, 23, 0x3b800000
	v_cndmask_b32_e32 v3, v30, v3, vcc_lo
	v_and_b32_e32 v30, 0x80000000, v43
	v_lshlrev_b32_e32 v3, 20, v3
	v_or3_b32 v3, v30, v116, v3
.LBB6_242:                              ;   in Loop: Header=BB6_130 Depth=2
	s_or_b32 exec_lo, exec_lo, s27
	v_add_f32_e32 v2, v2, v3
	v_mov_b32_e32 v76, 0x8000
	s_mov_b32 s27, exec_lo
	v_and_b32_e32 v3, 0x7f800000, v2
	v_cmpx_ne_u32_e32 0x7f800000, v3
	s_cbranch_execz .LBB6_250
; %bb.243:                              ;   in Loop: Header=BB6_130 Depth=2
	v_mov_b32_e32 v76, 0
	s_mov_b32 s28, exec_lo
	v_cmpx_ne_u32_e32 0, v2
	s_cbranch_execz .LBB6_249
; %bb.244:                              ;   in Loop: Header=BB6_130 Depth=2
	v_bfe_u32 v3, v2, 23, 8
	v_and_b32_e32 v30, 0x7fffff, v2
	v_sub_nc_u32_e32 v116, 0x78, v3
	v_cmp_gt_u32_e32 vcc_lo, 0x79, v3
	v_or_b32_e32 v43, 0x800000, v30
	v_cndmask_b32_e32 v116, 0, v116, vcc_lo
	v_cmp_eq_u32_e32 vcc_lo, 0, v3
	v_add_nc_u32_e32 v3, 0xffffff89, v3
	v_cndmask_b32_e64 v116, v116, 0x77, vcc_lo
	v_cndmask_b32_e32 v30, v43, v30, vcc_lo
	v_cndmask_b32_e64 v3, v3, 0xffffff8a, vcc_lo
	v_lshl_add_u32 v43, 0x100000, v116, -1
	v_lshrrev_b32_e32 v46, v116, v30
	v_lshlrev_b32_e64 v76, v116, 0x80000
	v_add_nc_u32_e32 v116, v116, v3
	v_and_b32_e32 v30, v43, v30
	v_bfe_u32 v57, v46, 20, 1
	v_cmp_eq_u32_e64 s13, v30, v76
	v_add_nc_u32_e32 v43, -1, v57
	v_cndmask_b32_e64 v30, 0, v43, s13
	v_lshrrev_b32_e32 v43, 23, v46
	s_mov_b32 s13, exec_lo
	v_add_nc_u32_e32 v30, v30, v46
	v_xor_b32_e32 v43, 1, v43
	v_and_b32_e32 v3, 0xfffff, v30
	v_add_nc_u32_e32 v30, v3, v46
                                        ; implicit-def: $vgpr3
	v_cmpx_ne_u32_e64 v116, v43
	s_xor_b32 s13, exec_lo, s13
; %bb.245:                              ;   in Loop: Header=BB6_130 Depth=2
	v_cmp_lt_u32_e32 vcc_lo, 0xffffff, v30
	v_sub_nc_u32_e32 v3, v116, v43
	v_cndmask_b32_e64 v116, 0, 1, vcc_lo
	v_add_co_ci_u32_e64 v3, null, 0, v3, vcc_lo
	v_lshrrev_b32_e32 v30, v116, v30
; %bb.246:                              ;   in Loop: Header=BB6_130 Depth=2
	s_andn2_saveexec_b32 s13, s13
; %bb.247:                              ;   in Loop: Header=BB6_130 Depth=2
	v_bfe_u32 v3, v30, 23, 1
; %bb.248:                              ;   in Loop: Header=BB6_130 Depth=2
	s_or_b32 exec_lo, exec_lo, s13
	v_lshrrev_b32_e32 v30, 20, v30
	v_min_i32_e32 v116, 15, v3
	v_cmp_gt_i32_e32 vcc_lo, 16, v3
	v_and_b32_sdwa v2, v2, v59 dst_sel:DWORD dst_unused:UNUSED_PAD src0_sel:BYTE_3 src1_sel:DWORD
	v_lshlrev_b32_e32 v116, 3, v116
	v_cndmask_b32_e32 v30, 7, v30, vcc_lo
	v_and_b32_e32 v116, 0xf8, v116
	v_and_b32_e32 v43, 7, v30
	v_or_b32_e32 v3, v3, v30
	v_or3_b32 v2, v2, v116, v43
	v_cmp_ne_u32_e32 vcc_lo, 0, v3
	v_lshlrev_b32_e32 v2, 8, v2
	v_cndmask_b32_e32 v76, 0, v2, vcc_lo
.LBB6_249:                              ;   in Loop: Header=BB6_130 Depth=2
	s_or_b32 exec_lo, exec_lo, s28
.LBB6_250:                              ;   in Loop: Header=BB6_130 Depth=2
	s_or_b32 exec_lo, exec_lo, s27
	v_and_b32_sdwa v3, v49, v62 dst_sel:DWORD dst_unused:UNUSED_PAD src0_sel:WORD_1 src1_sel:DWORD
	s_mov_b32 s13, 0
	s_mov_b32 s27, exec_lo
	v_cmpx_lt_i16_e32 0x7f, v3
	s_xor_b32 s27, exec_lo, s27
	s_cbranch_execz .LBB6_1432
; %bb.251:                              ;   in Loop: Header=BB6_130 Depth=2
	s_mov_b32 s13, -1
	s_mov_b32 s28, exec_lo
	v_cmpx_eq_u16_e32 0x80, v3
; %bb.252:                              ;   in Loop: Header=BB6_130 Depth=2
	s_xor_b32 s13, exec_lo, -1
; %bb.253:                              ;   in Loop: Header=BB6_130 Depth=2
	s_or_b32 exec_lo, exec_lo, s28
	s_and_b32 s13, s13, exec_lo
                                        ; implicit-def: $vgpr3
	s_or_saveexec_b32 s27, s27
	v_mov_b32_e32 v2, 0x7f800001
	s_xor_b32 exec_lo, exec_lo, s27
	s_cbranch_execnz .LBB6_1433
.LBB6_254:                              ;   in Loop: Header=BB6_130 Depth=2
	s_or_b32 exec_lo, exec_lo, s27
	s_and_saveexec_b32 s27, s13
	s_cbranch_execz .LBB6_256
.LBB6_255:                              ;   in Loop: Header=BB6_130 Depth=2
	v_bfe_u32 v2, v49, 16, 3
	v_bfe_u32 v116, v49, 19, 4
	v_lshlrev_b32_e32 v43, 8, v49
	v_ffbh_u32_e32 v3, v2
	v_cmp_eq_u32_e32 vcc_lo, 0, v116
	v_min_u32_e32 v3, 32, v3
	v_subrev_nc_u32_e32 v30, 28, v3
	v_sub_nc_u32_e32 v3, 29, v3
	v_lshlrev_b32_sdwa v30, v30, v49 dst_sel:DWORD dst_unused:UNUSED_PAD src0_sel:DWORD src1_sel:WORD_1
	v_cndmask_b32_e32 v3, v116, v3, vcc_lo
	v_and_b32_e32 v30, 7, v30
	v_lshl_add_u32 v3, v3, 23, 0x3b800000
	v_cndmask_b32_e32 v2, v2, v30, vcc_lo
	v_and_b32_e32 v30, 0x80000000, v43
	v_lshlrev_b32_e32 v2, 20, v2
	v_or3_b32 v2, v30, v3, v2
.LBB6_256:                              ;   in Loop: Header=BB6_130 Depth=2
	s_or_b32 exec_lo, exec_lo, s27
	v_and_b32_sdwa v30, v37, v62 dst_sel:DWORD dst_unused:UNUSED_PAD src0_sel:WORD_1 src1_sel:DWORD
	s_mov_b32 s13, 0
	s_mov_b32 s27, exec_lo
	v_cmpx_lt_i16_e32 0x7f, v30
	s_xor_b32 s27, exec_lo, s27
	s_cbranch_execz .LBB6_1434
; %bb.257:                              ;   in Loop: Header=BB6_130 Depth=2
	s_mov_b32 s13, -1
	s_mov_b32 s28, exec_lo
	v_cmpx_eq_u16_e32 0x80, v30
; %bb.258:                              ;   in Loop: Header=BB6_130 Depth=2
	s_xor_b32 s13, exec_lo, -1
; %bb.259:                              ;   in Loop: Header=BB6_130 Depth=2
	s_or_b32 exec_lo, exec_lo, s28
	s_and_b32 s13, s13, exec_lo
                                        ; implicit-def: $vgpr30
	s_or_saveexec_b32 s27, s27
	v_mov_b32_e32 v3, 0x7f800001
	s_xor_b32 exec_lo, exec_lo, s27
	s_cbranch_execnz .LBB6_1435
.LBB6_260:                              ;   in Loop: Header=BB6_130 Depth=2
	s_or_b32 exec_lo, exec_lo, s27
	s_and_saveexec_b32 s27, s13
	s_cbranch_execz .LBB6_262
.LBB6_261:                              ;   in Loop: Header=BB6_130 Depth=2
	v_bfe_u32 v3, v37, 16, 3
	v_bfe_u32 v43, v37, 19, 4
	v_lshlrev_b32_e32 v46, 8, v37
	v_ffbh_u32_e32 v30, v3
	v_cmp_eq_u32_e32 vcc_lo, 0, v43
	v_min_u32_e32 v30, 32, v30
	v_subrev_nc_u32_e32 v116, 28, v30
	v_sub_nc_u32_e32 v30, 29, v30
	v_lshlrev_b32_sdwa v116, v116, v37 dst_sel:DWORD dst_unused:UNUSED_PAD src0_sel:DWORD src1_sel:WORD_1
	v_cndmask_b32_e32 v30, v43, v30, vcc_lo
	v_and_b32_e32 v116, 7, v116
	v_lshl_add_u32 v30, v30, 23, 0x3b800000
	v_cndmask_b32_e32 v3, v3, v116, vcc_lo
	v_and_b32_e32 v116, 0x80000000, v46
	v_lshlrev_b32_e32 v3, 20, v3
	v_or3_b32 v3, v116, v30, v3
.LBB6_262:                              ;   in Loop: Header=BB6_130 Depth=2
	s_or_b32 exec_lo, exec_lo, s27
	v_add_f32_e32 v2, v2, v3
	v_mov_b32_e32 v77, 0x80
	s_mov_b32 s27, exec_lo
	v_and_b32_e32 v3, 0x7f800000, v2
	v_cmpx_ne_u32_e32 0x7f800000, v3
	s_cbranch_execz .LBB6_270
; %bb.263:                              ;   in Loop: Header=BB6_130 Depth=2
	v_mov_b32_e32 v77, 0
	s_mov_b32 s28, exec_lo
	v_cmpx_ne_u32_e32 0, v2
	s_cbranch_execz .LBB6_269
; %bb.264:                              ;   in Loop: Header=BB6_130 Depth=2
	v_bfe_u32 v3, v2, 23, 8
	v_and_b32_e32 v30, 0x7fffff, v2
	v_sub_nc_u32_e32 v116, 0x78, v3
	v_cmp_gt_u32_e32 vcc_lo, 0x79, v3
	v_or_b32_e32 v43, 0x800000, v30
	v_cndmask_b32_e32 v116, 0, v116, vcc_lo
	v_cmp_eq_u32_e32 vcc_lo, 0, v3
	v_add_nc_u32_e32 v3, 0xffffff89, v3
	v_cndmask_b32_e64 v116, v116, 0x77, vcc_lo
	v_cndmask_b32_e32 v30, v43, v30, vcc_lo
	v_cndmask_b32_e64 v3, v3, 0xffffff8a, vcc_lo
	v_lshl_add_u32 v43, 0x100000, v116, -1
	v_lshrrev_b32_e32 v46, v116, v30
	v_lshlrev_b32_e64 v77, v116, 0x80000
	v_add_nc_u32_e32 v116, v116, v3
	v_and_b32_e32 v30, v43, v30
	v_bfe_u32 v57, v46, 20, 1
	v_cmp_eq_u32_e64 s13, v30, v77
	v_add_nc_u32_e32 v43, -1, v57
	v_cndmask_b32_e64 v30, 0, v43, s13
	v_lshrrev_b32_e32 v43, 23, v46
	s_mov_b32 s13, exec_lo
	v_add_nc_u32_e32 v30, v30, v46
	v_xor_b32_e32 v43, 1, v43
	v_and_b32_e32 v3, 0xfffff, v30
	v_add_nc_u32_e32 v30, v3, v46
                                        ; implicit-def: $vgpr3
	v_cmpx_ne_u32_e64 v116, v43
	s_xor_b32 s13, exec_lo, s13
; %bb.265:                              ;   in Loop: Header=BB6_130 Depth=2
	v_cmp_lt_u32_e32 vcc_lo, 0xffffff, v30
	v_sub_nc_u32_e32 v3, v116, v43
	v_cndmask_b32_e64 v116, 0, 1, vcc_lo
	v_add_co_ci_u32_e64 v3, null, 0, v3, vcc_lo
	v_lshrrev_b32_e32 v30, v116, v30
; %bb.266:                              ;   in Loop: Header=BB6_130 Depth=2
	s_andn2_saveexec_b32 s13, s13
; %bb.267:                              ;   in Loop: Header=BB6_130 Depth=2
	v_bfe_u32 v3, v30, 23, 1
; %bb.268:                              ;   in Loop: Header=BB6_130 Depth=2
	s_or_b32 exec_lo, exec_lo, s13
	v_lshrrev_b32_e32 v30, 20, v30
	v_min_i32_e32 v116, 15, v3
	v_cmp_gt_i32_e32 vcc_lo, 16, v3
	v_and_b32_sdwa v2, v2, v59 dst_sel:DWORD dst_unused:UNUSED_PAD src0_sel:BYTE_3 src1_sel:DWORD
	v_lshlrev_b32_e32 v116, 3, v116
	v_cndmask_b32_e32 v30, 7, v30, vcc_lo
	v_and_b32_e32 v116, 0xf8, v116
	v_and_b32_e32 v43, 7, v30
	v_or_b32_e32 v3, v3, v30
	v_or3_b32 v2, v116, v2, v43
	v_cmp_ne_u32_e32 vcc_lo, 0, v3
	v_cndmask_b32_e32 v77, 0, v2, vcc_lo
.LBB6_269:                              ;   in Loop: Header=BB6_130 Depth=2
	s_or_b32 exec_lo, exec_lo, s28
.LBB6_270:                              ;   in Loop: Header=BB6_130 Depth=2
	s_or_b32 exec_lo, exec_lo, s27
	v_cmp_gt_i16_sdwa s27, v49, v58 src0_sel:BYTE_3 src1_sel:DWORD
	s_mov_b32 s13, 0
	s_and_saveexec_b32 s28, s27
	s_xor_b32 s27, exec_lo, s28
	s_cbranch_execz .LBB6_1436
; %bb.271:                              ;   in Loop: Header=BB6_130 Depth=2
	v_cmp_eq_u16_sdwa s29, v49, v59 src0_sel:BYTE_3 src1_sel:DWORD
	s_mov_b32 s13, -1
	s_and_saveexec_b32 s28, s29
; %bb.272:                              ;   in Loop: Header=BB6_130 Depth=2
	s_xor_b32 s13, exec_lo, -1
; %bb.273:                              ;   in Loop: Header=BB6_130 Depth=2
	s_or_b32 exec_lo, exec_lo, s28
	s_and_b32 s13, s13, exec_lo
	s_or_saveexec_b32 s27, s27
	v_mov_b32_e32 v2, 0x7f800001
	s_xor_b32 exec_lo, exec_lo, s27
	s_cbranch_execnz .LBB6_1437
.LBB6_274:                              ;   in Loop: Header=BB6_130 Depth=2
	s_or_b32 exec_lo, exec_lo, s27
	s_and_saveexec_b32 s27, s13
	s_cbranch_execz .LBB6_276
.LBB6_275:                              ;   in Loop: Header=BB6_130 Depth=2
	v_bfe_u32 v2, v49, 24, 3
	v_bfe_u32 v116, v49, 27, 4
	v_ffbh_u32_e32 v3, v2
	v_cmp_eq_u32_e32 vcc_lo, 0, v116
	v_min_u32_e32 v3, 32, v3
	v_subrev_nc_u32_e32 v30, 28, v3
	v_sub_nc_u32_e32 v3, 29, v3
	v_lshlrev_b32_sdwa v30, v30, v49 dst_sel:DWORD dst_unused:UNUSED_PAD src0_sel:DWORD src1_sel:BYTE_3
	v_cndmask_b32_e32 v3, v116, v3, vcc_lo
	v_and_b32_e32 v30, 7, v30
	v_lshl_add_u32 v3, v3, 23, 0x3b800000
	v_cndmask_b32_e32 v2, v2, v30, vcc_lo
	v_and_b32_e32 v30, 0x80000000, v49
	v_lshlrev_b32_e32 v2, 20, v2
	v_or3_b32 v2, v30, v3, v2
.LBB6_276:                              ;   in Loop: Header=BB6_130 Depth=2
	s_or_b32 exec_lo, exec_lo, s27
	v_cmp_gt_i16_sdwa s27, v37, v58 src0_sel:BYTE_3 src1_sel:DWORD
	s_mov_b32 s13, 0
	s_and_saveexec_b32 s28, s27
	s_xor_b32 s27, exec_lo, s28
	s_cbranch_execz .LBB6_1438
; %bb.277:                              ;   in Loop: Header=BB6_130 Depth=2
	v_cmp_eq_u16_sdwa s29, v37, v59 src0_sel:BYTE_3 src1_sel:DWORD
	s_mov_b32 s13, -1
	s_and_saveexec_b32 s28, s29
; %bb.278:                              ;   in Loop: Header=BB6_130 Depth=2
	s_xor_b32 s13, exec_lo, -1
; %bb.279:                              ;   in Loop: Header=BB6_130 Depth=2
	s_or_b32 exec_lo, exec_lo, s28
	s_and_b32 s13, s13, exec_lo
	s_or_saveexec_b32 s27, s27
	v_mov_b32_e32 v3, 0x7f800001
	s_xor_b32 exec_lo, exec_lo, s27
	s_cbranch_execnz .LBB6_1439
.LBB6_280:                              ;   in Loop: Header=BB6_130 Depth=2
	s_or_b32 exec_lo, exec_lo, s27
	s_and_saveexec_b32 s27, s13
	s_cbranch_execz .LBB6_282
.LBB6_281:                              ;   in Loop: Header=BB6_130 Depth=2
	v_bfe_u32 v3, v37, 24, 3
	v_bfe_u32 v116, v37, 27, 4
	v_ffbh_u32_e32 v30, v3
	v_cmp_eq_u32_e32 vcc_lo, 0, v116
	v_min_u32_e32 v30, 32, v30
	v_subrev_nc_u32_e32 v49, 28, v30
	v_sub_nc_u32_e32 v30, 29, v30
	v_lshlrev_b32_sdwa v49, v49, v37 dst_sel:DWORD dst_unused:UNUSED_PAD src0_sel:DWORD src1_sel:BYTE_3
	v_cndmask_b32_e32 v30, v116, v30, vcc_lo
	v_and_b32_e32 v37, 0x80000000, v37
	v_and_b32_e32 v49, 7, v49
	v_lshl_add_u32 v30, v30, 23, 0x3b800000
	v_cndmask_b32_e32 v3, v3, v49, vcc_lo
	v_lshlrev_b32_e32 v3, 20, v3
	v_or3_b32 v3, v37, v30, v3
.LBB6_282:                              ;   in Loop: Header=BB6_130 Depth=2
	s_or_b32 exec_lo, exec_lo, s27
	v_add_f32_e32 v2, v2, v3
	v_mov_b32_e32 v37, 0x8000
	s_mov_b32 s27, exec_lo
	v_and_b32_e32 v3, 0x7f800000, v2
	v_cmpx_ne_u32_e32 0x7f800000, v3
	s_cbranch_execz .LBB6_290
; %bb.283:                              ;   in Loop: Header=BB6_130 Depth=2
	v_mov_b32_e32 v37, 0
	s_mov_b32 s28, exec_lo
	v_cmpx_ne_u32_e32 0, v2
	s_cbranch_execz .LBB6_289
; %bb.284:                              ;   in Loop: Header=BB6_130 Depth=2
	v_bfe_u32 v3, v2, 23, 8
	v_and_b32_e32 v30, 0x7fffff, v2
	v_sub_nc_u32_e32 v37, 0x78, v3
	v_cmp_gt_u32_e32 vcc_lo, 0x79, v3
	v_or_b32_e32 v49, 0x800000, v30
	v_cndmask_b32_e32 v37, 0, v37, vcc_lo
	v_cmp_eq_u32_e32 vcc_lo, 0, v3
	v_add_nc_u32_e32 v3, 0xffffff89, v3
	v_cndmask_b32_e64 v37, v37, 0x77, vcc_lo
	v_cndmask_b32_e32 v30, v49, v30, vcc_lo
	v_cndmask_b32_e64 v3, v3, 0xffffff8a, vcc_lo
	v_lshl_add_u32 v49, 0x100000, v37, -1
	v_lshrrev_b32_e32 v116, v37, v30
	v_lshlrev_b32_e64 v46, v37, 0x80000
	v_add_nc_u32_e32 v37, v37, v3
	v_and_b32_e32 v30, v49, v30
	v_bfe_u32 v43, v116, 20, 1
	v_cmp_eq_u32_e64 s13, v30, v46
	v_add_nc_u32_e32 v49, -1, v43
	v_cndmask_b32_e64 v30, 0, v49, s13
	v_lshrrev_b32_e32 v49, 23, v116
	s_mov_b32 s13, exec_lo
	v_add_nc_u32_e32 v30, v30, v116
	v_xor_b32_e32 v49, 1, v49
	v_and_b32_e32 v3, 0xfffff, v30
	v_add_nc_u32_e32 v30, v3, v116
                                        ; implicit-def: $vgpr3
	v_cmpx_ne_u32_e64 v37, v49
	s_xor_b32 s13, exec_lo, s13
; %bb.285:                              ;   in Loop: Header=BB6_130 Depth=2
	v_cmp_lt_u32_e32 vcc_lo, 0xffffff, v30
	v_sub_nc_u32_e32 v3, v37, v49
	v_cndmask_b32_e64 v37, 0, 1, vcc_lo
	v_add_co_ci_u32_e64 v3, null, 0, v3, vcc_lo
	v_lshrrev_b32_e32 v30, v37, v30
; %bb.286:                              ;   in Loop: Header=BB6_130 Depth=2
	s_andn2_saveexec_b32 s13, s13
; %bb.287:                              ;   in Loop: Header=BB6_130 Depth=2
	v_bfe_u32 v3, v30, 23, 1
; %bb.288:                              ;   in Loop: Header=BB6_130 Depth=2
	s_or_b32 exec_lo, exec_lo, s13
	v_lshrrev_b32_e32 v30, 20, v30
	v_min_i32_e32 v37, 15, v3
	v_cmp_gt_i32_e32 vcc_lo, 16, v3
	v_and_b32_sdwa v2, v2, v59 dst_sel:DWORD dst_unused:UNUSED_PAD src0_sel:BYTE_3 src1_sel:DWORD
	v_lshlrev_b32_e32 v37, 3, v37
	v_cndmask_b32_e32 v30, 7, v30, vcc_lo
	v_and_b32_e32 v37, 0xf8, v37
	v_and_b32_e32 v49, 7, v30
	v_or_b32_e32 v3, v3, v30
	v_or3_b32 v2, v2, v37, v49
	v_cmp_ne_u32_e32 vcc_lo, 0, v3
	v_lshlrev_b32_e32 v2, 8, v2
	v_cndmask_b32_e32 v37, 0, v2, vcc_lo
.LBB6_289:                              ;   in Loop: Header=BB6_130 Depth=2
	s_or_b32 exec_lo, exec_lo, s28
.LBB6_290:                              ;   in Loop: Header=BB6_130 Depth=2
	s_or_b32 exec_lo, exec_lo, s27
	v_cmp_gt_i16_sdwa s27, v50, v58 src0_sel:BYTE_0 src1_sel:DWORD
	s_mov_b32 s13, 0
	s_and_saveexec_b32 s28, s27
	s_xor_b32 s27, exec_lo, s28
	s_cbranch_execz .LBB6_1440
; %bb.291:                              ;   in Loop: Header=BB6_130 Depth=2
	v_cmp_eq_u16_sdwa s29, v50, v59 src0_sel:BYTE_0 src1_sel:DWORD
	s_mov_b32 s13, -1
	s_and_saveexec_b32 s28, s29
; %bb.292:                              ;   in Loop: Header=BB6_130 Depth=2
	s_xor_b32 s13, exec_lo, -1
; %bb.293:                              ;   in Loop: Header=BB6_130 Depth=2
	s_or_b32 exec_lo, exec_lo, s28
	s_and_b32 s13, s13, exec_lo
	s_or_saveexec_b32 s27, s27
	v_mov_b32_e32 v2, 0x7f800001
	s_xor_b32 exec_lo, exec_lo, s27
	s_cbranch_execnz .LBB6_1441
.LBB6_294:                              ;   in Loop: Header=BB6_130 Depth=2
	s_or_b32 exec_lo, exec_lo, s27
	s_and_saveexec_b32 s27, s13
	s_cbranch_execz .LBB6_296
.LBB6_295:                              ;   in Loop: Header=BB6_130 Depth=2
	v_and_b32_e32 v2, 7, v50
	v_bfe_u32 v49, v50, 3, 4
	v_lshlrev_b32_e32 v116, 24, v50
	v_ffbh_u32_e32 v3, v2
	v_cmp_eq_u32_e32 vcc_lo, 0, v49
	v_min_u32_e32 v3, 32, v3
	v_subrev_nc_u32_e32 v30, 28, v3
	v_sub_nc_u32_e32 v3, 29, v3
	v_lshlrev_b32_e32 v30, v30, v50
	v_cndmask_b32_e32 v3, v49, v3, vcc_lo
	v_and_b32_e32 v30, 7, v30
	v_lshl_add_u32 v3, v3, 23, 0x3b800000
	v_cndmask_b32_e32 v2, v2, v30, vcc_lo
	v_and_b32_e32 v30, 0x80000000, v116
	v_lshlrev_b32_e32 v2, 20, v2
	v_or3_b32 v2, v30, v3, v2
.LBB6_296:                              ;   in Loop: Header=BB6_130 Depth=2
	s_or_b32 exec_lo, exec_lo, s27
	v_cmp_gt_i16_sdwa s27, v38, v58 src0_sel:BYTE_0 src1_sel:DWORD
	s_mov_b32 s13, 0
	s_and_saveexec_b32 s28, s27
	s_xor_b32 s27, exec_lo, s28
	s_cbranch_execz .LBB6_1442
; %bb.297:                              ;   in Loop: Header=BB6_130 Depth=2
	v_cmp_eq_u16_sdwa s29, v38, v59 src0_sel:BYTE_0 src1_sel:DWORD
	s_mov_b32 s13, -1
	s_and_saveexec_b32 s28, s29
; %bb.298:                              ;   in Loop: Header=BB6_130 Depth=2
	s_xor_b32 s13, exec_lo, -1
; %bb.299:                              ;   in Loop: Header=BB6_130 Depth=2
	s_or_b32 exec_lo, exec_lo, s28
	s_and_b32 s13, s13, exec_lo
	s_or_saveexec_b32 s27, s27
	v_mov_b32_e32 v3, 0x7f800001
	s_xor_b32 exec_lo, exec_lo, s27
	s_cbranch_execnz .LBB6_1443
.LBB6_300:                              ;   in Loop: Header=BB6_130 Depth=2
	s_or_b32 exec_lo, exec_lo, s27
	s_and_saveexec_b32 s27, s13
	s_cbranch_execz .LBB6_302
.LBB6_301:                              ;   in Loop: Header=BB6_130 Depth=2
	v_and_b32_e32 v3, 7, v38
	v_bfe_u32 v116, v38, 3, 4
	v_lshlrev_b32_e32 v43, 24, v38
	v_ffbh_u32_e32 v30, v3
	v_cmp_eq_u32_e32 vcc_lo, 0, v116
	v_min_u32_e32 v30, 32, v30
	v_subrev_nc_u32_e32 v49, 28, v30
	v_sub_nc_u32_e32 v30, 29, v30
	v_lshlrev_b32_e32 v49, v49, v38
	v_cndmask_b32_e32 v30, v116, v30, vcc_lo
	v_and_b32_e32 v49, 7, v49
	v_lshl_add_u32 v30, v30, 23, 0x3b800000
	v_cndmask_b32_e32 v3, v3, v49, vcc_lo
	v_and_b32_e32 v49, 0x80000000, v43
	v_lshlrev_b32_e32 v3, 20, v3
	v_or3_b32 v3, v49, v30, v3
.LBB6_302:                              ;   in Loop: Header=BB6_130 Depth=2
	s_or_b32 exec_lo, exec_lo, s27
	v_add_f32_e32 v2, v2, v3
	v_mov_b32_e32 v49, 0x80
	s_mov_b32 s27, exec_lo
	v_and_b32_e32 v3, 0x7f800000, v2
	v_cmpx_ne_u32_e32 0x7f800000, v3
	s_cbranch_execz .LBB6_310
; %bb.303:                              ;   in Loop: Header=BB6_130 Depth=2
	v_mov_b32_e32 v49, 0
	s_mov_b32 s28, exec_lo
	v_cmpx_ne_u32_e32 0, v2
	s_cbranch_execz .LBB6_309
; %bb.304:                              ;   in Loop: Header=BB6_130 Depth=2
	v_bfe_u32 v3, v2, 23, 8
	v_and_b32_e32 v30, 0x7fffff, v2
	v_sub_nc_u32_e32 v49, 0x78, v3
	v_cmp_gt_u32_e32 vcc_lo, 0x79, v3
	v_or_b32_e32 v116, 0x800000, v30
	v_cndmask_b32_e32 v49, 0, v49, vcc_lo
	v_cmp_eq_u32_e32 vcc_lo, 0, v3
	v_add_nc_u32_e32 v3, 0xffffff89, v3
	v_cndmask_b32_e64 v49, v49, 0x77, vcc_lo
	v_cndmask_b32_e32 v30, v116, v30, vcc_lo
	v_cndmask_b32_e64 v3, v3, 0xffffff8a, vcc_lo
	v_lshl_add_u32 v116, 0x100000, v49, -1
	v_lshrrev_b32_e32 v43, v49, v30
	v_lshlrev_b32_e64 v57, v49, 0x80000
	v_add_nc_u32_e32 v49, v49, v3
	v_and_b32_e32 v30, v116, v30
	v_bfe_u32 v46, v43, 20, 1
	v_cmp_eq_u32_e64 s13, v30, v57
	v_add_nc_u32_e32 v116, -1, v46
	v_cndmask_b32_e64 v30, 0, v116, s13
	v_lshrrev_b32_e32 v116, 23, v43
	s_mov_b32 s13, exec_lo
	v_add_nc_u32_e32 v30, v30, v43
	v_xor_b32_e32 v116, 1, v116
	v_and_b32_e32 v3, 0xfffff, v30
	v_add_nc_u32_e32 v30, v3, v43
                                        ; implicit-def: $vgpr3
	v_cmpx_ne_u32_e64 v49, v116
	s_xor_b32 s13, exec_lo, s13
; %bb.305:                              ;   in Loop: Header=BB6_130 Depth=2
	v_cmp_lt_u32_e32 vcc_lo, 0xffffff, v30
	v_sub_nc_u32_e32 v3, v49, v116
	v_cndmask_b32_e64 v49, 0, 1, vcc_lo
	v_add_co_ci_u32_e64 v3, null, 0, v3, vcc_lo
	v_lshrrev_b32_e32 v30, v49, v30
; %bb.306:                              ;   in Loop: Header=BB6_130 Depth=2
	s_andn2_saveexec_b32 s13, s13
; %bb.307:                              ;   in Loop: Header=BB6_130 Depth=2
	v_bfe_u32 v3, v30, 23, 1
; %bb.308:                              ;   in Loop: Header=BB6_130 Depth=2
	s_or_b32 exec_lo, exec_lo, s13
	v_lshrrev_b32_e32 v30, 20, v30
	v_min_i32_e32 v49, 15, v3
	v_cmp_gt_i32_e32 vcc_lo, 16, v3
	v_and_b32_sdwa v2, v2, v59 dst_sel:DWORD dst_unused:UNUSED_PAD src0_sel:BYTE_3 src1_sel:DWORD
	v_lshlrev_b32_e32 v49, 3, v49
	v_cndmask_b32_e32 v30, 7, v30, vcc_lo
	v_and_b32_e32 v49, 0xf8, v49
	v_and_b32_e32 v116, 7, v30
	v_or_b32_e32 v3, v3, v30
	v_or3_b32 v2, v49, v2, v116
	v_cmp_ne_u32_e32 vcc_lo, 0, v3
	v_cndmask_b32_e32 v49, 0, v2, vcc_lo
.LBB6_309:                              ;   in Loop: Header=BB6_130 Depth=2
	s_or_b32 exec_lo, exec_lo, s28
.LBB6_310:                              ;   in Loop: Header=BB6_130 Depth=2
	s_or_b32 exec_lo, exec_lo, s27
	v_cmp_gt_i16_sdwa s27, v50, v58 src0_sel:BYTE_1 src1_sel:DWORD
	s_mov_b32 s13, 0
	s_and_saveexec_b32 s28, s27
	s_xor_b32 s27, exec_lo, s28
	s_cbranch_execz .LBB6_1444
; %bb.311:                              ;   in Loop: Header=BB6_130 Depth=2
	v_cmp_eq_u16_sdwa s29, v50, v59 src0_sel:BYTE_1 src1_sel:DWORD
	s_mov_b32 s13, -1
	s_and_saveexec_b32 s28, s29
; %bb.312:                              ;   in Loop: Header=BB6_130 Depth=2
	s_xor_b32 s13, exec_lo, -1
; %bb.313:                              ;   in Loop: Header=BB6_130 Depth=2
	s_or_b32 exec_lo, exec_lo, s28
	s_and_b32 s13, s13, exec_lo
	s_or_saveexec_b32 s27, s27
	v_mov_b32_e32 v2, 0x7f800001
	s_xor_b32 exec_lo, exec_lo, s27
	s_cbranch_execnz .LBB6_1445
.LBB6_314:                              ;   in Loop: Header=BB6_130 Depth=2
	s_or_b32 exec_lo, exec_lo, s27
	s_and_saveexec_b32 s27, s13
	s_cbranch_execz .LBB6_316
.LBB6_315:                              ;   in Loop: Header=BB6_130 Depth=2
	v_and_b32_sdwa v2, v60, v50 dst_sel:DWORD dst_unused:UNUSED_PAD src0_sel:DWORD src1_sel:BYTE_1
	v_and_b32_e32 v3, 7, v2
	v_bfe_u32 v43, v2, 3, 4
	v_ffbh_u32_e32 v30, v3
	v_cmp_eq_u32_e32 vcc_lo, 0, v43
	v_min_u32_e32 v30, 32, v30
	v_subrev_nc_u32_e32 v116, 28, v30
	v_sub_nc_u32_e32 v30, 29, v30
	v_lshlrev_b32_e32 v2, v116, v2
	v_lshlrev_b32_sdwa v116, v61, v50 dst_sel:DWORD dst_unused:UNUSED_PAD src0_sel:DWORD src1_sel:BYTE_1
	v_cndmask_b32_e32 v30, v43, v30, vcc_lo
	v_and_b32_e32 v2, 7, v2
	v_lshl_add_u32 v30, v30, 23, 0x3b800000
	v_cndmask_b32_e32 v2, v3, v2, vcc_lo
	v_and_b32_e32 v3, 0x80000000, v116
	v_lshlrev_b32_e32 v2, 20, v2
	v_or3_b32 v2, v3, v30, v2
.LBB6_316:                              ;   in Loop: Header=BB6_130 Depth=2
	s_or_b32 exec_lo, exec_lo, s27
	v_cmp_gt_i16_sdwa s27, v38, v58 src0_sel:BYTE_1 src1_sel:DWORD
	s_mov_b32 s13, 0
	s_and_saveexec_b32 s28, s27
	s_xor_b32 s27, exec_lo, s28
	s_cbranch_execz .LBB6_1446
; %bb.317:                              ;   in Loop: Header=BB6_130 Depth=2
	v_cmp_eq_u16_sdwa s29, v38, v59 src0_sel:BYTE_1 src1_sel:DWORD
	s_mov_b32 s13, -1
	s_and_saveexec_b32 s28, s29
; %bb.318:                              ;   in Loop: Header=BB6_130 Depth=2
	s_xor_b32 s13, exec_lo, -1
; %bb.319:                              ;   in Loop: Header=BB6_130 Depth=2
	s_or_b32 exec_lo, exec_lo, s28
	s_and_b32 s13, s13, exec_lo
	s_or_saveexec_b32 s27, s27
	v_mov_b32_e32 v3, 0x7f800001
	s_xor_b32 exec_lo, exec_lo, s27
	s_cbranch_execnz .LBB6_1447
.LBB6_320:                              ;   in Loop: Header=BB6_130 Depth=2
	s_or_b32 exec_lo, exec_lo, s27
	s_and_saveexec_b32 s27, s13
	s_cbranch_execz .LBB6_322
.LBB6_321:                              ;   in Loop: Header=BB6_130 Depth=2
	v_and_b32_sdwa v3, v60, v38 dst_sel:DWORD dst_unused:UNUSED_PAD src0_sel:DWORD src1_sel:BYTE_1
	v_and_b32_e32 v30, 7, v3
	v_bfe_u32 v46, v3, 3, 4
	v_ffbh_u32_e32 v116, v30
	v_cmp_eq_u32_e32 vcc_lo, 0, v46
	v_min_u32_e32 v116, 32, v116
	v_subrev_nc_u32_e32 v43, 28, v116
	v_sub_nc_u32_e32 v116, 29, v116
	v_lshlrev_b32_e32 v3, v43, v3
	v_lshlrev_b32_sdwa v43, v61, v38 dst_sel:DWORD dst_unused:UNUSED_PAD src0_sel:DWORD src1_sel:BYTE_1
	v_cndmask_b32_e32 v116, v46, v116, vcc_lo
	v_and_b32_e32 v3, 7, v3
	v_lshl_add_u32 v116, v116, 23, 0x3b800000
	v_cndmask_b32_e32 v3, v30, v3, vcc_lo
	v_and_b32_e32 v30, 0x80000000, v43
	v_lshlrev_b32_e32 v3, 20, v3
	v_or3_b32 v3, v30, v116, v3
.LBB6_322:                              ;   in Loop: Header=BB6_130 Depth=2
	s_or_b32 exec_lo, exec_lo, s27
	v_add_f32_e32 v2, v2, v3
	v_mov_b32_e32 v78, 0x8000
	s_mov_b32 s27, exec_lo
	v_and_b32_e32 v3, 0x7f800000, v2
	v_cmpx_ne_u32_e32 0x7f800000, v3
	s_cbranch_execz .LBB6_330
; %bb.323:                              ;   in Loop: Header=BB6_130 Depth=2
	v_mov_b32_e32 v78, 0
	s_mov_b32 s28, exec_lo
	v_cmpx_ne_u32_e32 0, v2
	s_cbranch_execz .LBB6_329
; %bb.324:                              ;   in Loop: Header=BB6_130 Depth=2
	v_bfe_u32 v3, v2, 23, 8
	v_and_b32_e32 v30, 0x7fffff, v2
	v_sub_nc_u32_e32 v116, 0x78, v3
	v_cmp_gt_u32_e32 vcc_lo, 0x79, v3
	v_or_b32_e32 v43, 0x800000, v30
	v_cndmask_b32_e32 v116, 0, v116, vcc_lo
	v_cmp_eq_u32_e32 vcc_lo, 0, v3
	v_add_nc_u32_e32 v3, 0xffffff89, v3
	v_cndmask_b32_e64 v116, v116, 0x77, vcc_lo
	v_cndmask_b32_e32 v30, v43, v30, vcc_lo
	v_cndmask_b32_e64 v3, v3, 0xffffff8a, vcc_lo
	v_lshl_add_u32 v43, 0x100000, v116, -1
	v_lshrrev_b32_e32 v46, v116, v30
	v_lshlrev_b32_e64 v78, v116, 0x80000
	v_add_nc_u32_e32 v116, v116, v3
	v_and_b32_e32 v30, v43, v30
	v_bfe_u32 v57, v46, 20, 1
	v_cmp_eq_u32_e64 s13, v30, v78
	v_add_nc_u32_e32 v43, -1, v57
	v_cndmask_b32_e64 v30, 0, v43, s13
	v_lshrrev_b32_e32 v43, 23, v46
	s_mov_b32 s13, exec_lo
	v_add_nc_u32_e32 v30, v30, v46
	v_xor_b32_e32 v43, 1, v43
	v_and_b32_e32 v3, 0xfffff, v30
	v_add_nc_u32_e32 v30, v3, v46
                                        ; implicit-def: $vgpr3
	v_cmpx_ne_u32_e64 v116, v43
	s_xor_b32 s13, exec_lo, s13
; %bb.325:                              ;   in Loop: Header=BB6_130 Depth=2
	v_cmp_lt_u32_e32 vcc_lo, 0xffffff, v30
	v_sub_nc_u32_e32 v3, v116, v43
	v_cndmask_b32_e64 v116, 0, 1, vcc_lo
	v_add_co_ci_u32_e64 v3, null, 0, v3, vcc_lo
	v_lshrrev_b32_e32 v30, v116, v30
; %bb.326:                              ;   in Loop: Header=BB6_130 Depth=2
	s_andn2_saveexec_b32 s13, s13
; %bb.327:                              ;   in Loop: Header=BB6_130 Depth=2
	v_bfe_u32 v3, v30, 23, 1
; %bb.328:                              ;   in Loop: Header=BB6_130 Depth=2
	s_or_b32 exec_lo, exec_lo, s13
	v_lshrrev_b32_e32 v30, 20, v30
	v_min_i32_e32 v116, 15, v3
	v_cmp_gt_i32_e32 vcc_lo, 16, v3
	v_and_b32_sdwa v2, v2, v59 dst_sel:DWORD dst_unused:UNUSED_PAD src0_sel:BYTE_3 src1_sel:DWORD
	v_lshlrev_b32_e32 v116, 3, v116
	v_cndmask_b32_e32 v30, 7, v30, vcc_lo
	v_and_b32_e32 v116, 0xf8, v116
	v_and_b32_e32 v43, 7, v30
	v_or_b32_e32 v3, v3, v30
	v_or3_b32 v2, v2, v116, v43
	v_cmp_ne_u32_e32 vcc_lo, 0, v3
	v_lshlrev_b32_e32 v2, 8, v2
	v_cndmask_b32_e32 v78, 0, v2, vcc_lo
.LBB6_329:                              ;   in Loop: Header=BB6_130 Depth=2
	s_or_b32 exec_lo, exec_lo, s28
.LBB6_330:                              ;   in Loop: Header=BB6_130 Depth=2
	s_or_b32 exec_lo, exec_lo, s27
	v_and_b32_sdwa v3, v50, v62 dst_sel:DWORD dst_unused:UNUSED_PAD src0_sel:WORD_1 src1_sel:DWORD
	s_mov_b32 s13, 0
	s_mov_b32 s27, exec_lo
	v_cmpx_lt_i16_e32 0x7f, v3
	s_xor_b32 s27, exec_lo, s27
	s_cbranch_execz .LBB6_1448
; %bb.331:                              ;   in Loop: Header=BB6_130 Depth=2
	s_mov_b32 s13, -1
	s_mov_b32 s28, exec_lo
	v_cmpx_eq_u16_e32 0x80, v3
; %bb.332:                              ;   in Loop: Header=BB6_130 Depth=2
	s_xor_b32 s13, exec_lo, -1
; %bb.333:                              ;   in Loop: Header=BB6_130 Depth=2
	s_or_b32 exec_lo, exec_lo, s28
	s_and_b32 s13, s13, exec_lo
                                        ; implicit-def: $vgpr3
	s_or_saveexec_b32 s27, s27
	v_mov_b32_e32 v2, 0x7f800001
	s_xor_b32 exec_lo, exec_lo, s27
	s_cbranch_execnz .LBB6_1449
.LBB6_334:                              ;   in Loop: Header=BB6_130 Depth=2
	s_or_b32 exec_lo, exec_lo, s27
	s_and_saveexec_b32 s27, s13
	s_cbranch_execz .LBB6_336
.LBB6_335:                              ;   in Loop: Header=BB6_130 Depth=2
	v_bfe_u32 v2, v50, 16, 3
	v_bfe_u32 v116, v50, 19, 4
	v_lshlrev_b32_e32 v43, 8, v50
	v_ffbh_u32_e32 v3, v2
	v_cmp_eq_u32_e32 vcc_lo, 0, v116
	v_min_u32_e32 v3, 32, v3
	v_subrev_nc_u32_e32 v30, 28, v3
	v_sub_nc_u32_e32 v3, 29, v3
	v_lshlrev_b32_sdwa v30, v30, v50 dst_sel:DWORD dst_unused:UNUSED_PAD src0_sel:DWORD src1_sel:WORD_1
	v_cndmask_b32_e32 v3, v116, v3, vcc_lo
	v_and_b32_e32 v30, 7, v30
	v_lshl_add_u32 v3, v3, 23, 0x3b800000
	v_cndmask_b32_e32 v2, v2, v30, vcc_lo
	v_and_b32_e32 v30, 0x80000000, v43
	v_lshlrev_b32_e32 v2, 20, v2
	v_or3_b32 v2, v30, v3, v2
.LBB6_336:                              ;   in Loop: Header=BB6_130 Depth=2
	s_or_b32 exec_lo, exec_lo, s27
	v_and_b32_sdwa v30, v38, v62 dst_sel:DWORD dst_unused:UNUSED_PAD src0_sel:WORD_1 src1_sel:DWORD
	s_mov_b32 s13, 0
	s_mov_b32 s27, exec_lo
	v_cmpx_lt_i16_e32 0x7f, v30
	s_xor_b32 s27, exec_lo, s27
	s_cbranch_execz .LBB6_1450
; %bb.337:                              ;   in Loop: Header=BB6_130 Depth=2
	s_mov_b32 s13, -1
	s_mov_b32 s28, exec_lo
	v_cmpx_eq_u16_e32 0x80, v30
; %bb.338:                              ;   in Loop: Header=BB6_130 Depth=2
	s_xor_b32 s13, exec_lo, -1
; %bb.339:                              ;   in Loop: Header=BB6_130 Depth=2
	s_or_b32 exec_lo, exec_lo, s28
	s_and_b32 s13, s13, exec_lo
                                        ; implicit-def: $vgpr30
	s_or_saveexec_b32 s27, s27
	v_mov_b32_e32 v3, 0x7f800001
	s_xor_b32 exec_lo, exec_lo, s27
	s_cbranch_execnz .LBB6_1451
.LBB6_340:                              ;   in Loop: Header=BB6_130 Depth=2
	s_or_b32 exec_lo, exec_lo, s27
	s_and_saveexec_b32 s27, s13
	s_cbranch_execz .LBB6_342
.LBB6_341:                              ;   in Loop: Header=BB6_130 Depth=2
	v_bfe_u32 v3, v38, 16, 3
	v_bfe_u32 v43, v38, 19, 4
	v_lshlrev_b32_e32 v46, 8, v38
	v_ffbh_u32_e32 v30, v3
	v_cmp_eq_u32_e32 vcc_lo, 0, v43
	v_min_u32_e32 v30, 32, v30
	v_subrev_nc_u32_e32 v116, 28, v30
	v_sub_nc_u32_e32 v30, 29, v30
	v_lshlrev_b32_sdwa v116, v116, v38 dst_sel:DWORD dst_unused:UNUSED_PAD src0_sel:DWORD src1_sel:WORD_1
	v_cndmask_b32_e32 v30, v43, v30, vcc_lo
	v_and_b32_e32 v116, 7, v116
	v_lshl_add_u32 v30, v30, 23, 0x3b800000
	v_cndmask_b32_e32 v3, v3, v116, vcc_lo
	v_and_b32_e32 v116, 0x80000000, v46
	v_lshlrev_b32_e32 v3, 20, v3
	v_or3_b32 v3, v116, v30, v3
.LBB6_342:                              ;   in Loop: Header=BB6_130 Depth=2
	s_or_b32 exec_lo, exec_lo, s27
	v_add_f32_e32 v2, v2, v3
	v_mov_b32_e32 v79, 0x80
	s_mov_b32 s27, exec_lo
	v_and_b32_e32 v3, 0x7f800000, v2
	v_cmpx_ne_u32_e32 0x7f800000, v3
	s_cbranch_execz .LBB6_350
; %bb.343:                              ;   in Loop: Header=BB6_130 Depth=2
	v_mov_b32_e32 v79, 0
	s_mov_b32 s28, exec_lo
	v_cmpx_ne_u32_e32 0, v2
	s_cbranch_execz .LBB6_349
; %bb.344:                              ;   in Loop: Header=BB6_130 Depth=2
	v_bfe_u32 v3, v2, 23, 8
	v_and_b32_e32 v30, 0x7fffff, v2
	v_sub_nc_u32_e32 v116, 0x78, v3
	v_cmp_gt_u32_e32 vcc_lo, 0x79, v3
	v_or_b32_e32 v43, 0x800000, v30
	v_cndmask_b32_e32 v116, 0, v116, vcc_lo
	v_cmp_eq_u32_e32 vcc_lo, 0, v3
	v_add_nc_u32_e32 v3, 0xffffff89, v3
	v_cndmask_b32_e64 v116, v116, 0x77, vcc_lo
	v_cndmask_b32_e32 v30, v43, v30, vcc_lo
	v_cndmask_b32_e64 v3, v3, 0xffffff8a, vcc_lo
	v_lshl_add_u32 v43, 0x100000, v116, -1
	v_lshrrev_b32_e32 v46, v116, v30
	v_lshlrev_b32_e64 v79, v116, 0x80000
	v_add_nc_u32_e32 v116, v116, v3
	v_and_b32_e32 v30, v43, v30
	v_bfe_u32 v57, v46, 20, 1
	v_cmp_eq_u32_e64 s13, v30, v79
	v_add_nc_u32_e32 v43, -1, v57
	v_cndmask_b32_e64 v30, 0, v43, s13
	v_lshrrev_b32_e32 v43, 23, v46
	s_mov_b32 s13, exec_lo
	v_add_nc_u32_e32 v30, v30, v46
	v_xor_b32_e32 v43, 1, v43
	v_and_b32_e32 v3, 0xfffff, v30
	v_add_nc_u32_e32 v30, v3, v46
                                        ; implicit-def: $vgpr3
	v_cmpx_ne_u32_e64 v116, v43
	s_xor_b32 s13, exec_lo, s13
; %bb.345:                              ;   in Loop: Header=BB6_130 Depth=2
	v_cmp_lt_u32_e32 vcc_lo, 0xffffff, v30
	v_sub_nc_u32_e32 v3, v116, v43
	v_cndmask_b32_e64 v116, 0, 1, vcc_lo
	v_add_co_ci_u32_e64 v3, null, 0, v3, vcc_lo
	v_lshrrev_b32_e32 v30, v116, v30
; %bb.346:                              ;   in Loop: Header=BB6_130 Depth=2
	s_andn2_saveexec_b32 s13, s13
; %bb.347:                              ;   in Loop: Header=BB6_130 Depth=2
	v_bfe_u32 v3, v30, 23, 1
; %bb.348:                              ;   in Loop: Header=BB6_130 Depth=2
	s_or_b32 exec_lo, exec_lo, s13
	v_lshrrev_b32_e32 v30, 20, v30
	v_min_i32_e32 v116, 15, v3
	v_cmp_gt_i32_e32 vcc_lo, 16, v3
	v_and_b32_sdwa v2, v2, v59 dst_sel:DWORD dst_unused:UNUSED_PAD src0_sel:BYTE_3 src1_sel:DWORD
	v_lshlrev_b32_e32 v116, 3, v116
	v_cndmask_b32_e32 v30, 7, v30, vcc_lo
	v_and_b32_e32 v116, 0xf8, v116
	v_and_b32_e32 v43, 7, v30
	v_or_b32_e32 v3, v3, v30
	v_or3_b32 v2, v116, v2, v43
	v_cmp_ne_u32_e32 vcc_lo, 0, v3
	v_cndmask_b32_e32 v79, 0, v2, vcc_lo
.LBB6_349:                              ;   in Loop: Header=BB6_130 Depth=2
	s_or_b32 exec_lo, exec_lo, s28
.LBB6_350:                              ;   in Loop: Header=BB6_130 Depth=2
	s_or_b32 exec_lo, exec_lo, s27
	v_cmp_gt_i16_sdwa s27, v50, v58 src0_sel:BYTE_3 src1_sel:DWORD
	s_mov_b32 s13, 0
	s_and_saveexec_b32 s28, s27
	s_xor_b32 s27, exec_lo, s28
	s_cbranch_execz .LBB6_1452
; %bb.351:                              ;   in Loop: Header=BB6_130 Depth=2
	v_cmp_eq_u16_sdwa s29, v50, v59 src0_sel:BYTE_3 src1_sel:DWORD
	s_mov_b32 s13, -1
	s_and_saveexec_b32 s28, s29
; %bb.352:                              ;   in Loop: Header=BB6_130 Depth=2
	s_xor_b32 s13, exec_lo, -1
; %bb.353:                              ;   in Loop: Header=BB6_130 Depth=2
	s_or_b32 exec_lo, exec_lo, s28
	s_and_b32 s13, s13, exec_lo
	s_or_saveexec_b32 s27, s27
	v_mov_b32_e32 v2, 0x7f800001
	s_xor_b32 exec_lo, exec_lo, s27
	s_cbranch_execnz .LBB6_1453
.LBB6_354:                              ;   in Loop: Header=BB6_130 Depth=2
	s_or_b32 exec_lo, exec_lo, s27
	s_and_saveexec_b32 s27, s13
	s_cbranch_execz .LBB6_356
.LBB6_355:                              ;   in Loop: Header=BB6_130 Depth=2
	v_bfe_u32 v2, v50, 24, 3
	v_bfe_u32 v116, v50, 27, 4
	v_ffbh_u32_e32 v3, v2
	v_cmp_eq_u32_e32 vcc_lo, 0, v116
	v_min_u32_e32 v3, 32, v3
	v_subrev_nc_u32_e32 v30, 28, v3
	v_sub_nc_u32_e32 v3, 29, v3
	v_lshlrev_b32_sdwa v30, v30, v50 dst_sel:DWORD dst_unused:UNUSED_PAD src0_sel:DWORD src1_sel:BYTE_3
	v_cndmask_b32_e32 v3, v116, v3, vcc_lo
	v_and_b32_e32 v30, 7, v30
	v_lshl_add_u32 v3, v3, 23, 0x3b800000
	v_cndmask_b32_e32 v2, v2, v30, vcc_lo
	v_and_b32_e32 v30, 0x80000000, v50
	v_lshlrev_b32_e32 v2, 20, v2
	v_or3_b32 v2, v30, v3, v2
.LBB6_356:                              ;   in Loop: Header=BB6_130 Depth=2
	s_or_b32 exec_lo, exec_lo, s27
	v_cmp_gt_i16_sdwa s27, v38, v58 src0_sel:BYTE_3 src1_sel:DWORD
	s_mov_b32 s13, 0
	s_and_saveexec_b32 s28, s27
	s_xor_b32 s27, exec_lo, s28
	s_cbranch_execz .LBB6_1454
; %bb.357:                              ;   in Loop: Header=BB6_130 Depth=2
	v_cmp_eq_u16_sdwa s29, v38, v59 src0_sel:BYTE_3 src1_sel:DWORD
	s_mov_b32 s13, -1
	s_and_saveexec_b32 s28, s29
; %bb.358:                              ;   in Loop: Header=BB6_130 Depth=2
	s_xor_b32 s13, exec_lo, -1
; %bb.359:                              ;   in Loop: Header=BB6_130 Depth=2
	s_or_b32 exec_lo, exec_lo, s28
	s_and_b32 s13, s13, exec_lo
	s_or_saveexec_b32 s27, s27
	v_mov_b32_e32 v3, 0x7f800001
	s_xor_b32 exec_lo, exec_lo, s27
	s_cbranch_execnz .LBB6_1455
.LBB6_360:                              ;   in Loop: Header=BB6_130 Depth=2
	s_or_b32 exec_lo, exec_lo, s27
	s_and_saveexec_b32 s27, s13
	s_cbranch_execz .LBB6_362
.LBB6_361:                              ;   in Loop: Header=BB6_130 Depth=2
	v_bfe_u32 v3, v38, 24, 3
	v_bfe_u32 v116, v38, 27, 4
	v_ffbh_u32_e32 v30, v3
	v_cmp_eq_u32_e32 vcc_lo, 0, v116
	v_min_u32_e32 v30, 32, v30
	v_subrev_nc_u32_e32 v50, 28, v30
	v_sub_nc_u32_e32 v30, 29, v30
	v_lshlrev_b32_sdwa v50, v50, v38 dst_sel:DWORD dst_unused:UNUSED_PAD src0_sel:DWORD src1_sel:BYTE_3
	v_cndmask_b32_e32 v30, v116, v30, vcc_lo
	v_and_b32_e32 v38, 0x80000000, v38
	v_and_b32_e32 v50, 7, v50
	v_lshl_add_u32 v30, v30, 23, 0x3b800000
	v_cndmask_b32_e32 v3, v3, v50, vcc_lo
	v_lshlrev_b32_e32 v3, 20, v3
	v_or3_b32 v3, v38, v30, v3
.LBB6_362:                              ;   in Loop: Header=BB6_130 Depth=2
	s_or_b32 exec_lo, exec_lo, s27
	v_add_f32_e32 v2, v2, v3
	v_mov_b32_e32 v38, 0x8000
	s_mov_b32 s27, exec_lo
	v_and_b32_e32 v3, 0x7f800000, v2
	v_cmpx_ne_u32_e32 0x7f800000, v3
	s_cbranch_execz .LBB6_370
; %bb.363:                              ;   in Loop: Header=BB6_130 Depth=2
	v_mov_b32_e32 v38, 0
	s_mov_b32 s28, exec_lo
	v_cmpx_ne_u32_e32 0, v2
	s_cbranch_execz .LBB6_369
; %bb.364:                              ;   in Loop: Header=BB6_130 Depth=2
	v_bfe_u32 v3, v2, 23, 8
	v_and_b32_e32 v30, 0x7fffff, v2
	v_sub_nc_u32_e32 v38, 0x78, v3
	v_cmp_gt_u32_e32 vcc_lo, 0x79, v3
	v_or_b32_e32 v50, 0x800000, v30
	v_cndmask_b32_e32 v38, 0, v38, vcc_lo
	v_cmp_eq_u32_e32 vcc_lo, 0, v3
	v_add_nc_u32_e32 v3, 0xffffff89, v3
	v_cndmask_b32_e64 v38, v38, 0x77, vcc_lo
	v_cndmask_b32_e32 v30, v50, v30, vcc_lo
	v_cndmask_b32_e64 v3, v3, 0xffffff8a, vcc_lo
	v_lshl_add_u32 v50, 0x100000, v38, -1
	v_lshrrev_b32_e32 v116, v38, v30
	v_lshlrev_b32_e64 v46, v38, 0x80000
	v_add_nc_u32_e32 v38, v38, v3
	v_and_b32_e32 v30, v50, v30
	v_bfe_u32 v43, v116, 20, 1
	v_cmp_eq_u32_e64 s13, v30, v46
	v_add_nc_u32_e32 v50, -1, v43
	v_cndmask_b32_e64 v30, 0, v50, s13
	v_lshrrev_b32_e32 v50, 23, v116
	s_mov_b32 s13, exec_lo
	v_add_nc_u32_e32 v30, v30, v116
	v_xor_b32_e32 v50, 1, v50
	v_and_b32_e32 v3, 0xfffff, v30
	v_add_nc_u32_e32 v30, v3, v116
                                        ; implicit-def: $vgpr3
	v_cmpx_ne_u32_e64 v38, v50
	s_xor_b32 s13, exec_lo, s13
; %bb.365:                              ;   in Loop: Header=BB6_130 Depth=2
	v_cmp_lt_u32_e32 vcc_lo, 0xffffff, v30
	v_sub_nc_u32_e32 v3, v38, v50
	v_cndmask_b32_e64 v38, 0, 1, vcc_lo
	v_add_co_ci_u32_e64 v3, null, 0, v3, vcc_lo
	v_lshrrev_b32_e32 v30, v38, v30
; %bb.366:                              ;   in Loop: Header=BB6_130 Depth=2
	s_andn2_saveexec_b32 s13, s13
; %bb.367:                              ;   in Loop: Header=BB6_130 Depth=2
	v_bfe_u32 v3, v30, 23, 1
; %bb.368:                              ;   in Loop: Header=BB6_130 Depth=2
	s_or_b32 exec_lo, exec_lo, s13
	v_lshrrev_b32_e32 v30, 20, v30
	v_min_i32_e32 v38, 15, v3
	v_cmp_gt_i32_e32 vcc_lo, 16, v3
	v_and_b32_sdwa v2, v2, v59 dst_sel:DWORD dst_unused:UNUSED_PAD src0_sel:BYTE_3 src1_sel:DWORD
	v_lshlrev_b32_e32 v38, 3, v38
	v_cndmask_b32_e32 v30, 7, v30, vcc_lo
	v_and_b32_e32 v38, 0xf8, v38
	v_and_b32_e32 v50, 7, v30
	v_or_b32_e32 v3, v3, v30
	v_or3_b32 v2, v2, v38, v50
	v_cmp_ne_u32_e32 vcc_lo, 0, v3
	v_lshlrev_b32_e32 v2, 8, v2
	v_cndmask_b32_e32 v38, 0, v2, vcc_lo
.LBB6_369:                              ;   in Loop: Header=BB6_130 Depth=2
	s_or_b32 exec_lo, exec_lo, s28
.LBB6_370:                              ;   in Loop: Header=BB6_130 Depth=2
	s_or_b32 exec_lo, exec_lo, s27
	v_cmp_gt_i16_sdwa s27, v51, v58 src0_sel:BYTE_0 src1_sel:DWORD
	s_mov_b32 s13, 0
	s_and_saveexec_b32 s28, s27
	s_xor_b32 s27, exec_lo, s28
	s_cbranch_execz .LBB6_1456
; %bb.371:                              ;   in Loop: Header=BB6_130 Depth=2
	v_cmp_eq_u16_sdwa s29, v51, v59 src0_sel:BYTE_0 src1_sel:DWORD
	s_mov_b32 s13, -1
	s_and_saveexec_b32 s28, s29
; %bb.372:                              ;   in Loop: Header=BB6_130 Depth=2
	s_xor_b32 s13, exec_lo, -1
; %bb.373:                              ;   in Loop: Header=BB6_130 Depth=2
	s_or_b32 exec_lo, exec_lo, s28
	s_and_b32 s13, s13, exec_lo
	s_or_saveexec_b32 s27, s27
	v_mov_b32_e32 v2, 0x7f800001
	s_xor_b32 exec_lo, exec_lo, s27
	s_cbranch_execnz .LBB6_1457
.LBB6_374:                              ;   in Loop: Header=BB6_130 Depth=2
	s_or_b32 exec_lo, exec_lo, s27
	s_and_saveexec_b32 s27, s13
	s_cbranch_execz .LBB6_376
.LBB6_375:                              ;   in Loop: Header=BB6_130 Depth=2
	v_and_b32_e32 v2, 7, v51
	v_bfe_u32 v50, v51, 3, 4
	v_lshlrev_b32_e32 v116, 24, v51
	v_ffbh_u32_e32 v3, v2
	v_cmp_eq_u32_e32 vcc_lo, 0, v50
	v_min_u32_e32 v3, 32, v3
	v_subrev_nc_u32_e32 v30, 28, v3
	v_sub_nc_u32_e32 v3, 29, v3
	v_lshlrev_b32_e32 v30, v30, v51
	v_cndmask_b32_e32 v3, v50, v3, vcc_lo
	v_and_b32_e32 v30, 7, v30
	v_lshl_add_u32 v3, v3, 23, 0x3b800000
	v_cndmask_b32_e32 v2, v2, v30, vcc_lo
	v_and_b32_e32 v30, 0x80000000, v116
	v_lshlrev_b32_e32 v2, 20, v2
	v_or3_b32 v2, v30, v3, v2
.LBB6_376:                              ;   in Loop: Header=BB6_130 Depth=2
	s_or_b32 exec_lo, exec_lo, s27
	v_cmp_gt_i16_sdwa s27, v39, v58 src0_sel:BYTE_0 src1_sel:DWORD
	s_mov_b32 s13, 0
	s_and_saveexec_b32 s28, s27
	s_xor_b32 s27, exec_lo, s28
	s_cbranch_execz .LBB6_1458
; %bb.377:                              ;   in Loop: Header=BB6_130 Depth=2
	v_cmp_eq_u16_sdwa s29, v39, v59 src0_sel:BYTE_0 src1_sel:DWORD
	s_mov_b32 s13, -1
	s_and_saveexec_b32 s28, s29
; %bb.378:                              ;   in Loop: Header=BB6_130 Depth=2
	s_xor_b32 s13, exec_lo, -1
; %bb.379:                              ;   in Loop: Header=BB6_130 Depth=2
	s_or_b32 exec_lo, exec_lo, s28
	s_and_b32 s13, s13, exec_lo
	s_or_saveexec_b32 s27, s27
	v_mov_b32_e32 v3, 0x7f800001
	s_xor_b32 exec_lo, exec_lo, s27
	s_cbranch_execnz .LBB6_1459
.LBB6_380:                              ;   in Loop: Header=BB6_130 Depth=2
	s_or_b32 exec_lo, exec_lo, s27
	s_and_saveexec_b32 s27, s13
	s_cbranch_execz .LBB6_382
.LBB6_381:                              ;   in Loop: Header=BB6_130 Depth=2
	v_and_b32_e32 v3, 7, v39
	v_bfe_u32 v116, v39, 3, 4
	v_lshlrev_b32_e32 v43, 24, v39
	v_ffbh_u32_e32 v30, v3
	v_cmp_eq_u32_e32 vcc_lo, 0, v116
	v_min_u32_e32 v30, 32, v30
	v_subrev_nc_u32_e32 v50, 28, v30
	v_sub_nc_u32_e32 v30, 29, v30
	v_lshlrev_b32_e32 v50, v50, v39
	v_cndmask_b32_e32 v30, v116, v30, vcc_lo
	v_and_b32_e32 v50, 7, v50
	v_lshl_add_u32 v30, v30, 23, 0x3b800000
	v_cndmask_b32_e32 v3, v3, v50, vcc_lo
	v_and_b32_e32 v50, 0x80000000, v43
	v_lshlrev_b32_e32 v3, 20, v3
	v_or3_b32 v3, v50, v30, v3
.LBB6_382:                              ;   in Loop: Header=BB6_130 Depth=2
	s_or_b32 exec_lo, exec_lo, s27
	v_add_f32_e32 v2, v2, v3
	v_mov_b32_e32 v50, 0x80
	s_mov_b32 s27, exec_lo
	v_and_b32_e32 v3, 0x7f800000, v2
	v_cmpx_ne_u32_e32 0x7f800000, v3
	s_cbranch_execz .LBB6_390
; %bb.383:                              ;   in Loop: Header=BB6_130 Depth=2
	v_mov_b32_e32 v50, 0
	s_mov_b32 s28, exec_lo
	v_cmpx_ne_u32_e32 0, v2
	s_cbranch_execz .LBB6_389
; %bb.384:                              ;   in Loop: Header=BB6_130 Depth=2
	v_bfe_u32 v3, v2, 23, 8
	v_and_b32_e32 v30, 0x7fffff, v2
	v_sub_nc_u32_e32 v50, 0x78, v3
	v_cmp_gt_u32_e32 vcc_lo, 0x79, v3
	v_or_b32_e32 v116, 0x800000, v30
	v_cndmask_b32_e32 v50, 0, v50, vcc_lo
	v_cmp_eq_u32_e32 vcc_lo, 0, v3
	v_add_nc_u32_e32 v3, 0xffffff89, v3
	v_cndmask_b32_e64 v50, v50, 0x77, vcc_lo
	v_cndmask_b32_e32 v30, v116, v30, vcc_lo
	v_cndmask_b32_e64 v3, v3, 0xffffff8a, vcc_lo
	v_lshl_add_u32 v116, 0x100000, v50, -1
	v_lshrrev_b32_e32 v43, v50, v30
	v_lshlrev_b32_e64 v57, v50, 0x80000
	v_add_nc_u32_e32 v50, v50, v3
	v_and_b32_e32 v30, v116, v30
	v_bfe_u32 v46, v43, 20, 1
	v_cmp_eq_u32_e64 s13, v30, v57
	v_add_nc_u32_e32 v116, -1, v46
	v_cndmask_b32_e64 v30, 0, v116, s13
	v_lshrrev_b32_e32 v116, 23, v43
	s_mov_b32 s13, exec_lo
	v_add_nc_u32_e32 v30, v30, v43
	v_xor_b32_e32 v116, 1, v116
	v_and_b32_e32 v3, 0xfffff, v30
	v_add_nc_u32_e32 v30, v3, v43
                                        ; implicit-def: $vgpr3
	v_cmpx_ne_u32_e64 v50, v116
	s_xor_b32 s13, exec_lo, s13
; %bb.385:                              ;   in Loop: Header=BB6_130 Depth=2
	v_cmp_lt_u32_e32 vcc_lo, 0xffffff, v30
	v_sub_nc_u32_e32 v3, v50, v116
	v_cndmask_b32_e64 v50, 0, 1, vcc_lo
	v_add_co_ci_u32_e64 v3, null, 0, v3, vcc_lo
	v_lshrrev_b32_e32 v30, v50, v30
; %bb.386:                              ;   in Loop: Header=BB6_130 Depth=2
	s_andn2_saveexec_b32 s13, s13
; %bb.387:                              ;   in Loop: Header=BB6_130 Depth=2
	v_bfe_u32 v3, v30, 23, 1
; %bb.388:                              ;   in Loop: Header=BB6_130 Depth=2
	s_or_b32 exec_lo, exec_lo, s13
	v_lshrrev_b32_e32 v30, 20, v30
	v_min_i32_e32 v50, 15, v3
	v_cmp_gt_i32_e32 vcc_lo, 16, v3
	v_and_b32_sdwa v2, v2, v59 dst_sel:DWORD dst_unused:UNUSED_PAD src0_sel:BYTE_3 src1_sel:DWORD
	v_lshlrev_b32_e32 v50, 3, v50
	v_cndmask_b32_e32 v30, 7, v30, vcc_lo
	v_and_b32_e32 v50, 0xf8, v50
	v_and_b32_e32 v116, 7, v30
	v_or_b32_e32 v3, v3, v30
	v_or3_b32 v2, v50, v2, v116
	v_cmp_ne_u32_e32 vcc_lo, 0, v3
	v_cndmask_b32_e32 v50, 0, v2, vcc_lo
.LBB6_389:                              ;   in Loop: Header=BB6_130 Depth=2
	s_or_b32 exec_lo, exec_lo, s28
.LBB6_390:                              ;   in Loop: Header=BB6_130 Depth=2
	s_or_b32 exec_lo, exec_lo, s27
	v_cmp_gt_i16_sdwa s27, v51, v58 src0_sel:BYTE_1 src1_sel:DWORD
	s_mov_b32 s13, 0
	s_and_saveexec_b32 s28, s27
	s_xor_b32 s27, exec_lo, s28
	s_cbranch_execz .LBB6_1460
; %bb.391:                              ;   in Loop: Header=BB6_130 Depth=2
	v_cmp_eq_u16_sdwa s29, v51, v59 src0_sel:BYTE_1 src1_sel:DWORD
	s_mov_b32 s13, -1
	s_and_saveexec_b32 s28, s29
; %bb.392:                              ;   in Loop: Header=BB6_130 Depth=2
	s_xor_b32 s13, exec_lo, -1
; %bb.393:                              ;   in Loop: Header=BB6_130 Depth=2
	s_or_b32 exec_lo, exec_lo, s28
	s_and_b32 s13, s13, exec_lo
	s_or_saveexec_b32 s27, s27
	v_mov_b32_e32 v2, 0x7f800001
	s_xor_b32 exec_lo, exec_lo, s27
	s_cbranch_execnz .LBB6_1461
.LBB6_394:                              ;   in Loop: Header=BB6_130 Depth=2
	s_or_b32 exec_lo, exec_lo, s27
	s_and_saveexec_b32 s27, s13
	s_cbranch_execz .LBB6_396
.LBB6_395:                              ;   in Loop: Header=BB6_130 Depth=2
	v_and_b32_sdwa v2, v60, v51 dst_sel:DWORD dst_unused:UNUSED_PAD src0_sel:DWORD src1_sel:BYTE_1
	v_and_b32_e32 v3, 7, v2
	v_bfe_u32 v43, v2, 3, 4
	v_ffbh_u32_e32 v30, v3
	v_cmp_eq_u32_e32 vcc_lo, 0, v43
	v_min_u32_e32 v30, 32, v30
	v_subrev_nc_u32_e32 v116, 28, v30
	v_sub_nc_u32_e32 v30, 29, v30
	v_lshlrev_b32_e32 v2, v116, v2
	v_lshlrev_b32_sdwa v116, v61, v51 dst_sel:DWORD dst_unused:UNUSED_PAD src0_sel:DWORD src1_sel:BYTE_1
	v_cndmask_b32_e32 v30, v43, v30, vcc_lo
	v_and_b32_e32 v2, 7, v2
	v_lshl_add_u32 v30, v30, 23, 0x3b800000
	v_cndmask_b32_e32 v2, v3, v2, vcc_lo
	v_and_b32_e32 v3, 0x80000000, v116
	v_lshlrev_b32_e32 v2, 20, v2
	v_or3_b32 v2, v3, v30, v2
.LBB6_396:                              ;   in Loop: Header=BB6_130 Depth=2
	s_or_b32 exec_lo, exec_lo, s27
	v_cmp_gt_i16_sdwa s27, v39, v58 src0_sel:BYTE_1 src1_sel:DWORD
	s_mov_b32 s13, 0
	s_and_saveexec_b32 s28, s27
	s_xor_b32 s27, exec_lo, s28
	s_cbranch_execz .LBB6_1462
; %bb.397:                              ;   in Loop: Header=BB6_130 Depth=2
	v_cmp_eq_u16_sdwa s29, v39, v59 src0_sel:BYTE_1 src1_sel:DWORD
	s_mov_b32 s13, -1
	s_and_saveexec_b32 s28, s29
; %bb.398:                              ;   in Loop: Header=BB6_130 Depth=2
	s_xor_b32 s13, exec_lo, -1
; %bb.399:                              ;   in Loop: Header=BB6_130 Depth=2
	s_or_b32 exec_lo, exec_lo, s28
	s_and_b32 s13, s13, exec_lo
	s_or_saveexec_b32 s27, s27
	v_mov_b32_e32 v3, 0x7f800001
	s_xor_b32 exec_lo, exec_lo, s27
	s_cbranch_execnz .LBB6_1463
.LBB6_400:                              ;   in Loop: Header=BB6_130 Depth=2
	s_or_b32 exec_lo, exec_lo, s27
	s_and_saveexec_b32 s27, s13
	s_cbranch_execz .LBB6_402
.LBB6_401:                              ;   in Loop: Header=BB6_130 Depth=2
	v_and_b32_sdwa v3, v60, v39 dst_sel:DWORD dst_unused:UNUSED_PAD src0_sel:DWORD src1_sel:BYTE_1
	v_and_b32_e32 v30, 7, v3
	v_bfe_u32 v46, v3, 3, 4
	v_ffbh_u32_e32 v116, v30
	v_cmp_eq_u32_e32 vcc_lo, 0, v46
	v_min_u32_e32 v116, 32, v116
	v_subrev_nc_u32_e32 v43, 28, v116
	v_sub_nc_u32_e32 v116, 29, v116
	v_lshlrev_b32_e32 v3, v43, v3
	v_lshlrev_b32_sdwa v43, v61, v39 dst_sel:DWORD dst_unused:UNUSED_PAD src0_sel:DWORD src1_sel:BYTE_1
	v_cndmask_b32_e32 v116, v46, v116, vcc_lo
	v_and_b32_e32 v3, 7, v3
	v_lshl_add_u32 v116, v116, 23, 0x3b800000
	v_cndmask_b32_e32 v3, v30, v3, vcc_lo
	v_and_b32_e32 v30, 0x80000000, v43
	v_lshlrev_b32_e32 v3, 20, v3
	v_or3_b32 v3, v30, v116, v3
.LBB6_402:                              ;   in Loop: Header=BB6_130 Depth=2
	s_or_b32 exec_lo, exec_lo, s27
	v_add_f32_e32 v2, v2, v3
	v_mov_b32_e32 v88, 0x8000
	s_mov_b32 s27, exec_lo
	v_and_b32_e32 v3, 0x7f800000, v2
	v_cmpx_ne_u32_e32 0x7f800000, v3
	s_cbranch_execz .LBB6_410
; %bb.403:                              ;   in Loop: Header=BB6_130 Depth=2
	v_mov_b32_e32 v88, 0
	s_mov_b32 s28, exec_lo
	v_cmpx_ne_u32_e32 0, v2
	s_cbranch_execz .LBB6_409
; %bb.404:                              ;   in Loop: Header=BB6_130 Depth=2
	v_bfe_u32 v3, v2, 23, 8
	v_and_b32_e32 v30, 0x7fffff, v2
	v_sub_nc_u32_e32 v116, 0x78, v3
	v_cmp_gt_u32_e32 vcc_lo, 0x79, v3
	v_or_b32_e32 v43, 0x800000, v30
	v_cndmask_b32_e32 v116, 0, v116, vcc_lo
	v_cmp_eq_u32_e32 vcc_lo, 0, v3
	v_add_nc_u32_e32 v3, 0xffffff89, v3
	v_cndmask_b32_e64 v116, v116, 0x77, vcc_lo
	v_cndmask_b32_e32 v30, v43, v30, vcc_lo
	v_cndmask_b32_e64 v3, v3, 0xffffff8a, vcc_lo
	v_lshl_add_u32 v43, 0x100000, v116, -1
	v_lshrrev_b32_e32 v46, v116, v30
	v_lshlrev_b32_e64 v88, v116, 0x80000
	v_add_nc_u32_e32 v116, v116, v3
	v_and_b32_e32 v30, v43, v30
	v_bfe_u32 v57, v46, 20, 1
	v_cmp_eq_u32_e64 s13, v30, v88
	v_add_nc_u32_e32 v43, -1, v57
	v_cndmask_b32_e64 v30, 0, v43, s13
	v_lshrrev_b32_e32 v43, 23, v46
	s_mov_b32 s13, exec_lo
	v_add_nc_u32_e32 v30, v30, v46
	v_xor_b32_e32 v43, 1, v43
	v_and_b32_e32 v3, 0xfffff, v30
	v_add_nc_u32_e32 v30, v3, v46
                                        ; implicit-def: $vgpr3
	v_cmpx_ne_u32_e64 v116, v43
	s_xor_b32 s13, exec_lo, s13
; %bb.405:                              ;   in Loop: Header=BB6_130 Depth=2
	v_cmp_lt_u32_e32 vcc_lo, 0xffffff, v30
	v_sub_nc_u32_e32 v3, v116, v43
	v_cndmask_b32_e64 v116, 0, 1, vcc_lo
	v_add_co_ci_u32_e64 v3, null, 0, v3, vcc_lo
	v_lshrrev_b32_e32 v30, v116, v30
; %bb.406:                              ;   in Loop: Header=BB6_130 Depth=2
	s_andn2_saveexec_b32 s13, s13
; %bb.407:                              ;   in Loop: Header=BB6_130 Depth=2
	v_bfe_u32 v3, v30, 23, 1
; %bb.408:                              ;   in Loop: Header=BB6_130 Depth=2
	s_or_b32 exec_lo, exec_lo, s13
	v_lshrrev_b32_e32 v30, 20, v30
	v_min_i32_e32 v116, 15, v3
	v_cmp_gt_i32_e32 vcc_lo, 16, v3
	v_and_b32_sdwa v2, v2, v59 dst_sel:DWORD dst_unused:UNUSED_PAD src0_sel:BYTE_3 src1_sel:DWORD
	v_lshlrev_b32_e32 v116, 3, v116
	v_cndmask_b32_e32 v30, 7, v30, vcc_lo
	v_and_b32_e32 v116, 0xf8, v116
	v_and_b32_e32 v43, 7, v30
	v_or_b32_e32 v3, v3, v30
	v_or3_b32 v2, v2, v116, v43
	v_cmp_ne_u32_e32 vcc_lo, 0, v3
	v_lshlrev_b32_e32 v2, 8, v2
	v_cndmask_b32_e32 v88, 0, v2, vcc_lo
.LBB6_409:                              ;   in Loop: Header=BB6_130 Depth=2
	s_or_b32 exec_lo, exec_lo, s28
.LBB6_410:                              ;   in Loop: Header=BB6_130 Depth=2
	s_or_b32 exec_lo, exec_lo, s27
	v_and_b32_sdwa v3, v51, v62 dst_sel:DWORD dst_unused:UNUSED_PAD src0_sel:WORD_1 src1_sel:DWORD
	s_mov_b32 s13, 0
	s_mov_b32 s27, exec_lo
	v_cmpx_lt_i16_e32 0x7f, v3
	s_xor_b32 s27, exec_lo, s27
	s_cbranch_execz .LBB6_1464
; %bb.411:                              ;   in Loop: Header=BB6_130 Depth=2
	s_mov_b32 s13, -1
	s_mov_b32 s28, exec_lo
	v_cmpx_eq_u16_e32 0x80, v3
; %bb.412:                              ;   in Loop: Header=BB6_130 Depth=2
	s_xor_b32 s13, exec_lo, -1
; %bb.413:                              ;   in Loop: Header=BB6_130 Depth=2
	s_or_b32 exec_lo, exec_lo, s28
	s_and_b32 s13, s13, exec_lo
                                        ; implicit-def: $vgpr3
	s_or_saveexec_b32 s27, s27
	v_mov_b32_e32 v2, 0x7f800001
	s_xor_b32 exec_lo, exec_lo, s27
	s_cbranch_execnz .LBB6_1465
.LBB6_414:                              ;   in Loop: Header=BB6_130 Depth=2
	s_or_b32 exec_lo, exec_lo, s27
	s_and_saveexec_b32 s27, s13
	s_cbranch_execz .LBB6_416
.LBB6_415:                              ;   in Loop: Header=BB6_130 Depth=2
	v_bfe_u32 v2, v51, 16, 3
	v_bfe_u32 v116, v51, 19, 4
	v_lshlrev_b32_e32 v43, 8, v51
	v_ffbh_u32_e32 v3, v2
	v_cmp_eq_u32_e32 vcc_lo, 0, v116
	v_min_u32_e32 v3, 32, v3
	v_subrev_nc_u32_e32 v30, 28, v3
	v_sub_nc_u32_e32 v3, 29, v3
	v_lshlrev_b32_sdwa v30, v30, v51 dst_sel:DWORD dst_unused:UNUSED_PAD src0_sel:DWORD src1_sel:WORD_1
	v_cndmask_b32_e32 v3, v116, v3, vcc_lo
	v_and_b32_e32 v30, 7, v30
	v_lshl_add_u32 v3, v3, 23, 0x3b800000
	v_cndmask_b32_e32 v2, v2, v30, vcc_lo
	v_and_b32_e32 v30, 0x80000000, v43
	v_lshlrev_b32_e32 v2, 20, v2
	v_or3_b32 v2, v30, v3, v2
.LBB6_416:                              ;   in Loop: Header=BB6_130 Depth=2
	s_or_b32 exec_lo, exec_lo, s27
	v_and_b32_sdwa v30, v39, v62 dst_sel:DWORD dst_unused:UNUSED_PAD src0_sel:WORD_1 src1_sel:DWORD
	s_mov_b32 s13, 0
	s_mov_b32 s27, exec_lo
	v_cmpx_lt_i16_e32 0x7f, v30
	s_xor_b32 s27, exec_lo, s27
	s_cbranch_execz .LBB6_1466
; %bb.417:                              ;   in Loop: Header=BB6_130 Depth=2
	s_mov_b32 s13, -1
	s_mov_b32 s28, exec_lo
	v_cmpx_eq_u16_e32 0x80, v30
; %bb.418:                              ;   in Loop: Header=BB6_130 Depth=2
	s_xor_b32 s13, exec_lo, -1
; %bb.419:                              ;   in Loop: Header=BB6_130 Depth=2
	s_or_b32 exec_lo, exec_lo, s28
	s_and_b32 s13, s13, exec_lo
                                        ; implicit-def: $vgpr30
	s_or_saveexec_b32 s27, s27
	v_mov_b32_e32 v3, 0x7f800001
	s_xor_b32 exec_lo, exec_lo, s27
	s_cbranch_execnz .LBB6_1467
.LBB6_420:                              ;   in Loop: Header=BB6_130 Depth=2
	s_or_b32 exec_lo, exec_lo, s27
	s_and_saveexec_b32 s27, s13
	s_cbranch_execz .LBB6_422
.LBB6_421:                              ;   in Loop: Header=BB6_130 Depth=2
	v_bfe_u32 v3, v39, 16, 3
	v_bfe_u32 v43, v39, 19, 4
	v_lshlrev_b32_e32 v46, 8, v39
	v_ffbh_u32_e32 v30, v3
	v_cmp_eq_u32_e32 vcc_lo, 0, v43
	v_min_u32_e32 v30, 32, v30
	v_subrev_nc_u32_e32 v116, 28, v30
	v_sub_nc_u32_e32 v30, 29, v30
	v_lshlrev_b32_sdwa v116, v116, v39 dst_sel:DWORD dst_unused:UNUSED_PAD src0_sel:DWORD src1_sel:WORD_1
	v_cndmask_b32_e32 v30, v43, v30, vcc_lo
	v_and_b32_e32 v116, 7, v116
	v_lshl_add_u32 v30, v30, 23, 0x3b800000
	v_cndmask_b32_e32 v3, v3, v116, vcc_lo
	v_and_b32_e32 v116, 0x80000000, v46
	v_lshlrev_b32_e32 v3, 20, v3
	v_or3_b32 v3, v116, v30, v3
.LBB6_422:                              ;   in Loop: Header=BB6_130 Depth=2
	s_or_b32 exec_lo, exec_lo, s27
	v_add_f32_e32 v2, v2, v3
	v_mov_b32_e32 v89, 0x80
	s_mov_b32 s27, exec_lo
	v_and_b32_e32 v3, 0x7f800000, v2
	v_cmpx_ne_u32_e32 0x7f800000, v3
	s_cbranch_execz .LBB6_430
; %bb.423:                              ;   in Loop: Header=BB6_130 Depth=2
	v_mov_b32_e32 v89, 0
	s_mov_b32 s28, exec_lo
	v_cmpx_ne_u32_e32 0, v2
	s_cbranch_execz .LBB6_429
; %bb.424:                              ;   in Loop: Header=BB6_130 Depth=2
	v_bfe_u32 v3, v2, 23, 8
	v_and_b32_e32 v30, 0x7fffff, v2
	v_sub_nc_u32_e32 v116, 0x78, v3
	v_cmp_gt_u32_e32 vcc_lo, 0x79, v3
	v_or_b32_e32 v43, 0x800000, v30
	v_cndmask_b32_e32 v116, 0, v116, vcc_lo
	v_cmp_eq_u32_e32 vcc_lo, 0, v3
	v_add_nc_u32_e32 v3, 0xffffff89, v3
	v_cndmask_b32_e64 v116, v116, 0x77, vcc_lo
	v_cndmask_b32_e32 v30, v43, v30, vcc_lo
	v_cndmask_b32_e64 v3, v3, 0xffffff8a, vcc_lo
	v_lshl_add_u32 v43, 0x100000, v116, -1
	v_lshrrev_b32_e32 v46, v116, v30
	v_lshlrev_b32_e64 v89, v116, 0x80000
	v_add_nc_u32_e32 v116, v116, v3
	v_and_b32_e32 v30, v43, v30
	v_bfe_u32 v57, v46, 20, 1
	v_cmp_eq_u32_e64 s13, v30, v89
	v_add_nc_u32_e32 v43, -1, v57
	v_cndmask_b32_e64 v30, 0, v43, s13
	v_lshrrev_b32_e32 v43, 23, v46
	s_mov_b32 s13, exec_lo
	v_add_nc_u32_e32 v30, v30, v46
	v_xor_b32_e32 v43, 1, v43
	v_and_b32_e32 v3, 0xfffff, v30
	v_add_nc_u32_e32 v30, v3, v46
                                        ; implicit-def: $vgpr3
	v_cmpx_ne_u32_e64 v116, v43
	s_xor_b32 s13, exec_lo, s13
; %bb.425:                              ;   in Loop: Header=BB6_130 Depth=2
	v_cmp_lt_u32_e32 vcc_lo, 0xffffff, v30
	v_sub_nc_u32_e32 v3, v116, v43
	v_cndmask_b32_e64 v116, 0, 1, vcc_lo
	v_add_co_ci_u32_e64 v3, null, 0, v3, vcc_lo
	v_lshrrev_b32_e32 v30, v116, v30
; %bb.426:                              ;   in Loop: Header=BB6_130 Depth=2
	s_andn2_saveexec_b32 s13, s13
; %bb.427:                              ;   in Loop: Header=BB6_130 Depth=2
	v_bfe_u32 v3, v30, 23, 1
; %bb.428:                              ;   in Loop: Header=BB6_130 Depth=2
	s_or_b32 exec_lo, exec_lo, s13
	v_lshrrev_b32_e32 v30, 20, v30
	v_min_i32_e32 v116, 15, v3
	v_cmp_gt_i32_e32 vcc_lo, 16, v3
	v_and_b32_sdwa v2, v2, v59 dst_sel:DWORD dst_unused:UNUSED_PAD src0_sel:BYTE_3 src1_sel:DWORD
	v_lshlrev_b32_e32 v116, 3, v116
	v_cndmask_b32_e32 v30, 7, v30, vcc_lo
	v_and_b32_e32 v116, 0xf8, v116
	v_and_b32_e32 v43, 7, v30
	v_or_b32_e32 v3, v3, v30
	v_or3_b32 v2, v116, v2, v43
	v_cmp_ne_u32_e32 vcc_lo, 0, v3
	v_cndmask_b32_e32 v89, 0, v2, vcc_lo
.LBB6_429:                              ;   in Loop: Header=BB6_130 Depth=2
	s_or_b32 exec_lo, exec_lo, s28
.LBB6_430:                              ;   in Loop: Header=BB6_130 Depth=2
	s_or_b32 exec_lo, exec_lo, s27
	v_cmp_gt_i16_sdwa s27, v51, v58 src0_sel:BYTE_3 src1_sel:DWORD
	s_mov_b32 s13, 0
	s_and_saveexec_b32 s28, s27
	s_xor_b32 s27, exec_lo, s28
	s_cbranch_execz .LBB6_1468
; %bb.431:                              ;   in Loop: Header=BB6_130 Depth=2
	v_cmp_eq_u16_sdwa s29, v51, v59 src0_sel:BYTE_3 src1_sel:DWORD
	s_mov_b32 s13, -1
	s_and_saveexec_b32 s28, s29
; %bb.432:                              ;   in Loop: Header=BB6_130 Depth=2
	s_xor_b32 s13, exec_lo, -1
; %bb.433:                              ;   in Loop: Header=BB6_130 Depth=2
	s_or_b32 exec_lo, exec_lo, s28
	s_and_b32 s13, s13, exec_lo
	s_or_saveexec_b32 s27, s27
	v_mov_b32_e32 v2, 0x7f800001
	s_xor_b32 exec_lo, exec_lo, s27
	s_cbranch_execnz .LBB6_1469
.LBB6_434:                              ;   in Loop: Header=BB6_130 Depth=2
	s_or_b32 exec_lo, exec_lo, s27
	s_and_saveexec_b32 s27, s13
	s_cbranch_execz .LBB6_436
.LBB6_435:                              ;   in Loop: Header=BB6_130 Depth=2
	v_bfe_u32 v2, v51, 24, 3
	v_bfe_u32 v116, v51, 27, 4
	v_ffbh_u32_e32 v3, v2
	v_cmp_eq_u32_e32 vcc_lo, 0, v116
	v_min_u32_e32 v3, 32, v3
	v_subrev_nc_u32_e32 v30, 28, v3
	v_sub_nc_u32_e32 v3, 29, v3
	v_lshlrev_b32_sdwa v30, v30, v51 dst_sel:DWORD dst_unused:UNUSED_PAD src0_sel:DWORD src1_sel:BYTE_3
	v_cndmask_b32_e32 v3, v116, v3, vcc_lo
	v_and_b32_e32 v30, 7, v30
	v_lshl_add_u32 v3, v3, 23, 0x3b800000
	v_cndmask_b32_e32 v2, v2, v30, vcc_lo
	v_and_b32_e32 v30, 0x80000000, v51
	v_lshlrev_b32_e32 v2, 20, v2
	v_or3_b32 v2, v30, v3, v2
.LBB6_436:                              ;   in Loop: Header=BB6_130 Depth=2
	s_or_b32 exec_lo, exec_lo, s27
	v_cmp_gt_i16_sdwa s27, v39, v58 src0_sel:BYTE_3 src1_sel:DWORD
	s_mov_b32 s13, 0
	s_and_saveexec_b32 s28, s27
	s_xor_b32 s27, exec_lo, s28
	s_cbranch_execz .LBB6_1470
; %bb.437:                              ;   in Loop: Header=BB6_130 Depth=2
	v_cmp_eq_u16_sdwa s29, v39, v59 src0_sel:BYTE_3 src1_sel:DWORD
	s_mov_b32 s13, -1
	s_and_saveexec_b32 s28, s29
; %bb.438:                              ;   in Loop: Header=BB6_130 Depth=2
	s_xor_b32 s13, exec_lo, -1
; %bb.439:                              ;   in Loop: Header=BB6_130 Depth=2
	s_or_b32 exec_lo, exec_lo, s28
	s_and_b32 s13, s13, exec_lo
	s_or_saveexec_b32 s27, s27
	v_mov_b32_e32 v3, 0x7f800001
	s_xor_b32 exec_lo, exec_lo, s27
	s_cbranch_execnz .LBB6_1471
.LBB6_440:                              ;   in Loop: Header=BB6_130 Depth=2
	s_or_b32 exec_lo, exec_lo, s27
	s_and_saveexec_b32 s27, s13
	s_cbranch_execz .LBB6_442
.LBB6_441:                              ;   in Loop: Header=BB6_130 Depth=2
	v_bfe_u32 v3, v39, 24, 3
	v_bfe_u32 v116, v39, 27, 4
	v_ffbh_u32_e32 v30, v3
	v_cmp_eq_u32_e32 vcc_lo, 0, v116
	v_min_u32_e32 v30, 32, v30
	v_subrev_nc_u32_e32 v51, 28, v30
	v_sub_nc_u32_e32 v30, 29, v30
	v_lshlrev_b32_sdwa v51, v51, v39 dst_sel:DWORD dst_unused:UNUSED_PAD src0_sel:DWORD src1_sel:BYTE_3
	v_cndmask_b32_e32 v30, v116, v30, vcc_lo
	v_and_b32_e32 v39, 0x80000000, v39
	v_and_b32_e32 v51, 7, v51
	v_lshl_add_u32 v30, v30, 23, 0x3b800000
	v_cndmask_b32_e32 v3, v3, v51, vcc_lo
	v_lshlrev_b32_e32 v3, 20, v3
	v_or3_b32 v3, v39, v30, v3
.LBB6_442:                              ;   in Loop: Header=BB6_130 Depth=2
	s_or_b32 exec_lo, exec_lo, s27
	v_add_f32_e32 v2, v2, v3
	v_mov_b32_e32 v39, 0x8000
	s_mov_b32 s27, exec_lo
	v_and_b32_e32 v3, 0x7f800000, v2
	v_cmpx_ne_u32_e32 0x7f800000, v3
	s_cbranch_execz .LBB6_450
; %bb.443:                              ;   in Loop: Header=BB6_130 Depth=2
	v_mov_b32_e32 v39, 0
	s_mov_b32 s28, exec_lo
	v_cmpx_ne_u32_e32 0, v2
	s_cbranch_execz .LBB6_449
; %bb.444:                              ;   in Loop: Header=BB6_130 Depth=2
	v_bfe_u32 v3, v2, 23, 8
	v_and_b32_e32 v30, 0x7fffff, v2
	v_sub_nc_u32_e32 v39, 0x78, v3
	v_cmp_gt_u32_e32 vcc_lo, 0x79, v3
	v_or_b32_e32 v51, 0x800000, v30
	v_cndmask_b32_e32 v39, 0, v39, vcc_lo
	v_cmp_eq_u32_e32 vcc_lo, 0, v3
	v_add_nc_u32_e32 v3, 0xffffff89, v3
	v_cndmask_b32_e64 v39, v39, 0x77, vcc_lo
	v_cndmask_b32_e32 v30, v51, v30, vcc_lo
	v_cndmask_b32_e64 v3, v3, 0xffffff8a, vcc_lo
	v_lshl_add_u32 v51, 0x100000, v39, -1
	v_lshrrev_b32_e32 v116, v39, v30
	v_lshlrev_b32_e64 v46, v39, 0x80000
	v_add_nc_u32_e32 v39, v39, v3
	v_and_b32_e32 v30, v51, v30
	v_bfe_u32 v43, v116, 20, 1
	v_cmp_eq_u32_e64 s13, v30, v46
	v_add_nc_u32_e32 v51, -1, v43
	v_cndmask_b32_e64 v30, 0, v51, s13
	v_lshrrev_b32_e32 v51, 23, v116
	s_mov_b32 s13, exec_lo
	v_add_nc_u32_e32 v30, v30, v116
	v_xor_b32_e32 v51, 1, v51
	v_and_b32_e32 v3, 0xfffff, v30
	v_add_nc_u32_e32 v30, v3, v116
                                        ; implicit-def: $vgpr3
	v_cmpx_ne_u32_e64 v39, v51
	s_xor_b32 s13, exec_lo, s13
; %bb.445:                              ;   in Loop: Header=BB6_130 Depth=2
	v_cmp_lt_u32_e32 vcc_lo, 0xffffff, v30
	v_sub_nc_u32_e32 v3, v39, v51
	v_cndmask_b32_e64 v39, 0, 1, vcc_lo
	v_add_co_ci_u32_e64 v3, null, 0, v3, vcc_lo
	v_lshrrev_b32_e32 v30, v39, v30
; %bb.446:                              ;   in Loop: Header=BB6_130 Depth=2
	s_andn2_saveexec_b32 s13, s13
; %bb.447:                              ;   in Loop: Header=BB6_130 Depth=2
	v_bfe_u32 v3, v30, 23, 1
; %bb.448:                              ;   in Loop: Header=BB6_130 Depth=2
	s_or_b32 exec_lo, exec_lo, s13
	v_lshrrev_b32_e32 v30, 20, v30
	v_min_i32_e32 v39, 15, v3
	v_cmp_gt_i32_e32 vcc_lo, 16, v3
	v_and_b32_sdwa v2, v2, v59 dst_sel:DWORD dst_unused:UNUSED_PAD src0_sel:BYTE_3 src1_sel:DWORD
	v_lshlrev_b32_e32 v39, 3, v39
	v_cndmask_b32_e32 v30, 7, v30, vcc_lo
	v_and_b32_e32 v39, 0xf8, v39
	v_and_b32_e32 v51, 7, v30
	v_or_b32_e32 v3, v3, v30
	v_or3_b32 v2, v2, v39, v51
	v_cmp_ne_u32_e32 vcc_lo, 0, v3
	v_lshlrev_b32_e32 v2, 8, v2
	v_cndmask_b32_e32 v39, 0, v2, vcc_lo
.LBB6_449:                              ;   in Loop: Header=BB6_130 Depth=2
	s_or_b32 exec_lo, exec_lo, s28
.LBB6_450:                              ;   in Loop: Header=BB6_130 Depth=2
	s_or_b32 exec_lo, exec_lo, s27
	v_cmp_gt_i16_sdwa s27, v32, v58 src0_sel:BYTE_0 src1_sel:DWORD
	s_mov_b32 s13, 0
	s_and_saveexec_b32 s28, s27
	s_xor_b32 s27, exec_lo, s28
	s_cbranch_execz .LBB6_1472
; %bb.451:                              ;   in Loop: Header=BB6_130 Depth=2
	v_cmp_eq_u16_sdwa s29, v32, v59 src0_sel:BYTE_0 src1_sel:DWORD
	s_mov_b32 s13, -1
	s_and_saveexec_b32 s28, s29
; %bb.452:                              ;   in Loop: Header=BB6_130 Depth=2
	s_xor_b32 s13, exec_lo, -1
; %bb.453:                              ;   in Loop: Header=BB6_130 Depth=2
	s_or_b32 exec_lo, exec_lo, s28
	s_and_b32 s13, s13, exec_lo
	s_or_saveexec_b32 s27, s27
	v_mov_b32_e32 v2, 0x7f800001
	s_xor_b32 exec_lo, exec_lo, s27
	s_cbranch_execnz .LBB6_1473
.LBB6_454:                              ;   in Loop: Header=BB6_130 Depth=2
	s_or_b32 exec_lo, exec_lo, s27
	s_and_saveexec_b32 s27, s13
	s_cbranch_execz .LBB6_456
.LBB6_455:                              ;   in Loop: Header=BB6_130 Depth=2
	v_and_b32_e32 v2, 7, v32
	v_bfe_u32 v51, v32, 3, 4
	v_lshlrev_b32_e32 v116, 24, v32
	v_ffbh_u32_e32 v3, v2
	v_cmp_eq_u32_e32 vcc_lo, 0, v51
	v_min_u32_e32 v3, 32, v3
	v_subrev_nc_u32_e32 v30, 28, v3
	v_sub_nc_u32_e32 v3, 29, v3
	v_lshlrev_b32_e32 v30, v30, v32
	v_cndmask_b32_e32 v3, v51, v3, vcc_lo
	v_and_b32_e32 v30, 7, v30
	v_lshl_add_u32 v3, v3, 23, 0x3b800000
	v_cndmask_b32_e32 v2, v2, v30, vcc_lo
	v_and_b32_e32 v30, 0x80000000, v116
	v_lshlrev_b32_e32 v2, 20, v2
	v_or3_b32 v2, v30, v3, v2
.LBB6_456:                              ;   in Loop: Header=BB6_130 Depth=2
	s_or_b32 exec_lo, exec_lo, s27
	s_waitcnt vmcnt(2)
	v_cmp_gt_i16_sdwa s27, v26, v58 src0_sel:BYTE_0 src1_sel:DWORD
	s_mov_b32 s13, 0
	s_and_saveexec_b32 s28, s27
	s_xor_b32 s27, exec_lo, s28
	s_cbranch_execz .LBB6_1474
; %bb.457:                              ;   in Loop: Header=BB6_130 Depth=2
	v_cmp_eq_u16_sdwa s29, v26, v59 src0_sel:BYTE_0 src1_sel:DWORD
	s_mov_b32 s13, -1
	s_and_saveexec_b32 s28, s29
; %bb.458:                              ;   in Loop: Header=BB6_130 Depth=2
	s_xor_b32 s13, exec_lo, -1
; %bb.459:                              ;   in Loop: Header=BB6_130 Depth=2
	s_or_b32 exec_lo, exec_lo, s28
	s_and_b32 s13, s13, exec_lo
	s_or_saveexec_b32 s27, s27
	v_mov_b32_e32 v3, 0x7f800001
	s_xor_b32 exec_lo, exec_lo, s27
	s_cbranch_execnz .LBB6_1475
.LBB6_460:                              ;   in Loop: Header=BB6_130 Depth=2
	s_or_b32 exec_lo, exec_lo, s27
	s_and_saveexec_b32 s27, s13
	s_cbranch_execz .LBB6_462
.LBB6_461:                              ;   in Loop: Header=BB6_130 Depth=2
	v_and_b32_e32 v3, 7, v26
	v_bfe_u32 v116, v26, 3, 4
	v_lshlrev_b32_e32 v43, 24, v26
	v_ffbh_u32_e32 v30, v3
	v_cmp_eq_u32_e32 vcc_lo, 0, v116
	v_min_u32_e32 v30, 32, v30
	v_subrev_nc_u32_e32 v51, 28, v30
	v_sub_nc_u32_e32 v30, 29, v30
	v_lshlrev_b32_e32 v51, v51, v26
	v_cndmask_b32_e32 v30, v116, v30, vcc_lo
	v_and_b32_e32 v51, 7, v51
	v_lshl_add_u32 v30, v30, 23, 0x3b800000
	v_cndmask_b32_e32 v3, v3, v51, vcc_lo
	v_and_b32_e32 v51, 0x80000000, v43
	v_lshlrev_b32_e32 v3, 20, v3
	v_or3_b32 v3, v51, v30, v3
.LBB6_462:                              ;   in Loop: Header=BB6_130 Depth=2
	s_or_b32 exec_lo, exec_lo, s27
	v_add_f32_e32 v2, v2, v3
	v_mov_b32_e32 v51, 0x80
	s_mov_b32 s27, exec_lo
	v_and_b32_e32 v3, 0x7f800000, v2
	v_cmpx_ne_u32_e32 0x7f800000, v3
	s_cbranch_execz .LBB6_470
; %bb.463:                              ;   in Loop: Header=BB6_130 Depth=2
	v_mov_b32_e32 v51, 0
	s_mov_b32 s28, exec_lo
	v_cmpx_ne_u32_e32 0, v2
	s_cbranch_execz .LBB6_469
; %bb.464:                              ;   in Loop: Header=BB6_130 Depth=2
	v_bfe_u32 v3, v2, 23, 8
	v_and_b32_e32 v30, 0x7fffff, v2
	v_sub_nc_u32_e32 v51, 0x78, v3
	v_cmp_gt_u32_e32 vcc_lo, 0x79, v3
	v_or_b32_e32 v116, 0x800000, v30
	v_cndmask_b32_e32 v51, 0, v51, vcc_lo
	v_cmp_eq_u32_e32 vcc_lo, 0, v3
	v_add_nc_u32_e32 v3, 0xffffff89, v3
	v_cndmask_b32_e64 v51, v51, 0x77, vcc_lo
	v_cndmask_b32_e32 v30, v116, v30, vcc_lo
	v_cndmask_b32_e64 v3, v3, 0xffffff8a, vcc_lo
	v_lshl_add_u32 v116, 0x100000, v51, -1
	v_lshrrev_b32_e32 v43, v51, v30
	v_lshlrev_b32_e64 v57, v51, 0x80000
	v_add_nc_u32_e32 v51, v51, v3
	v_and_b32_e32 v30, v116, v30
	v_bfe_u32 v46, v43, 20, 1
	v_cmp_eq_u32_e64 s13, v30, v57
	v_add_nc_u32_e32 v116, -1, v46
	v_cndmask_b32_e64 v30, 0, v116, s13
	v_lshrrev_b32_e32 v116, 23, v43
	s_mov_b32 s13, exec_lo
	v_add_nc_u32_e32 v30, v30, v43
	v_xor_b32_e32 v116, 1, v116
	v_and_b32_e32 v3, 0xfffff, v30
	v_add_nc_u32_e32 v30, v3, v43
                                        ; implicit-def: $vgpr3
	v_cmpx_ne_u32_e64 v51, v116
	s_xor_b32 s13, exec_lo, s13
; %bb.465:                              ;   in Loop: Header=BB6_130 Depth=2
	v_cmp_lt_u32_e32 vcc_lo, 0xffffff, v30
	v_sub_nc_u32_e32 v3, v51, v116
	v_cndmask_b32_e64 v51, 0, 1, vcc_lo
	v_add_co_ci_u32_e64 v3, null, 0, v3, vcc_lo
	v_lshrrev_b32_e32 v30, v51, v30
; %bb.466:                              ;   in Loop: Header=BB6_130 Depth=2
	s_andn2_saveexec_b32 s13, s13
; %bb.467:                              ;   in Loop: Header=BB6_130 Depth=2
	v_bfe_u32 v3, v30, 23, 1
; %bb.468:                              ;   in Loop: Header=BB6_130 Depth=2
	s_or_b32 exec_lo, exec_lo, s13
	v_lshrrev_b32_e32 v30, 20, v30
	v_min_i32_e32 v51, 15, v3
	v_cmp_gt_i32_e32 vcc_lo, 16, v3
	v_and_b32_sdwa v2, v2, v59 dst_sel:DWORD dst_unused:UNUSED_PAD src0_sel:BYTE_3 src1_sel:DWORD
	v_lshlrev_b32_e32 v51, 3, v51
	v_cndmask_b32_e32 v30, 7, v30, vcc_lo
	v_and_b32_e32 v51, 0xf8, v51
	v_and_b32_e32 v116, 7, v30
	v_or_b32_e32 v3, v3, v30
	v_or3_b32 v2, v51, v2, v116
	v_cmp_ne_u32_e32 vcc_lo, 0, v3
	v_cndmask_b32_e32 v51, 0, v2, vcc_lo
.LBB6_469:                              ;   in Loop: Header=BB6_130 Depth=2
	s_or_b32 exec_lo, exec_lo, s28
.LBB6_470:                              ;   in Loop: Header=BB6_130 Depth=2
	s_or_b32 exec_lo, exec_lo, s27
	v_cmp_gt_i16_sdwa s27, v32, v58 src0_sel:BYTE_1 src1_sel:DWORD
	s_mov_b32 s13, 0
	s_and_saveexec_b32 s28, s27
	s_xor_b32 s27, exec_lo, s28
	s_cbranch_execz .LBB6_1476
; %bb.471:                              ;   in Loop: Header=BB6_130 Depth=2
	v_cmp_eq_u16_sdwa s29, v32, v59 src0_sel:BYTE_1 src1_sel:DWORD
	s_mov_b32 s13, -1
	s_and_saveexec_b32 s28, s29
; %bb.472:                              ;   in Loop: Header=BB6_130 Depth=2
	s_xor_b32 s13, exec_lo, -1
; %bb.473:                              ;   in Loop: Header=BB6_130 Depth=2
	s_or_b32 exec_lo, exec_lo, s28
	s_and_b32 s13, s13, exec_lo
	s_or_saveexec_b32 s27, s27
	v_mov_b32_e32 v2, 0x7f800001
	s_xor_b32 exec_lo, exec_lo, s27
	s_cbranch_execnz .LBB6_1477
.LBB6_474:                              ;   in Loop: Header=BB6_130 Depth=2
	s_or_b32 exec_lo, exec_lo, s27
	s_and_saveexec_b32 s27, s13
	s_cbranch_execz .LBB6_476
.LBB6_475:                              ;   in Loop: Header=BB6_130 Depth=2
	v_and_b32_sdwa v2, v60, v32 dst_sel:DWORD dst_unused:UNUSED_PAD src0_sel:DWORD src1_sel:BYTE_1
	v_and_b32_e32 v3, 7, v2
	v_bfe_u32 v43, v2, 3, 4
	v_ffbh_u32_e32 v30, v3
	v_cmp_eq_u32_e32 vcc_lo, 0, v43
	v_min_u32_e32 v30, 32, v30
	v_subrev_nc_u32_e32 v116, 28, v30
	v_sub_nc_u32_e32 v30, 29, v30
	v_lshlrev_b32_e32 v2, v116, v2
	v_lshlrev_b32_sdwa v116, v61, v32 dst_sel:DWORD dst_unused:UNUSED_PAD src0_sel:DWORD src1_sel:BYTE_1
	v_cndmask_b32_e32 v30, v43, v30, vcc_lo
	v_and_b32_e32 v2, 7, v2
	v_lshl_add_u32 v30, v30, 23, 0x3b800000
	v_cndmask_b32_e32 v2, v3, v2, vcc_lo
	v_and_b32_e32 v3, 0x80000000, v116
	v_lshlrev_b32_e32 v2, 20, v2
	v_or3_b32 v2, v3, v30, v2
.LBB6_476:                              ;   in Loop: Header=BB6_130 Depth=2
	s_or_b32 exec_lo, exec_lo, s27
	v_cmp_gt_i16_sdwa s27, v26, v58 src0_sel:BYTE_1 src1_sel:DWORD
	s_mov_b32 s13, 0
	s_and_saveexec_b32 s28, s27
	s_xor_b32 s27, exec_lo, s28
	s_cbranch_execz .LBB6_1478
; %bb.477:                              ;   in Loop: Header=BB6_130 Depth=2
	v_cmp_eq_u16_sdwa s29, v26, v59 src0_sel:BYTE_1 src1_sel:DWORD
	s_mov_b32 s13, -1
	s_and_saveexec_b32 s28, s29
; %bb.478:                              ;   in Loop: Header=BB6_130 Depth=2
	s_xor_b32 s13, exec_lo, -1
; %bb.479:                              ;   in Loop: Header=BB6_130 Depth=2
	s_or_b32 exec_lo, exec_lo, s28
	s_and_b32 s13, s13, exec_lo
	s_or_saveexec_b32 s27, s27
	v_mov_b32_e32 v3, 0x7f800001
	s_xor_b32 exec_lo, exec_lo, s27
	s_cbranch_execnz .LBB6_1479
.LBB6_480:                              ;   in Loop: Header=BB6_130 Depth=2
	s_or_b32 exec_lo, exec_lo, s27
	s_and_saveexec_b32 s27, s13
	s_cbranch_execz .LBB6_482
.LBB6_481:                              ;   in Loop: Header=BB6_130 Depth=2
	v_and_b32_sdwa v3, v60, v26 dst_sel:DWORD dst_unused:UNUSED_PAD src0_sel:DWORD src1_sel:BYTE_1
	v_and_b32_e32 v30, 7, v3
	v_bfe_u32 v46, v3, 3, 4
	v_ffbh_u32_e32 v116, v30
	v_cmp_eq_u32_e32 vcc_lo, 0, v46
	v_min_u32_e32 v116, 32, v116
	v_subrev_nc_u32_e32 v43, 28, v116
	v_sub_nc_u32_e32 v116, 29, v116
	v_lshlrev_b32_e32 v3, v43, v3
	v_lshlrev_b32_sdwa v43, v61, v26 dst_sel:DWORD dst_unused:UNUSED_PAD src0_sel:DWORD src1_sel:BYTE_1
	v_cndmask_b32_e32 v116, v46, v116, vcc_lo
	v_and_b32_e32 v3, 7, v3
	v_lshl_add_u32 v116, v116, 23, 0x3b800000
	v_cndmask_b32_e32 v3, v30, v3, vcc_lo
	v_and_b32_e32 v30, 0x80000000, v43
	v_lshlrev_b32_e32 v3, 20, v3
	v_or3_b32 v3, v30, v116, v3
.LBB6_482:                              ;   in Loop: Header=BB6_130 Depth=2
	s_or_b32 exec_lo, exec_lo, s27
	v_add_f32_e32 v2, v2, v3
	v_mov_b32_e32 v90, 0x8000
	s_mov_b32 s27, exec_lo
	v_and_b32_e32 v3, 0x7f800000, v2
	v_cmpx_ne_u32_e32 0x7f800000, v3
	s_cbranch_execz .LBB6_490
; %bb.483:                              ;   in Loop: Header=BB6_130 Depth=2
	v_mov_b32_e32 v90, 0
	s_mov_b32 s28, exec_lo
	v_cmpx_ne_u32_e32 0, v2
	s_cbranch_execz .LBB6_489
; %bb.484:                              ;   in Loop: Header=BB6_130 Depth=2
	v_bfe_u32 v3, v2, 23, 8
	v_and_b32_e32 v30, 0x7fffff, v2
	v_sub_nc_u32_e32 v116, 0x78, v3
	v_cmp_gt_u32_e32 vcc_lo, 0x79, v3
	v_or_b32_e32 v43, 0x800000, v30
	v_cndmask_b32_e32 v116, 0, v116, vcc_lo
	v_cmp_eq_u32_e32 vcc_lo, 0, v3
	v_add_nc_u32_e32 v3, 0xffffff89, v3
	v_cndmask_b32_e64 v116, v116, 0x77, vcc_lo
	v_cndmask_b32_e32 v30, v43, v30, vcc_lo
	v_cndmask_b32_e64 v3, v3, 0xffffff8a, vcc_lo
	v_lshl_add_u32 v43, 0x100000, v116, -1
	v_lshrrev_b32_e32 v46, v116, v30
	v_lshlrev_b32_e64 v90, v116, 0x80000
	v_add_nc_u32_e32 v116, v116, v3
	v_and_b32_e32 v30, v43, v30
	v_bfe_u32 v57, v46, 20, 1
	v_cmp_eq_u32_e64 s13, v30, v90
	v_add_nc_u32_e32 v43, -1, v57
	v_cndmask_b32_e64 v30, 0, v43, s13
	v_lshrrev_b32_e32 v43, 23, v46
	s_mov_b32 s13, exec_lo
	v_add_nc_u32_e32 v30, v30, v46
	v_xor_b32_e32 v43, 1, v43
	v_and_b32_e32 v3, 0xfffff, v30
	v_add_nc_u32_e32 v30, v3, v46
                                        ; implicit-def: $vgpr3
	v_cmpx_ne_u32_e64 v116, v43
	s_xor_b32 s13, exec_lo, s13
; %bb.485:                              ;   in Loop: Header=BB6_130 Depth=2
	v_cmp_lt_u32_e32 vcc_lo, 0xffffff, v30
	v_sub_nc_u32_e32 v3, v116, v43
	v_cndmask_b32_e64 v116, 0, 1, vcc_lo
	v_add_co_ci_u32_e64 v3, null, 0, v3, vcc_lo
	v_lshrrev_b32_e32 v30, v116, v30
; %bb.486:                              ;   in Loop: Header=BB6_130 Depth=2
	s_andn2_saveexec_b32 s13, s13
; %bb.487:                              ;   in Loop: Header=BB6_130 Depth=2
	v_bfe_u32 v3, v30, 23, 1
; %bb.488:                              ;   in Loop: Header=BB6_130 Depth=2
	s_or_b32 exec_lo, exec_lo, s13
	v_lshrrev_b32_e32 v30, 20, v30
	v_min_i32_e32 v116, 15, v3
	v_cmp_gt_i32_e32 vcc_lo, 16, v3
	v_and_b32_sdwa v2, v2, v59 dst_sel:DWORD dst_unused:UNUSED_PAD src0_sel:BYTE_3 src1_sel:DWORD
	v_lshlrev_b32_e32 v116, 3, v116
	v_cndmask_b32_e32 v30, 7, v30, vcc_lo
	v_and_b32_e32 v116, 0xf8, v116
	v_and_b32_e32 v43, 7, v30
	v_or_b32_e32 v3, v3, v30
	v_or3_b32 v2, v2, v116, v43
	v_cmp_ne_u32_e32 vcc_lo, 0, v3
	v_lshlrev_b32_e32 v2, 8, v2
	v_cndmask_b32_e32 v90, 0, v2, vcc_lo
.LBB6_489:                              ;   in Loop: Header=BB6_130 Depth=2
	s_or_b32 exec_lo, exec_lo, s28
.LBB6_490:                              ;   in Loop: Header=BB6_130 Depth=2
	s_or_b32 exec_lo, exec_lo, s27
	v_and_b32_sdwa v3, v32, v62 dst_sel:DWORD dst_unused:UNUSED_PAD src0_sel:WORD_1 src1_sel:DWORD
	s_mov_b32 s13, 0
	s_mov_b32 s27, exec_lo
	v_cmpx_lt_i16_e32 0x7f, v3
	s_xor_b32 s27, exec_lo, s27
	s_cbranch_execz .LBB6_1480
; %bb.491:                              ;   in Loop: Header=BB6_130 Depth=2
	s_mov_b32 s13, -1
	s_mov_b32 s28, exec_lo
	v_cmpx_eq_u16_e32 0x80, v3
; %bb.492:                              ;   in Loop: Header=BB6_130 Depth=2
	s_xor_b32 s13, exec_lo, -1
; %bb.493:                              ;   in Loop: Header=BB6_130 Depth=2
	s_or_b32 exec_lo, exec_lo, s28
	s_and_b32 s13, s13, exec_lo
                                        ; implicit-def: $vgpr3
	s_or_saveexec_b32 s27, s27
	v_mov_b32_e32 v2, 0x7f800001
	s_xor_b32 exec_lo, exec_lo, s27
	s_cbranch_execnz .LBB6_1481
.LBB6_494:                              ;   in Loop: Header=BB6_130 Depth=2
	s_or_b32 exec_lo, exec_lo, s27
	s_and_saveexec_b32 s27, s13
	s_cbranch_execz .LBB6_496
.LBB6_495:                              ;   in Loop: Header=BB6_130 Depth=2
	v_bfe_u32 v2, v32, 16, 3
	v_bfe_u32 v116, v32, 19, 4
	v_lshlrev_b32_e32 v43, 8, v32
	v_ffbh_u32_e32 v3, v2
	v_cmp_eq_u32_e32 vcc_lo, 0, v116
	v_min_u32_e32 v3, 32, v3
	v_subrev_nc_u32_e32 v30, 28, v3
	v_sub_nc_u32_e32 v3, 29, v3
	v_lshlrev_b32_sdwa v30, v30, v32 dst_sel:DWORD dst_unused:UNUSED_PAD src0_sel:DWORD src1_sel:WORD_1
	v_cndmask_b32_e32 v3, v116, v3, vcc_lo
	v_and_b32_e32 v30, 7, v30
	v_lshl_add_u32 v3, v3, 23, 0x3b800000
	v_cndmask_b32_e32 v2, v2, v30, vcc_lo
	v_and_b32_e32 v30, 0x80000000, v43
	v_lshlrev_b32_e32 v2, 20, v2
	v_or3_b32 v2, v30, v3, v2
.LBB6_496:                              ;   in Loop: Header=BB6_130 Depth=2
	s_or_b32 exec_lo, exec_lo, s27
	v_and_b32_sdwa v30, v26, v62 dst_sel:DWORD dst_unused:UNUSED_PAD src0_sel:WORD_1 src1_sel:DWORD
	s_mov_b32 s13, 0
	s_mov_b32 s27, exec_lo
	v_cmpx_lt_i16_e32 0x7f, v30
	s_xor_b32 s27, exec_lo, s27
	s_cbranch_execz .LBB6_1482
; %bb.497:                              ;   in Loop: Header=BB6_130 Depth=2
	s_mov_b32 s13, -1
	s_mov_b32 s28, exec_lo
	v_cmpx_eq_u16_e32 0x80, v30
; %bb.498:                              ;   in Loop: Header=BB6_130 Depth=2
	s_xor_b32 s13, exec_lo, -1
; %bb.499:                              ;   in Loop: Header=BB6_130 Depth=2
	s_or_b32 exec_lo, exec_lo, s28
	s_and_b32 s13, s13, exec_lo
                                        ; implicit-def: $vgpr30
	s_or_saveexec_b32 s27, s27
	v_mov_b32_e32 v3, 0x7f800001
	s_xor_b32 exec_lo, exec_lo, s27
	s_cbranch_execnz .LBB6_1483
.LBB6_500:                              ;   in Loop: Header=BB6_130 Depth=2
	s_or_b32 exec_lo, exec_lo, s27
	s_and_saveexec_b32 s27, s13
	s_cbranch_execz .LBB6_502
.LBB6_501:                              ;   in Loop: Header=BB6_130 Depth=2
	v_bfe_u32 v3, v26, 16, 3
	v_bfe_u32 v43, v26, 19, 4
	v_lshlrev_b32_e32 v46, 8, v26
	v_ffbh_u32_e32 v30, v3
	v_cmp_eq_u32_e32 vcc_lo, 0, v43
	v_min_u32_e32 v30, 32, v30
	v_subrev_nc_u32_e32 v116, 28, v30
	v_sub_nc_u32_e32 v30, 29, v30
	v_lshlrev_b32_sdwa v116, v116, v26 dst_sel:DWORD dst_unused:UNUSED_PAD src0_sel:DWORD src1_sel:WORD_1
	v_cndmask_b32_e32 v30, v43, v30, vcc_lo
	v_and_b32_e32 v116, 7, v116
	v_lshl_add_u32 v30, v30, 23, 0x3b800000
	v_cndmask_b32_e32 v3, v3, v116, vcc_lo
	v_and_b32_e32 v116, 0x80000000, v46
	v_lshlrev_b32_e32 v3, 20, v3
	v_or3_b32 v3, v116, v30, v3
.LBB6_502:                              ;   in Loop: Header=BB6_130 Depth=2
	s_or_b32 exec_lo, exec_lo, s27
	v_add_f32_e32 v2, v2, v3
	v_mov_b32_e32 v91, 0x80
	s_mov_b32 s27, exec_lo
	v_and_b32_e32 v3, 0x7f800000, v2
	v_cmpx_ne_u32_e32 0x7f800000, v3
	s_cbranch_execz .LBB6_510
; %bb.503:                              ;   in Loop: Header=BB6_130 Depth=2
	v_mov_b32_e32 v91, 0
	s_mov_b32 s28, exec_lo
	v_cmpx_ne_u32_e32 0, v2
	s_cbranch_execz .LBB6_509
; %bb.504:                              ;   in Loop: Header=BB6_130 Depth=2
	v_bfe_u32 v3, v2, 23, 8
	v_and_b32_e32 v30, 0x7fffff, v2
	v_sub_nc_u32_e32 v116, 0x78, v3
	v_cmp_gt_u32_e32 vcc_lo, 0x79, v3
	v_or_b32_e32 v43, 0x800000, v30
	v_cndmask_b32_e32 v116, 0, v116, vcc_lo
	v_cmp_eq_u32_e32 vcc_lo, 0, v3
	v_add_nc_u32_e32 v3, 0xffffff89, v3
	v_cndmask_b32_e64 v116, v116, 0x77, vcc_lo
	v_cndmask_b32_e32 v30, v43, v30, vcc_lo
	v_cndmask_b32_e64 v3, v3, 0xffffff8a, vcc_lo
	v_lshl_add_u32 v43, 0x100000, v116, -1
	v_lshrrev_b32_e32 v46, v116, v30
	v_lshlrev_b32_e64 v91, v116, 0x80000
	v_add_nc_u32_e32 v116, v116, v3
	v_and_b32_e32 v30, v43, v30
	v_bfe_u32 v57, v46, 20, 1
	v_cmp_eq_u32_e64 s13, v30, v91
	v_add_nc_u32_e32 v43, -1, v57
	v_cndmask_b32_e64 v30, 0, v43, s13
	v_lshrrev_b32_e32 v43, 23, v46
	s_mov_b32 s13, exec_lo
	v_add_nc_u32_e32 v30, v30, v46
	v_xor_b32_e32 v43, 1, v43
	v_and_b32_e32 v3, 0xfffff, v30
	v_add_nc_u32_e32 v30, v3, v46
                                        ; implicit-def: $vgpr3
	v_cmpx_ne_u32_e64 v116, v43
	s_xor_b32 s13, exec_lo, s13
; %bb.505:                              ;   in Loop: Header=BB6_130 Depth=2
	v_cmp_lt_u32_e32 vcc_lo, 0xffffff, v30
	v_sub_nc_u32_e32 v3, v116, v43
	v_cndmask_b32_e64 v116, 0, 1, vcc_lo
	v_add_co_ci_u32_e64 v3, null, 0, v3, vcc_lo
	v_lshrrev_b32_e32 v30, v116, v30
; %bb.506:                              ;   in Loop: Header=BB6_130 Depth=2
	s_andn2_saveexec_b32 s13, s13
; %bb.507:                              ;   in Loop: Header=BB6_130 Depth=2
	v_bfe_u32 v3, v30, 23, 1
; %bb.508:                              ;   in Loop: Header=BB6_130 Depth=2
	s_or_b32 exec_lo, exec_lo, s13
	v_lshrrev_b32_e32 v30, 20, v30
	v_min_i32_e32 v116, 15, v3
	v_cmp_gt_i32_e32 vcc_lo, 16, v3
	v_and_b32_sdwa v2, v2, v59 dst_sel:DWORD dst_unused:UNUSED_PAD src0_sel:BYTE_3 src1_sel:DWORD
	v_lshlrev_b32_e32 v116, 3, v116
	v_cndmask_b32_e32 v30, 7, v30, vcc_lo
	v_and_b32_e32 v116, 0xf8, v116
	v_and_b32_e32 v43, 7, v30
	v_or_b32_e32 v3, v3, v30
	v_or3_b32 v2, v116, v2, v43
	v_cmp_ne_u32_e32 vcc_lo, 0, v3
	v_cndmask_b32_e32 v91, 0, v2, vcc_lo
.LBB6_509:                              ;   in Loop: Header=BB6_130 Depth=2
	s_or_b32 exec_lo, exec_lo, s28
.LBB6_510:                              ;   in Loop: Header=BB6_130 Depth=2
	s_or_b32 exec_lo, exec_lo, s27
	v_cmp_gt_i16_sdwa s27, v32, v58 src0_sel:BYTE_3 src1_sel:DWORD
	s_mov_b32 s13, 0
	s_and_saveexec_b32 s28, s27
	s_xor_b32 s27, exec_lo, s28
	s_cbranch_execz .LBB6_1484
; %bb.511:                              ;   in Loop: Header=BB6_130 Depth=2
	v_cmp_eq_u16_sdwa s29, v32, v59 src0_sel:BYTE_3 src1_sel:DWORD
	s_mov_b32 s13, -1
	s_and_saveexec_b32 s28, s29
; %bb.512:                              ;   in Loop: Header=BB6_130 Depth=2
	s_xor_b32 s13, exec_lo, -1
; %bb.513:                              ;   in Loop: Header=BB6_130 Depth=2
	s_or_b32 exec_lo, exec_lo, s28
	s_and_b32 s13, s13, exec_lo
	s_or_saveexec_b32 s27, s27
	v_mov_b32_e32 v2, 0x7f800001
	s_xor_b32 exec_lo, exec_lo, s27
	s_cbranch_execnz .LBB6_1485
.LBB6_514:                              ;   in Loop: Header=BB6_130 Depth=2
	s_or_b32 exec_lo, exec_lo, s27
	s_and_saveexec_b32 s27, s13
	s_cbranch_execz .LBB6_516
.LBB6_515:                              ;   in Loop: Header=BB6_130 Depth=2
	v_bfe_u32 v2, v32, 24, 3
	v_bfe_u32 v116, v32, 27, 4
	v_ffbh_u32_e32 v3, v2
	v_cmp_eq_u32_e32 vcc_lo, 0, v116
	v_min_u32_e32 v3, 32, v3
	v_subrev_nc_u32_e32 v30, 28, v3
	v_sub_nc_u32_e32 v3, 29, v3
	v_lshlrev_b32_sdwa v30, v30, v32 dst_sel:DWORD dst_unused:UNUSED_PAD src0_sel:DWORD src1_sel:BYTE_3
	v_cndmask_b32_e32 v3, v116, v3, vcc_lo
	v_and_b32_e32 v30, 7, v30
	v_lshl_add_u32 v3, v3, 23, 0x3b800000
	v_cndmask_b32_e32 v2, v2, v30, vcc_lo
	v_and_b32_e32 v30, 0x80000000, v32
	v_lshlrev_b32_e32 v2, 20, v2
	v_or3_b32 v2, v30, v3, v2
.LBB6_516:                              ;   in Loop: Header=BB6_130 Depth=2
	s_or_b32 exec_lo, exec_lo, s27
	v_cmp_gt_i16_sdwa s27, v26, v58 src0_sel:BYTE_3 src1_sel:DWORD
	s_mov_b32 s13, 0
	s_and_saveexec_b32 s28, s27
	s_xor_b32 s27, exec_lo, s28
	s_cbranch_execz .LBB6_1486
; %bb.517:                              ;   in Loop: Header=BB6_130 Depth=2
	v_cmp_eq_u16_sdwa s29, v26, v59 src0_sel:BYTE_3 src1_sel:DWORD
	s_mov_b32 s13, -1
	s_and_saveexec_b32 s28, s29
; %bb.518:                              ;   in Loop: Header=BB6_130 Depth=2
	s_xor_b32 s13, exec_lo, -1
; %bb.519:                              ;   in Loop: Header=BB6_130 Depth=2
	s_or_b32 exec_lo, exec_lo, s28
	s_and_b32 s13, s13, exec_lo
	s_or_saveexec_b32 s27, s27
	v_mov_b32_e32 v3, 0x7f800001
	s_xor_b32 exec_lo, exec_lo, s27
	s_cbranch_execnz .LBB6_1487
.LBB6_520:                              ;   in Loop: Header=BB6_130 Depth=2
	s_or_b32 exec_lo, exec_lo, s27
	s_and_saveexec_b32 s27, s13
	s_cbranch_execz .LBB6_522
.LBB6_521:                              ;   in Loop: Header=BB6_130 Depth=2
	v_bfe_u32 v3, v26, 24, 3
	v_bfe_u32 v116, v26, 27, 4
	v_ffbh_u32_e32 v30, v3
	v_cmp_eq_u32_e32 vcc_lo, 0, v116
	v_min_u32_e32 v30, 32, v30
	v_subrev_nc_u32_e32 v32, 28, v30
	v_sub_nc_u32_e32 v30, 29, v30
	v_lshlrev_b32_sdwa v32, v32, v26 dst_sel:DWORD dst_unused:UNUSED_PAD src0_sel:DWORD src1_sel:BYTE_3
	v_cndmask_b32_e32 v30, v116, v30, vcc_lo
	v_and_b32_e32 v26, 0x80000000, v26
	v_and_b32_e32 v32, 7, v32
	v_lshl_add_u32 v30, v30, 23, 0x3b800000
	v_cndmask_b32_e32 v3, v3, v32, vcc_lo
	v_lshlrev_b32_e32 v3, 20, v3
	v_or3_b32 v3, v26, v30, v3
.LBB6_522:                              ;   in Loop: Header=BB6_130 Depth=2
	s_or_b32 exec_lo, exec_lo, s27
	v_add_f32_e32 v2, v2, v3
	v_mov_b32_e32 v26, 0x8000
	s_mov_b32 s27, exec_lo
	v_and_b32_e32 v3, 0x7f800000, v2
	v_cmpx_ne_u32_e32 0x7f800000, v3
	s_cbranch_execz .LBB6_530
; %bb.523:                              ;   in Loop: Header=BB6_130 Depth=2
	v_mov_b32_e32 v26, 0
	s_mov_b32 s28, exec_lo
	v_cmpx_ne_u32_e32 0, v2
	s_cbranch_execz .LBB6_529
; %bb.524:                              ;   in Loop: Header=BB6_130 Depth=2
	v_bfe_u32 v3, v2, 23, 8
	v_and_b32_e32 v26, 0x7fffff, v2
	v_sub_nc_u32_e32 v30, 0x78, v3
	v_cmp_gt_u32_e32 vcc_lo, 0x79, v3
	v_or_b32_e32 v32, 0x800000, v26
	v_cndmask_b32_e32 v30, 0, v30, vcc_lo
	v_cmp_eq_u32_e32 vcc_lo, 0, v3
	v_add_nc_u32_e32 v3, 0xffffff89, v3
	v_cndmask_b32_e64 v30, v30, 0x77, vcc_lo
	v_cndmask_b32_e32 v26, v32, v26, vcc_lo
	v_cndmask_b32_e64 v3, v3, 0xffffff8a, vcc_lo
	v_lshl_add_u32 v32, 0x100000, v30, -1
	v_lshrrev_b32_e32 v116, v30, v26
	v_lshlrev_b32_e64 v46, v30, 0x80000
	v_add_nc_u32_e32 v30, v30, v3
	v_and_b32_e32 v26, v32, v26
	v_bfe_u32 v43, v116, 20, 1
	v_cmp_eq_u32_e64 s13, v26, v46
	v_add_nc_u32_e32 v32, -1, v43
	v_cndmask_b32_e64 v26, 0, v32, s13
	v_lshrrev_b32_e32 v32, 23, v116
	s_mov_b32 s13, exec_lo
	v_add_nc_u32_e32 v26, v26, v116
	v_xor_b32_e32 v32, 1, v32
	v_and_b32_e32 v3, 0xfffff, v26
	v_add_nc_u32_e32 v26, v3, v116
                                        ; implicit-def: $vgpr3
	v_cmpx_ne_u32_e64 v30, v32
	s_xor_b32 s13, exec_lo, s13
; %bb.525:                              ;   in Loop: Header=BB6_130 Depth=2
	v_cmp_lt_u32_e32 vcc_lo, 0xffffff, v26
	v_sub_nc_u32_e32 v3, v30, v32
	v_cndmask_b32_e64 v30, 0, 1, vcc_lo
	v_add_co_ci_u32_e64 v3, null, 0, v3, vcc_lo
	v_lshrrev_b32_e32 v26, v30, v26
; %bb.526:                              ;   in Loop: Header=BB6_130 Depth=2
	s_andn2_saveexec_b32 s13, s13
; %bb.527:                              ;   in Loop: Header=BB6_130 Depth=2
	v_bfe_u32 v3, v26, 23, 1
; %bb.528:                              ;   in Loop: Header=BB6_130 Depth=2
	s_or_b32 exec_lo, exec_lo, s13
	v_lshrrev_b32_e32 v26, 20, v26
	v_min_i32_e32 v30, 15, v3
	v_cmp_gt_i32_e32 vcc_lo, 16, v3
	v_and_b32_sdwa v2, v2, v59 dst_sel:DWORD dst_unused:UNUSED_PAD src0_sel:BYTE_3 src1_sel:DWORD
	v_lshlrev_b32_e32 v30, 3, v30
	v_cndmask_b32_e32 v26, 7, v26, vcc_lo
	v_and_b32_e32 v30, 0xf8, v30
	v_and_b32_e32 v32, 7, v26
	v_or_b32_e32 v3, v3, v26
	v_or3_b32 v2, v2, v30, v32
	v_cmp_ne_u32_e32 vcc_lo, 0, v3
	v_lshlrev_b32_e32 v2, 8, v2
	v_cndmask_b32_e32 v26, 0, v2, vcc_lo
.LBB6_529:                              ;   in Loop: Header=BB6_130 Depth=2
	s_or_b32 exec_lo, exec_lo, s28
.LBB6_530:                              ;   in Loop: Header=BB6_130 Depth=2
	s_or_b32 exec_lo, exec_lo, s27
	v_cmp_gt_i16_sdwa s27, v33, v58 src0_sel:BYTE_0 src1_sel:DWORD
	s_mov_b32 s13, 0
	s_and_saveexec_b32 s28, s27
	s_xor_b32 s27, exec_lo, s28
	s_cbranch_execz .LBB6_1488
; %bb.531:                              ;   in Loop: Header=BB6_130 Depth=2
	v_cmp_eq_u16_sdwa s29, v33, v59 src0_sel:BYTE_0 src1_sel:DWORD
	s_mov_b32 s13, -1
	s_and_saveexec_b32 s28, s29
; %bb.532:                              ;   in Loop: Header=BB6_130 Depth=2
	s_xor_b32 s13, exec_lo, -1
; %bb.533:                              ;   in Loop: Header=BB6_130 Depth=2
	s_or_b32 exec_lo, exec_lo, s28
	s_and_b32 s13, s13, exec_lo
	s_or_saveexec_b32 s27, s27
	v_mov_b32_e32 v2, 0x7f800001
	s_xor_b32 exec_lo, exec_lo, s27
	s_cbranch_execnz .LBB6_1489
.LBB6_534:                              ;   in Loop: Header=BB6_130 Depth=2
	s_or_b32 exec_lo, exec_lo, s27
	s_and_saveexec_b32 s27, s13
	s_cbranch_execz .LBB6_536
.LBB6_535:                              ;   in Loop: Header=BB6_130 Depth=2
	v_and_b32_e32 v2, 7, v33
	v_bfe_u32 v32, v33, 3, 4
	v_lshlrev_b32_e32 v116, 24, v33
	v_ffbh_u32_e32 v3, v2
	v_cmp_eq_u32_e32 vcc_lo, 0, v32
	v_min_u32_e32 v3, 32, v3
	v_subrev_nc_u32_e32 v30, 28, v3
	v_sub_nc_u32_e32 v3, 29, v3
	v_lshlrev_b32_e32 v30, v30, v33
	v_cndmask_b32_e32 v3, v32, v3, vcc_lo
	v_and_b32_e32 v30, 7, v30
	v_lshl_add_u32 v3, v3, 23, 0x3b800000
	v_cndmask_b32_e32 v2, v2, v30, vcc_lo
	v_and_b32_e32 v30, 0x80000000, v116
	v_lshlrev_b32_e32 v2, 20, v2
	v_or3_b32 v2, v30, v3, v2
.LBB6_536:                              ;   in Loop: Header=BB6_130 Depth=2
	s_or_b32 exec_lo, exec_lo, s27
	v_cmp_gt_i16_sdwa s27, v27, v58 src0_sel:BYTE_0 src1_sel:DWORD
	s_mov_b32 s13, 0
	s_and_saveexec_b32 s28, s27
	s_xor_b32 s27, exec_lo, s28
	s_cbranch_execz .LBB6_1490
; %bb.537:                              ;   in Loop: Header=BB6_130 Depth=2
	v_cmp_eq_u16_sdwa s29, v27, v59 src0_sel:BYTE_0 src1_sel:DWORD
	s_mov_b32 s13, -1
	s_and_saveexec_b32 s28, s29
; %bb.538:                              ;   in Loop: Header=BB6_130 Depth=2
	s_xor_b32 s13, exec_lo, -1
; %bb.539:                              ;   in Loop: Header=BB6_130 Depth=2
	s_or_b32 exec_lo, exec_lo, s28
	s_and_b32 s13, s13, exec_lo
	s_or_saveexec_b32 s27, s27
	v_mov_b32_e32 v3, 0x7f800001
	s_xor_b32 exec_lo, exec_lo, s27
	s_cbranch_execnz .LBB6_1491
.LBB6_540:                              ;   in Loop: Header=BB6_130 Depth=2
	s_or_b32 exec_lo, exec_lo, s27
	s_and_saveexec_b32 s27, s13
	s_cbranch_execz .LBB6_542
.LBB6_541:                              ;   in Loop: Header=BB6_130 Depth=2
	v_and_b32_e32 v3, 7, v27
	v_bfe_u32 v116, v27, 3, 4
	v_lshlrev_b32_e32 v43, 24, v27
	v_ffbh_u32_e32 v30, v3
	v_cmp_eq_u32_e32 vcc_lo, 0, v116
	v_min_u32_e32 v30, 32, v30
	v_subrev_nc_u32_e32 v32, 28, v30
	v_sub_nc_u32_e32 v30, 29, v30
	v_lshlrev_b32_e32 v32, v32, v27
	v_cndmask_b32_e32 v30, v116, v30, vcc_lo
	v_and_b32_e32 v32, 7, v32
	v_lshl_add_u32 v30, v30, 23, 0x3b800000
	v_cndmask_b32_e32 v3, v3, v32, vcc_lo
	v_and_b32_e32 v32, 0x80000000, v43
	v_lshlrev_b32_e32 v3, 20, v3
	v_or3_b32 v3, v32, v30, v3
.LBB6_542:                              ;   in Loop: Header=BB6_130 Depth=2
	s_or_b32 exec_lo, exec_lo, s27
	v_add_f32_e32 v2, v2, v3
	v_mov_b32_e32 v32, 0x80
	s_mov_b32 s27, exec_lo
	v_and_b32_e32 v3, 0x7f800000, v2
	v_cmpx_ne_u32_e32 0x7f800000, v3
	s_cbranch_execz .LBB6_550
; %bb.543:                              ;   in Loop: Header=BB6_130 Depth=2
	v_mov_b32_e32 v32, 0
	s_mov_b32 s28, exec_lo
	v_cmpx_ne_u32_e32 0, v2
	s_cbranch_execz .LBB6_549
; %bb.544:                              ;   in Loop: Header=BB6_130 Depth=2
	v_bfe_u32 v3, v2, 23, 8
	v_and_b32_e32 v30, 0x7fffff, v2
	v_sub_nc_u32_e32 v32, 0x78, v3
	v_cmp_gt_u32_e32 vcc_lo, 0x79, v3
	v_or_b32_e32 v116, 0x800000, v30
	v_cndmask_b32_e32 v32, 0, v32, vcc_lo
	v_cmp_eq_u32_e32 vcc_lo, 0, v3
	v_add_nc_u32_e32 v3, 0xffffff89, v3
	v_cndmask_b32_e64 v32, v32, 0x77, vcc_lo
	v_cndmask_b32_e32 v30, v116, v30, vcc_lo
	v_cndmask_b32_e64 v3, v3, 0xffffff8a, vcc_lo
	v_lshl_add_u32 v116, 0x100000, v32, -1
	v_lshrrev_b32_e32 v43, v32, v30
	v_lshlrev_b32_e64 v57, v32, 0x80000
	v_add_nc_u32_e32 v32, v32, v3
	v_and_b32_e32 v30, v116, v30
	v_bfe_u32 v46, v43, 20, 1
	v_cmp_eq_u32_e64 s13, v30, v57
	v_add_nc_u32_e32 v116, -1, v46
	v_cndmask_b32_e64 v30, 0, v116, s13
	v_lshrrev_b32_e32 v116, 23, v43
	s_mov_b32 s13, exec_lo
	v_add_nc_u32_e32 v30, v30, v43
	v_xor_b32_e32 v116, 1, v116
	v_and_b32_e32 v3, 0xfffff, v30
	v_add_nc_u32_e32 v30, v3, v43
                                        ; implicit-def: $vgpr3
	v_cmpx_ne_u32_e64 v32, v116
	s_xor_b32 s13, exec_lo, s13
; %bb.545:                              ;   in Loop: Header=BB6_130 Depth=2
	v_cmp_lt_u32_e32 vcc_lo, 0xffffff, v30
	v_sub_nc_u32_e32 v3, v32, v116
	v_cndmask_b32_e64 v32, 0, 1, vcc_lo
	v_add_co_ci_u32_e64 v3, null, 0, v3, vcc_lo
	v_lshrrev_b32_e32 v30, v32, v30
; %bb.546:                              ;   in Loop: Header=BB6_130 Depth=2
	s_andn2_saveexec_b32 s13, s13
; %bb.547:                              ;   in Loop: Header=BB6_130 Depth=2
	v_bfe_u32 v3, v30, 23, 1
; %bb.548:                              ;   in Loop: Header=BB6_130 Depth=2
	s_or_b32 exec_lo, exec_lo, s13
	v_lshrrev_b32_e32 v30, 20, v30
	v_min_i32_e32 v32, 15, v3
	v_cmp_gt_i32_e32 vcc_lo, 16, v3
	v_and_b32_sdwa v2, v2, v59 dst_sel:DWORD dst_unused:UNUSED_PAD src0_sel:BYTE_3 src1_sel:DWORD
	v_lshlrev_b32_e32 v32, 3, v32
	v_cndmask_b32_e32 v30, 7, v30, vcc_lo
	v_and_b32_e32 v32, 0xf8, v32
	v_and_b32_e32 v116, 7, v30
	v_or_b32_e32 v3, v3, v30
	v_or3_b32 v2, v32, v2, v116
	v_cmp_ne_u32_e32 vcc_lo, 0, v3
	v_cndmask_b32_e32 v32, 0, v2, vcc_lo
.LBB6_549:                              ;   in Loop: Header=BB6_130 Depth=2
	s_or_b32 exec_lo, exec_lo, s28
.LBB6_550:                              ;   in Loop: Header=BB6_130 Depth=2
	s_or_b32 exec_lo, exec_lo, s27
	v_cmp_gt_i16_sdwa s27, v33, v58 src0_sel:BYTE_1 src1_sel:DWORD
	s_mov_b32 s13, 0
	s_and_saveexec_b32 s28, s27
	s_xor_b32 s27, exec_lo, s28
	s_cbranch_execz .LBB6_1492
; %bb.551:                              ;   in Loop: Header=BB6_130 Depth=2
	v_cmp_eq_u16_sdwa s29, v33, v59 src0_sel:BYTE_1 src1_sel:DWORD
	s_mov_b32 s13, -1
	s_and_saveexec_b32 s28, s29
; %bb.552:                              ;   in Loop: Header=BB6_130 Depth=2
	s_xor_b32 s13, exec_lo, -1
; %bb.553:                              ;   in Loop: Header=BB6_130 Depth=2
	s_or_b32 exec_lo, exec_lo, s28
	s_and_b32 s13, s13, exec_lo
	s_or_saveexec_b32 s27, s27
	v_mov_b32_e32 v2, 0x7f800001
	s_xor_b32 exec_lo, exec_lo, s27
	s_cbranch_execnz .LBB6_1493
.LBB6_554:                              ;   in Loop: Header=BB6_130 Depth=2
	s_or_b32 exec_lo, exec_lo, s27
	s_and_saveexec_b32 s27, s13
	s_cbranch_execz .LBB6_556
.LBB6_555:                              ;   in Loop: Header=BB6_130 Depth=2
	v_and_b32_sdwa v2, v60, v33 dst_sel:DWORD dst_unused:UNUSED_PAD src0_sel:DWORD src1_sel:BYTE_1
	v_and_b32_e32 v3, 7, v2
	v_bfe_u32 v43, v2, 3, 4
	v_ffbh_u32_e32 v30, v3
	v_cmp_eq_u32_e32 vcc_lo, 0, v43
	v_min_u32_e32 v30, 32, v30
	v_subrev_nc_u32_e32 v116, 28, v30
	v_sub_nc_u32_e32 v30, 29, v30
	v_lshlrev_b32_e32 v2, v116, v2
	v_lshlrev_b32_sdwa v116, v61, v33 dst_sel:DWORD dst_unused:UNUSED_PAD src0_sel:DWORD src1_sel:BYTE_1
	v_cndmask_b32_e32 v30, v43, v30, vcc_lo
	v_and_b32_e32 v2, 7, v2
	v_lshl_add_u32 v30, v30, 23, 0x3b800000
	v_cndmask_b32_e32 v2, v3, v2, vcc_lo
	v_and_b32_e32 v3, 0x80000000, v116
	v_lshlrev_b32_e32 v2, 20, v2
	v_or3_b32 v2, v3, v30, v2
.LBB6_556:                              ;   in Loop: Header=BB6_130 Depth=2
	s_or_b32 exec_lo, exec_lo, s27
	v_cmp_gt_i16_sdwa s27, v27, v58 src0_sel:BYTE_1 src1_sel:DWORD
	s_mov_b32 s13, 0
	s_and_saveexec_b32 s28, s27
	s_xor_b32 s27, exec_lo, s28
	s_cbranch_execz .LBB6_1494
; %bb.557:                              ;   in Loop: Header=BB6_130 Depth=2
	v_cmp_eq_u16_sdwa s29, v27, v59 src0_sel:BYTE_1 src1_sel:DWORD
	s_mov_b32 s13, -1
	s_and_saveexec_b32 s28, s29
; %bb.558:                              ;   in Loop: Header=BB6_130 Depth=2
	s_xor_b32 s13, exec_lo, -1
; %bb.559:                              ;   in Loop: Header=BB6_130 Depth=2
	s_or_b32 exec_lo, exec_lo, s28
	s_and_b32 s13, s13, exec_lo
	s_or_saveexec_b32 s27, s27
	v_mov_b32_e32 v3, 0x7f800001
	s_xor_b32 exec_lo, exec_lo, s27
	s_cbranch_execnz .LBB6_1495
.LBB6_560:                              ;   in Loop: Header=BB6_130 Depth=2
	s_or_b32 exec_lo, exec_lo, s27
	s_and_saveexec_b32 s27, s13
	s_cbranch_execz .LBB6_562
.LBB6_561:                              ;   in Loop: Header=BB6_130 Depth=2
	v_and_b32_sdwa v3, v60, v27 dst_sel:DWORD dst_unused:UNUSED_PAD src0_sel:DWORD src1_sel:BYTE_1
	v_and_b32_e32 v30, 7, v3
	v_bfe_u32 v46, v3, 3, 4
	v_ffbh_u32_e32 v116, v30
	v_cmp_eq_u32_e32 vcc_lo, 0, v46
	v_min_u32_e32 v116, 32, v116
	v_subrev_nc_u32_e32 v43, 28, v116
	v_sub_nc_u32_e32 v116, 29, v116
	v_lshlrev_b32_e32 v3, v43, v3
	v_lshlrev_b32_sdwa v43, v61, v27 dst_sel:DWORD dst_unused:UNUSED_PAD src0_sel:DWORD src1_sel:BYTE_1
	v_cndmask_b32_e32 v116, v46, v116, vcc_lo
	v_and_b32_e32 v3, 7, v3
	v_lshl_add_u32 v116, v116, 23, 0x3b800000
	v_cndmask_b32_e32 v3, v30, v3, vcc_lo
	v_and_b32_e32 v30, 0x80000000, v43
	v_lshlrev_b32_e32 v3, 20, v3
	v_or3_b32 v3, v30, v116, v3
.LBB6_562:                              ;   in Loop: Header=BB6_130 Depth=2
	s_or_b32 exec_lo, exec_lo, s27
	v_add_f32_e32 v2, v2, v3
	v_mov_b32_e32 v92, 0x8000
	s_mov_b32 s27, exec_lo
	v_and_b32_e32 v3, 0x7f800000, v2
	v_cmpx_ne_u32_e32 0x7f800000, v3
	s_cbranch_execz .LBB6_570
; %bb.563:                              ;   in Loop: Header=BB6_130 Depth=2
	v_mov_b32_e32 v92, 0
	s_mov_b32 s28, exec_lo
	v_cmpx_ne_u32_e32 0, v2
	s_cbranch_execz .LBB6_569
; %bb.564:                              ;   in Loop: Header=BB6_130 Depth=2
	v_bfe_u32 v3, v2, 23, 8
	v_and_b32_e32 v30, 0x7fffff, v2
	v_sub_nc_u32_e32 v116, 0x78, v3
	v_cmp_gt_u32_e32 vcc_lo, 0x79, v3
	v_or_b32_e32 v43, 0x800000, v30
	v_cndmask_b32_e32 v116, 0, v116, vcc_lo
	v_cmp_eq_u32_e32 vcc_lo, 0, v3
	v_add_nc_u32_e32 v3, 0xffffff89, v3
	v_cndmask_b32_e64 v116, v116, 0x77, vcc_lo
	v_cndmask_b32_e32 v30, v43, v30, vcc_lo
	v_cndmask_b32_e64 v3, v3, 0xffffff8a, vcc_lo
	v_lshl_add_u32 v43, 0x100000, v116, -1
	v_lshrrev_b32_e32 v46, v116, v30
	v_lshlrev_b32_e64 v92, v116, 0x80000
	v_add_nc_u32_e32 v116, v116, v3
	v_and_b32_e32 v30, v43, v30
	v_bfe_u32 v57, v46, 20, 1
	v_cmp_eq_u32_e64 s13, v30, v92
	v_add_nc_u32_e32 v43, -1, v57
	v_cndmask_b32_e64 v30, 0, v43, s13
	v_lshrrev_b32_e32 v43, 23, v46
	s_mov_b32 s13, exec_lo
	v_add_nc_u32_e32 v30, v30, v46
	v_xor_b32_e32 v43, 1, v43
	v_and_b32_e32 v3, 0xfffff, v30
	v_add_nc_u32_e32 v30, v3, v46
                                        ; implicit-def: $vgpr3
	v_cmpx_ne_u32_e64 v116, v43
	s_xor_b32 s13, exec_lo, s13
; %bb.565:                              ;   in Loop: Header=BB6_130 Depth=2
	v_cmp_lt_u32_e32 vcc_lo, 0xffffff, v30
	v_sub_nc_u32_e32 v3, v116, v43
	v_cndmask_b32_e64 v116, 0, 1, vcc_lo
	v_add_co_ci_u32_e64 v3, null, 0, v3, vcc_lo
	v_lshrrev_b32_e32 v30, v116, v30
; %bb.566:                              ;   in Loop: Header=BB6_130 Depth=2
	s_andn2_saveexec_b32 s13, s13
; %bb.567:                              ;   in Loop: Header=BB6_130 Depth=2
	v_bfe_u32 v3, v30, 23, 1
; %bb.568:                              ;   in Loop: Header=BB6_130 Depth=2
	s_or_b32 exec_lo, exec_lo, s13
	v_lshrrev_b32_e32 v30, 20, v30
	v_min_i32_e32 v116, 15, v3
	v_cmp_gt_i32_e32 vcc_lo, 16, v3
	v_and_b32_sdwa v2, v2, v59 dst_sel:DWORD dst_unused:UNUSED_PAD src0_sel:BYTE_3 src1_sel:DWORD
	v_lshlrev_b32_e32 v116, 3, v116
	v_cndmask_b32_e32 v30, 7, v30, vcc_lo
	v_and_b32_e32 v116, 0xf8, v116
	v_and_b32_e32 v43, 7, v30
	v_or_b32_e32 v3, v3, v30
	v_or3_b32 v2, v2, v116, v43
	v_cmp_ne_u32_e32 vcc_lo, 0, v3
	v_lshlrev_b32_e32 v2, 8, v2
	v_cndmask_b32_e32 v92, 0, v2, vcc_lo
.LBB6_569:                              ;   in Loop: Header=BB6_130 Depth=2
	s_or_b32 exec_lo, exec_lo, s28
.LBB6_570:                              ;   in Loop: Header=BB6_130 Depth=2
	s_or_b32 exec_lo, exec_lo, s27
	v_and_b32_sdwa v3, v33, v62 dst_sel:DWORD dst_unused:UNUSED_PAD src0_sel:WORD_1 src1_sel:DWORD
	s_mov_b32 s13, 0
	s_mov_b32 s27, exec_lo
	v_cmpx_lt_i16_e32 0x7f, v3
	s_xor_b32 s27, exec_lo, s27
	s_cbranch_execz .LBB6_1496
; %bb.571:                              ;   in Loop: Header=BB6_130 Depth=2
	s_mov_b32 s13, -1
	s_mov_b32 s28, exec_lo
	v_cmpx_eq_u16_e32 0x80, v3
; %bb.572:                              ;   in Loop: Header=BB6_130 Depth=2
	s_xor_b32 s13, exec_lo, -1
; %bb.573:                              ;   in Loop: Header=BB6_130 Depth=2
	s_or_b32 exec_lo, exec_lo, s28
	s_and_b32 s13, s13, exec_lo
                                        ; implicit-def: $vgpr3
	s_or_saveexec_b32 s27, s27
	v_mov_b32_e32 v2, 0x7f800001
	s_xor_b32 exec_lo, exec_lo, s27
	s_cbranch_execnz .LBB6_1497
.LBB6_574:                              ;   in Loop: Header=BB6_130 Depth=2
	s_or_b32 exec_lo, exec_lo, s27
	s_and_saveexec_b32 s27, s13
	s_cbranch_execz .LBB6_576
.LBB6_575:                              ;   in Loop: Header=BB6_130 Depth=2
	v_bfe_u32 v2, v33, 16, 3
	v_bfe_u32 v116, v33, 19, 4
	v_lshlrev_b32_e32 v43, 8, v33
	v_ffbh_u32_e32 v3, v2
	v_cmp_eq_u32_e32 vcc_lo, 0, v116
	v_min_u32_e32 v3, 32, v3
	v_subrev_nc_u32_e32 v30, 28, v3
	v_sub_nc_u32_e32 v3, 29, v3
	v_lshlrev_b32_sdwa v30, v30, v33 dst_sel:DWORD dst_unused:UNUSED_PAD src0_sel:DWORD src1_sel:WORD_1
	v_cndmask_b32_e32 v3, v116, v3, vcc_lo
	v_and_b32_e32 v30, 7, v30
	v_lshl_add_u32 v3, v3, 23, 0x3b800000
	v_cndmask_b32_e32 v2, v2, v30, vcc_lo
	v_and_b32_e32 v30, 0x80000000, v43
	v_lshlrev_b32_e32 v2, 20, v2
	v_or3_b32 v2, v30, v3, v2
.LBB6_576:                              ;   in Loop: Header=BB6_130 Depth=2
	s_or_b32 exec_lo, exec_lo, s27
	v_and_b32_sdwa v30, v27, v62 dst_sel:DWORD dst_unused:UNUSED_PAD src0_sel:WORD_1 src1_sel:DWORD
	s_mov_b32 s13, 0
	s_mov_b32 s27, exec_lo
	v_cmpx_lt_i16_e32 0x7f, v30
	s_xor_b32 s27, exec_lo, s27
	s_cbranch_execz .LBB6_1498
; %bb.577:                              ;   in Loop: Header=BB6_130 Depth=2
	s_mov_b32 s13, -1
	s_mov_b32 s28, exec_lo
	v_cmpx_eq_u16_e32 0x80, v30
; %bb.578:                              ;   in Loop: Header=BB6_130 Depth=2
	s_xor_b32 s13, exec_lo, -1
; %bb.579:                              ;   in Loop: Header=BB6_130 Depth=2
	s_or_b32 exec_lo, exec_lo, s28
	s_and_b32 s13, s13, exec_lo
                                        ; implicit-def: $vgpr30
	s_or_saveexec_b32 s27, s27
	v_mov_b32_e32 v3, 0x7f800001
	s_xor_b32 exec_lo, exec_lo, s27
	s_cbranch_execnz .LBB6_1499
.LBB6_580:                              ;   in Loop: Header=BB6_130 Depth=2
	s_or_b32 exec_lo, exec_lo, s27
	s_and_saveexec_b32 s27, s13
	s_cbranch_execz .LBB6_582
.LBB6_581:                              ;   in Loop: Header=BB6_130 Depth=2
	v_bfe_u32 v3, v27, 16, 3
	v_bfe_u32 v43, v27, 19, 4
	v_lshlrev_b32_e32 v46, 8, v27
	v_ffbh_u32_e32 v30, v3
	v_cmp_eq_u32_e32 vcc_lo, 0, v43
	v_min_u32_e32 v30, 32, v30
	v_subrev_nc_u32_e32 v116, 28, v30
	v_sub_nc_u32_e32 v30, 29, v30
	v_lshlrev_b32_sdwa v116, v116, v27 dst_sel:DWORD dst_unused:UNUSED_PAD src0_sel:DWORD src1_sel:WORD_1
	v_cndmask_b32_e32 v30, v43, v30, vcc_lo
	v_and_b32_e32 v116, 7, v116
	v_lshl_add_u32 v30, v30, 23, 0x3b800000
	v_cndmask_b32_e32 v3, v3, v116, vcc_lo
	v_and_b32_e32 v116, 0x80000000, v46
	v_lshlrev_b32_e32 v3, 20, v3
	v_or3_b32 v3, v116, v30, v3
.LBB6_582:                              ;   in Loop: Header=BB6_130 Depth=2
	s_or_b32 exec_lo, exec_lo, s27
	v_add_f32_e32 v2, v2, v3
	v_mov_b32_e32 v93, 0x80
	s_mov_b32 s27, exec_lo
	v_and_b32_e32 v3, 0x7f800000, v2
	v_cmpx_ne_u32_e32 0x7f800000, v3
	s_cbranch_execz .LBB6_590
; %bb.583:                              ;   in Loop: Header=BB6_130 Depth=2
	v_mov_b32_e32 v93, 0
	s_mov_b32 s28, exec_lo
	v_cmpx_ne_u32_e32 0, v2
	s_cbranch_execz .LBB6_589
; %bb.584:                              ;   in Loop: Header=BB6_130 Depth=2
	v_bfe_u32 v3, v2, 23, 8
	v_and_b32_e32 v30, 0x7fffff, v2
	v_sub_nc_u32_e32 v116, 0x78, v3
	v_cmp_gt_u32_e32 vcc_lo, 0x79, v3
	v_or_b32_e32 v43, 0x800000, v30
	v_cndmask_b32_e32 v116, 0, v116, vcc_lo
	v_cmp_eq_u32_e32 vcc_lo, 0, v3
	v_add_nc_u32_e32 v3, 0xffffff89, v3
	v_cndmask_b32_e64 v116, v116, 0x77, vcc_lo
	v_cndmask_b32_e32 v30, v43, v30, vcc_lo
	v_cndmask_b32_e64 v3, v3, 0xffffff8a, vcc_lo
	v_lshl_add_u32 v43, 0x100000, v116, -1
	v_lshrrev_b32_e32 v46, v116, v30
	v_lshlrev_b32_e64 v93, v116, 0x80000
	v_add_nc_u32_e32 v116, v116, v3
	v_and_b32_e32 v30, v43, v30
	v_bfe_u32 v57, v46, 20, 1
	v_cmp_eq_u32_e64 s13, v30, v93
	v_add_nc_u32_e32 v43, -1, v57
	v_cndmask_b32_e64 v30, 0, v43, s13
	v_lshrrev_b32_e32 v43, 23, v46
	s_mov_b32 s13, exec_lo
	v_add_nc_u32_e32 v30, v30, v46
	v_xor_b32_e32 v43, 1, v43
	v_and_b32_e32 v3, 0xfffff, v30
	v_add_nc_u32_e32 v30, v3, v46
                                        ; implicit-def: $vgpr3
	v_cmpx_ne_u32_e64 v116, v43
	s_xor_b32 s13, exec_lo, s13
; %bb.585:                              ;   in Loop: Header=BB6_130 Depth=2
	v_cmp_lt_u32_e32 vcc_lo, 0xffffff, v30
	v_sub_nc_u32_e32 v3, v116, v43
	v_cndmask_b32_e64 v116, 0, 1, vcc_lo
	v_add_co_ci_u32_e64 v3, null, 0, v3, vcc_lo
	v_lshrrev_b32_e32 v30, v116, v30
; %bb.586:                              ;   in Loop: Header=BB6_130 Depth=2
	s_andn2_saveexec_b32 s13, s13
; %bb.587:                              ;   in Loop: Header=BB6_130 Depth=2
	v_bfe_u32 v3, v30, 23, 1
; %bb.588:                              ;   in Loop: Header=BB6_130 Depth=2
	s_or_b32 exec_lo, exec_lo, s13
	v_lshrrev_b32_e32 v30, 20, v30
	v_min_i32_e32 v116, 15, v3
	v_cmp_gt_i32_e32 vcc_lo, 16, v3
	v_and_b32_sdwa v2, v2, v59 dst_sel:DWORD dst_unused:UNUSED_PAD src0_sel:BYTE_3 src1_sel:DWORD
	v_lshlrev_b32_e32 v116, 3, v116
	v_cndmask_b32_e32 v30, 7, v30, vcc_lo
	v_and_b32_e32 v116, 0xf8, v116
	v_and_b32_e32 v43, 7, v30
	v_or_b32_e32 v3, v3, v30
	v_or3_b32 v2, v116, v2, v43
	v_cmp_ne_u32_e32 vcc_lo, 0, v3
	v_cndmask_b32_e32 v93, 0, v2, vcc_lo
.LBB6_589:                              ;   in Loop: Header=BB6_130 Depth=2
	s_or_b32 exec_lo, exec_lo, s28
.LBB6_590:                              ;   in Loop: Header=BB6_130 Depth=2
	s_or_b32 exec_lo, exec_lo, s27
	v_cmp_gt_i16_sdwa s27, v33, v58 src0_sel:BYTE_3 src1_sel:DWORD
	s_mov_b32 s13, 0
	s_and_saveexec_b32 s28, s27
	s_xor_b32 s27, exec_lo, s28
	s_cbranch_execz .LBB6_1500
; %bb.591:                              ;   in Loop: Header=BB6_130 Depth=2
	v_cmp_eq_u16_sdwa s29, v33, v59 src0_sel:BYTE_3 src1_sel:DWORD
	s_mov_b32 s13, -1
	s_and_saveexec_b32 s28, s29
; %bb.592:                              ;   in Loop: Header=BB6_130 Depth=2
	s_xor_b32 s13, exec_lo, -1
; %bb.593:                              ;   in Loop: Header=BB6_130 Depth=2
	s_or_b32 exec_lo, exec_lo, s28
	s_and_b32 s13, s13, exec_lo
	s_or_saveexec_b32 s27, s27
	v_mov_b32_e32 v2, 0x7f800001
	s_xor_b32 exec_lo, exec_lo, s27
	s_cbranch_execnz .LBB6_1501
.LBB6_594:                              ;   in Loop: Header=BB6_130 Depth=2
	s_or_b32 exec_lo, exec_lo, s27
	s_and_saveexec_b32 s27, s13
	s_cbranch_execz .LBB6_596
.LBB6_595:                              ;   in Loop: Header=BB6_130 Depth=2
	v_bfe_u32 v2, v33, 24, 3
	v_bfe_u32 v116, v33, 27, 4
	v_ffbh_u32_e32 v3, v2
	v_cmp_eq_u32_e32 vcc_lo, 0, v116
	v_min_u32_e32 v3, 32, v3
	v_subrev_nc_u32_e32 v30, 28, v3
	v_sub_nc_u32_e32 v3, 29, v3
	v_lshlrev_b32_sdwa v30, v30, v33 dst_sel:DWORD dst_unused:UNUSED_PAD src0_sel:DWORD src1_sel:BYTE_3
	v_cndmask_b32_e32 v3, v116, v3, vcc_lo
	v_and_b32_e32 v30, 7, v30
	v_lshl_add_u32 v3, v3, 23, 0x3b800000
	v_cndmask_b32_e32 v2, v2, v30, vcc_lo
	v_and_b32_e32 v30, 0x80000000, v33
	v_lshlrev_b32_e32 v2, 20, v2
	v_or3_b32 v2, v30, v3, v2
.LBB6_596:                              ;   in Loop: Header=BB6_130 Depth=2
	s_or_b32 exec_lo, exec_lo, s27
	v_cmp_gt_i16_sdwa s27, v27, v58 src0_sel:BYTE_3 src1_sel:DWORD
	s_mov_b32 s13, 0
	s_and_saveexec_b32 s28, s27
	s_xor_b32 s27, exec_lo, s28
	s_cbranch_execz .LBB6_1502
; %bb.597:                              ;   in Loop: Header=BB6_130 Depth=2
	v_cmp_eq_u16_sdwa s29, v27, v59 src0_sel:BYTE_3 src1_sel:DWORD
	s_mov_b32 s13, -1
	s_and_saveexec_b32 s28, s29
; %bb.598:                              ;   in Loop: Header=BB6_130 Depth=2
	s_xor_b32 s13, exec_lo, -1
; %bb.599:                              ;   in Loop: Header=BB6_130 Depth=2
	s_or_b32 exec_lo, exec_lo, s28
	s_and_b32 s13, s13, exec_lo
	s_or_saveexec_b32 s27, s27
	v_mov_b32_e32 v3, 0x7f800001
	s_xor_b32 exec_lo, exec_lo, s27
	s_cbranch_execnz .LBB6_1503
.LBB6_600:                              ;   in Loop: Header=BB6_130 Depth=2
	s_or_b32 exec_lo, exec_lo, s27
	s_and_saveexec_b32 s27, s13
	s_cbranch_execz .LBB6_602
.LBB6_601:                              ;   in Loop: Header=BB6_130 Depth=2
	v_bfe_u32 v3, v27, 24, 3
	v_bfe_u32 v116, v27, 27, 4
	v_ffbh_u32_e32 v30, v3
	v_cmp_eq_u32_e32 vcc_lo, 0, v116
	v_min_u32_e32 v30, 32, v30
	v_subrev_nc_u32_e32 v33, 28, v30
	v_sub_nc_u32_e32 v30, 29, v30
	v_lshlrev_b32_sdwa v33, v33, v27 dst_sel:DWORD dst_unused:UNUSED_PAD src0_sel:DWORD src1_sel:BYTE_3
	v_cndmask_b32_e32 v30, v116, v30, vcc_lo
	v_and_b32_e32 v27, 0x80000000, v27
	v_and_b32_e32 v33, 7, v33
	v_lshl_add_u32 v30, v30, 23, 0x3b800000
	v_cndmask_b32_e32 v3, v3, v33, vcc_lo
	v_lshlrev_b32_e32 v3, 20, v3
	v_or3_b32 v3, v27, v30, v3
.LBB6_602:                              ;   in Loop: Header=BB6_130 Depth=2
	s_or_b32 exec_lo, exec_lo, s27
	v_add_f32_e32 v2, v2, v3
	v_mov_b32_e32 v27, 0x8000
	s_mov_b32 s27, exec_lo
	v_and_b32_e32 v3, 0x7f800000, v2
	v_cmpx_ne_u32_e32 0x7f800000, v3
	s_cbranch_execz .LBB6_610
; %bb.603:                              ;   in Loop: Header=BB6_130 Depth=2
	v_mov_b32_e32 v27, 0
	s_mov_b32 s28, exec_lo
	v_cmpx_ne_u32_e32 0, v2
	s_cbranch_execz .LBB6_609
; %bb.604:                              ;   in Loop: Header=BB6_130 Depth=2
	v_bfe_u32 v3, v2, 23, 8
	v_and_b32_e32 v27, 0x7fffff, v2
	v_sub_nc_u32_e32 v30, 0x78, v3
	v_cmp_gt_u32_e32 vcc_lo, 0x79, v3
	v_or_b32_e32 v33, 0x800000, v27
	v_cndmask_b32_e32 v30, 0, v30, vcc_lo
	v_cmp_eq_u32_e32 vcc_lo, 0, v3
	v_add_nc_u32_e32 v3, 0xffffff89, v3
	v_cndmask_b32_e64 v30, v30, 0x77, vcc_lo
	v_cndmask_b32_e32 v27, v33, v27, vcc_lo
	v_cndmask_b32_e64 v3, v3, 0xffffff8a, vcc_lo
	v_lshl_add_u32 v33, 0x100000, v30, -1
	v_lshrrev_b32_e32 v116, v30, v27
	v_lshlrev_b32_e64 v46, v30, 0x80000
	v_add_nc_u32_e32 v30, v30, v3
	v_and_b32_e32 v27, v33, v27
	v_bfe_u32 v43, v116, 20, 1
	v_cmp_eq_u32_e64 s13, v27, v46
	v_add_nc_u32_e32 v33, -1, v43
	v_cndmask_b32_e64 v27, 0, v33, s13
	v_lshrrev_b32_e32 v33, 23, v116
	s_mov_b32 s13, exec_lo
	v_add_nc_u32_e32 v27, v27, v116
	v_xor_b32_e32 v33, 1, v33
	v_and_b32_e32 v3, 0xfffff, v27
	v_add_nc_u32_e32 v27, v3, v116
                                        ; implicit-def: $vgpr3
	v_cmpx_ne_u32_e64 v30, v33
	s_xor_b32 s13, exec_lo, s13
; %bb.605:                              ;   in Loop: Header=BB6_130 Depth=2
	v_cmp_lt_u32_e32 vcc_lo, 0xffffff, v27
	v_sub_nc_u32_e32 v3, v30, v33
	v_cndmask_b32_e64 v30, 0, 1, vcc_lo
	v_add_co_ci_u32_e64 v3, null, 0, v3, vcc_lo
	v_lshrrev_b32_e32 v27, v30, v27
; %bb.606:                              ;   in Loop: Header=BB6_130 Depth=2
	s_andn2_saveexec_b32 s13, s13
; %bb.607:                              ;   in Loop: Header=BB6_130 Depth=2
	v_bfe_u32 v3, v27, 23, 1
; %bb.608:                              ;   in Loop: Header=BB6_130 Depth=2
	s_or_b32 exec_lo, exec_lo, s13
	v_lshrrev_b32_e32 v27, 20, v27
	v_min_i32_e32 v30, 15, v3
	v_cmp_gt_i32_e32 vcc_lo, 16, v3
	v_and_b32_sdwa v2, v2, v59 dst_sel:DWORD dst_unused:UNUSED_PAD src0_sel:BYTE_3 src1_sel:DWORD
	v_lshlrev_b32_e32 v30, 3, v30
	v_cndmask_b32_e32 v27, 7, v27, vcc_lo
	v_and_b32_e32 v30, 0xf8, v30
	v_and_b32_e32 v33, 7, v27
	v_or_b32_e32 v3, v3, v27
	v_or3_b32 v2, v2, v30, v33
	v_cmp_ne_u32_e32 vcc_lo, 0, v3
	v_lshlrev_b32_e32 v2, 8, v2
	v_cndmask_b32_e32 v27, 0, v2, vcc_lo
.LBB6_609:                              ;   in Loop: Header=BB6_130 Depth=2
	s_or_b32 exec_lo, exec_lo, s28
.LBB6_610:                              ;   in Loop: Header=BB6_130 Depth=2
	s_or_b32 exec_lo, exec_lo, s27
	v_cmp_gt_i16_sdwa s27, v34, v58 src0_sel:BYTE_0 src1_sel:DWORD
	s_mov_b32 s13, 0
	s_and_saveexec_b32 s28, s27
	s_xor_b32 s27, exec_lo, s28
	s_cbranch_execz .LBB6_1504
; %bb.611:                              ;   in Loop: Header=BB6_130 Depth=2
	v_cmp_eq_u16_sdwa s29, v34, v59 src0_sel:BYTE_0 src1_sel:DWORD
	s_mov_b32 s13, -1
	s_and_saveexec_b32 s28, s29
; %bb.612:                              ;   in Loop: Header=BB6_130 Depth=2
	s_xor_b32 s13, exec_lo, -1
; %bb.613:                              ;   in Loop: Header=BB6_130 Depth=2
	s_or_b32 exec_lo, exec_lo, s28
	s_and_b32 s13, s13, exec_lo
	s_or_saveexec_b32 s27, s27
	v_mov_b32_e32 v2, 0x7f800001
	s_xor_b32 exec_lo, exec_lo, s27
	s_cbranch_execnz .LBB6_1505
.LBB6_614:                              ;   in Loop: Header=BB6_130 Depth=2
	s_or_b32 exec_lo, exec_lo, s27
	s_and_saveexec_b32 s27, s13
	s_cbranch_execz .LBB6_616
.LBB6_615:                              ;   in Loop: Header=BB6_130 Depth=2
	v_and_b32_e32 v2, 7, v34
	v_bfe_u32 v33, v34, 3, 4
	v_lshlrev_b32_e32 v116, 24, v34
	v_ffbh_u32_e32 v3, v2
	v_cmp_eq_u32_e32 vcc_lo, 0, v33
	v_min_u32_e32 v3, 32, v3
	v_subrev_nc_u32_e32 v30, 28, v3
	v_sub_nc_u32_e32 v3, 29, v3
	v_lshlrev_b32_e32 v30, v30, v34
	v_cndmask_b32_e32 v3, v33, v3, vcc_lo
	v_and_b32_e32 v30, 7, v30
	v_lshl_add_u32 v3, v3, 23, 0x3b800000
	v_cndmask_b32_e32 v2, v2, v30, vcc_lo
	v_and_b32_e32 v30, 0x80000000, v116
	v_lshlrev_b32_e32 v2, 20, v2
	v_or3_b32 v2, v30, v3, v2
.LBB6_616:                              ;   in Loop: Header=BB6_130 Depth=2
	s_or_b32 exec_lo, exec_lo, s27
	v_cmp_gt_i16_sdwa s27, v28, v58 src0_sel:BYTE_0 src1_sel:DWORD
	s_mov_b32 s13, 0
	s_and_saveexec_b32 s28, s27
	s_xor_b32 s27, exec_lo, s28
	s_cbranch_execz .LBB6_1506
; %bb.617:                              ;   in Loop: Header=BB6_130 Depth=2
	v_cmp_eq_u16_sdwa s29, v28, v59 src0_sel:BYTE_0 src1_sel:DWORD
	s_mov_b32 s13, -1
	s_and_saveexec_b32 s28, s29
; %bb.618:                              ;   in Loop: Header=BB6_130 Depth=2
	s_xor_b32 s13, exec_lo, -1
; %bb.619:                              ;   in Loop: Header=BB6_130 Depth=2
	s_or_b32 exec_lo, exec_lo, s28
	s_and_b32 s13, s13, exec_lo
	s_or_saveexec_b32 s27, s27
	v_mov_b32_e32 v3, 0x7f800001
	s_xor_b32 exec_lo, exec_lo, s27
	s_cbranch_execnz .LBB6_1507
.LBB6_620:                              ;   in Loop: Header=BB6_130 Depth=2
	s_or_b32 exec_lo, exec_lo, s27
	s_and_saveexec_b32 s27, s13
	s_cbranch_execz .LBB6_622
.LBB6_621:                              ;   in Loop: Header=BB6_130 Depth=2
	v_and_b32_e32 v3, 7, v28
	v_bfe_u32 v116, v28, 3, 4
	v_lshlrev_b32_e32 v43, 24, v28
	v_ffbh_u32_e32 v30, v3
	v_cmp_eq_u32_e32 vcc_lo, 0, v116
	v_min_u32_e32 v30, 32, v30
	v_subrev_nc_u32_e32 v33, 28, v30
	v_sub_nc_u32_e32 v30, 29, v30
	v_lshlrev_b32_e32 v33, v33, v28
	v_cndmask_b32_e32 v30, v116, v30, vcc_lo
	v_and_b32_e32 v33, 7, v33
	v_lshl_add_u32 v30, v30, 23, 0x3b800000
	v_cndmask_b32_e32 v3, v3, v33, vcc_lo
	v_and_b32_e32 v33, 0x80000000, v43
	v_lshlrev_b32_e32 v3, 20, v3
	v_or3_b32 v3, v33, v30, v3
.LBB6_622:                              ;   in Loop: Header=BB6_130 Depth=2
	s_or_b32 exec_lo, exec_lo, s27
	v_add_f32_e32 v2, v2, v3
	v_mov_b32_e32 v33, 0x80
	s_mov_b32 s27, exec_lo
	v_and_b32_e32 v3, 0x7f800000, v2
	v_cmpx_ne_u32_e32 0x7f800000, v3
	s_cbranch_execz .LBB6_630
; %bb.623:                              ;   in Loop: Header=BB6_130 Depth=2
	v_mov_b32_e32 v33, 0
	s_mov_b32 s28, exec_lo
	v_cmpx_ne_u32_e32 0, v2
	s_cbranch_execz .LBB6_629
; %bb.624:                              ;   in Loop: Header=BB6_130 Depth=2
	v_bfe_u32 v3, v2, 23, 8
	v_and_b32_e32 v30, 0x7fffff, v2
	v_sub_nc_u32_e32 v33, 0x78, v3
	v_cmp_gt_u32_e32 vcc_lo, 0x79, v3
	v_or_b32_e32 v116, 0x800000, v30
	v_cndmask_b32_e32 v33, 0, v33, vcc_lo
	v_cmp_eq_u32_e32 vcc_lo, 0, v3
	v_add_nc_u32_e32 v3, 0xffffff89, v3
	v_cndmask_b32_e64 v33, v33, 0x77, vcc_lo
	v_cndmask_b32_e32 v30, v116, v30, vcc_lo
	v_cndmask_b32_e64 v3, v3, 0xffffff8a, vcc_lo
	v_lshl_add_u32 v116, 0x100000, v33, -1
	v_lshrrev_b32_e32 v43, v33, v30
	v_lshlrev_b32_e64 v57, v33, 0x80000
	v_add_nc_u32_e32 v33, v33, v3
	v_and_b32_e32 v30, v116, v30
	v_bfe_u32 v46, v43, 20, 1
	v_cmp_eq_u32_e64 s13, v30, v57
	v_add_nc_u32_e32 v116, -1, v46
	v_cndmask_b32_e64 v30, 0, v116, s13
	v_lshrrev_b32_e32 v116, 23, v43
	s_mov_b32 s13, exec_lo
	v_add_nc_u32_e32 v30, v30, v43
	v_xor_b32_e32 v116, 1, v116
	v_and_b32_e32 v3, 0xfffff, v30
	v_add_nc_u32_e32 v30, v3, v43
                                        ; implicit-def: $vgpr3
	v_cmpx_ne_u32_e64 v33, v116
	s_xor_b32 s13, exec_lo, s13
; %bb.625:                              ;   in Loop: Header=BB6_130 Depth=2
	v_cmp_lt_u32_e32 vcc_lo, 0xffffff, v30
	v_sub_nc_u32_e32 v3, v33, v116
	v_cndmask_b32_e64 v33, 0, 1, vcc_lo
	v_add_co_ci_u32_e64 v3, null, 0, v3, vcc_lo
	v_lshrrev_b32_e32 v30, v33, v30
; %bb.626:                              ;   in Loop: Header=BB6_130 Depth=2
	s_andn2_saveexec_b32 s13, s13
; %bb.627:                              ;   in Loop: Header=BB6_130 Depth=2
	v_bfe_u32 v3, v30, 23, 1
; %bb.628:                              ;   in Loop: Header=BB6_130 Depth=2
	s_or_b32 exec_lo, exec_lo, s13
	v_lshrrev_b32_e32 v30, 20, v30
	v_min_i32_e32 v33, 15, v3
	v_cmp_gt_i32_e32 vcc_lo, 16, v3
	v_and_b32_sdwa v2, v2, v59 dst_sel:DWORD dst_unused:UNUSED_PAD src0_sel:BYTE_3 src1_sel:DWORD
	v_lshlrev_b32_e32 v33, 3, v33
	v_cndmask_b32_e32 v30, 7, v30, vcc_lo
	v_and_b32_e32 v33, 0xf8, v33
	v_and_b32_e32 v116, 7, v30
	v_or_b32_e32 v3, v3, v30
	v_or3_b32 v2, v33, v2, v116
	v_cmp_ne_u32_e32 vcc_lo, 0, v3
	v_cndmask_b32_e32 v33, 0, v2, vcc_lo
.LBB6_629:                              ;   in Loop: Header=BB6_130 Depth=2
	s_or_b32 exec_lo, exec_lo, s28
.LBB6_630:                              ;   in Loop: Header=BB6_130 Depth=2
	s_or_b32 exec_lo, exec_lo, s27
	v_cmp_gt_i16_sdwa s27, v34, v58 src0_sel:BYTE_1 src1_sel:DWORD
	s_mov_b32 s13, 0
	s_and_saveexec_b32 s28, s27
	s_xor_b32 s27, exec_lo, s28
	s_cbranch_execz .LBB6_1508
; %bb.631:                              ;   in Loop: Header=BB6_130 Depth=2
	v_cmp_eq_u16_sdwa s29, v34, v59 src0_sel:BYTE_1 src1_sel:DWORD
	s_mov_b32 s13, -1
	s_and_saveexec_b32 s28, s29
; %bb.632:                              ;   in Loop: Header=BB6_130 Depth=2
	s_xor_b32 s13, exec_lo, -1
; %bb.633:                              ;   in Loop: Header=BB6_130 Depth=2
	s_or_b32 exec_lo, exec_lo, s28
	s_and_b32 s13, s13, exec_lo
	s_or_saveexec_b32 s27, s27
	v_mov_b32_e32 v2, 0x7f800001
	s_xor_b32 exec_lo, exec_lo, s27
	s_cbranch_execnz .LBB6_1509
.LBB6_634:                              ;   in Loop: Header=BB6_130 Depth=2
	s_or_b32 exec_lo, exec_lo, s27
	s_and_saveexec_b32 s27, s13
	s_cbranch_execz .LBB6_636
.LBB6_635:                              ;   in Loop: Header=BB6_130 Depth=2
	v_and_b32_sdwa v2, v60, v34 dst_sel:DWORD dst_unused:UNUSED_PAD src0_sel:DWORD src1_sel:BYTE_1
	v_and_b32_e32 v3, 7, v2
	v_bfe_u32 v43, v2, 3, 4
	v_ffbh_u32_e32 v30, v3
	v_cmp_eq_u32_e32 vcc_lo, 0, v43
	v_min_u32_e32 v30, 32, v30
	v_subrev_nc_u32_e32 v116, 28, v30
	v_sub_nc_u32_e32 v30, 29, v30
	v_lshlrev_b32_e32 v2, v116, v2
	v_lshlrev_b32_sdwa v116, v61, v34 dst_sel:DWORD dst_unused:UNUSED_PAD src0_sel:DWORD src1_sel:BYTE_1
	v_cndmask_b32_e32 v30, v43, v30, vcc_lo
	v_and_b32_e32 v2, 7, v2
	v_lshl_add_u32 v30, v30, 23, 0x3b800000
	v_cndmask_b32_e32 v2, v3, v2, vcc_lo
	v_and_b32_e32 v3, 0x80000000, v116
	v_lshlrev_b32_e32 v2, 20, v2
	v_or3_b32 v2, v3, v30, v2
.LBB6_636:                              ;   in Loop: Header=BB6_130 Depth=2
	s_or_b32 exec_lo, exec_lo, s27
	v_cmp_gt_i16_sdwa s27, v28, v58 src0_sel:BYTE_1 src1_sel:DWORD
	s_mov_b32 s13, 0
	s_and_saveexec_b32 s28, s27
	s_xor_b32 s27, exec_lo, s28
	s_cbranch_execz .LBB6_1510
; %bb.637:                              ;   in Loop: Header=BB6_130 Depth=2
	v_cmp_eq_u16_sdwa s29, v28, v59 src0_sel:BYTE_1 src1_sel:DWORD
	s_mov_b32 s13, -1
	s_and_saveexec_b32 s28, s29
; %bb.638:                              ;   in Loop: Header=BB6_130 Depth=2
	s_xor_b32 s13, exec_lo, -1
; %bb.639:                              ;   in Loop: Header=BB6_130 Depth=2
	s_or_b32 exec_lo, exec_lo, s28
	s_and_b32 s13, s13, exec_lo
	s_or_saveexec_b32 s27, s27
	v_mov_b32_e32 v3, 0x7f800001
	s_xor_b32 exec_lo, exec_lo, s27
	s_cbranch_execnz .LBB6_1511
.LBB6_640:                              ;   in Loop: Header=BB6_130 Depth=2
	s_or_b32 exec_lo, exec_lo, s27
	s_and_saveexec_b32 s27, s13
	s_cbranch_execz .LBB6_642
.LBB6_641:                              ;   in Loop: Header=BB6_130 Depth=2
	v_and_b32_sdwa v3, v60, v28 dst_sel:DWORD dst_unused:UNUSED_PAD src0_sel:DWORD src1_sel:BYTE_1
	v_and_b32_e32 v30, 7, v3
	v_bfe_u32 v46, v3, 3, 4
	v_ffbh_u32_e32 v116, v30
	v_cmp_eq_u32_e32 vcc_lo, 0, v46
	v_min_u32_e32 v116, 32, v116
	v_subrev_nc_u32_e32 v43, 28, v116
	v_sub_nc_u32_e32 v116, 29, v116
	v_lshlrev_b32_e32 v3, v43, v3
	v_lshlrev_b32_sdwa v43, v61, v28 dst_sel:DWORD dst_unused:UNUSED_PAD src0_sel:DWORD src1_sel:BYTE_1
	v_cndmask_b32_e32 v116, v46, v116, vcc_lo
	v_and_b32_e32 v3, 7, v3
	v_lshl_add_u32 v116, v116, 23, 0x3b800000
	v_cndmask_b32_e32 v3, v30, v3, vcc_lo
	v_and_b32_e32 v30, 0x80000000, v43
	v_lshlrev_b32_e32 v3, 20, v3
	v_or3_b32 v3, v30, v116, v3
.LBB6_642:                              ;   in Loop: Header=BB6_130 Depth=2
	s_or_b32 exec_lo, exec_lo, s27
	v_add_f32_e32 v2, v2, v3
	v_mov_b32_e32 v94, 0x8000
	s_mov_b32 s27, exec_lo
	v_and_b32_e32 v3, 0x7f800000, v2
	v_cmpx_ne_u32_e32 0x7f800000, v3
	s_cbranch_execz .LBB6_650
; %bb.643:                              ;   in Loop: Header=BB6_130 Depth=2
	v_mov_b32_e32 v94, 0
	s_mov_b32 s28, exec_lo
	v_cmpx_ne_u32_e32 0, v2
	s_cbranch_execz .LBB6_649
; %bb.644:                              ;   in Loop: Header=BB6_130 Depth=2
	v_bfe_u32 v3, v2, 23, 8
	v_and_b32_e32 v30, 0x7fffff, v2
	v_sub_nc_u32_e32 v116, 0x78, v3
	v_cmp_gt_u32_e32 vcc_lo, 0x79, v3
	v_or_b32_e32 v43, 0x800000, v30
	v_cndmask_b32_e32 v116, 0, v116, vcc_lo
	v_cmp_eq_u32_e32 vcc_lo, 0, v3
	v_add_nc_u32_e32 v3, 0xffffff89, v3
	v_cndmask_b32_e64 v116, v116, 0x77, vcc_lo
	v_cndmask_b32_e32 v30, v43, v30, vcc_lo
	v_cndmask_b32_e64 v3, v3, 0xffffff8a, vcc_lo
	v_lshl_add_u32 v43, 0x100000, v116, -1
	v_lshrrev_b32_e32 v46, v116, v30
	v_lshlrev_b32_e64 v94, v116, 0x80000
	v_add_nc_u32_e32 v116, v116, v3
	v_and_b32_e32 v30, v43, v30
	v_bfe_u32 v57, v46, 20, 1
	v_cmp_eq_u32_e64 s13, v30, v94
	v_add_nc_u32_e32 v43, -1, v57
	v_cndmask_b32_e64 v30, 0, v43, s13
	v_lshrrev_b32_e32 v43, 23, v46
	s_mov_b32 s13, exec_lo
	v_add_nc_u32_e32 v30, v30, v46
	v_xor_b32_e32 v43, 1, v43
	v_and_b32_e32 v3, 0xfffff, v30
	v_add_nc_u32_e32 v30, v3, v46
                                        ; implicit-def: $vgpr3
	v_cmpx_ne_u32_e64 v116, v43
	s_xor_b32 s13, exec_lo, s13
; %bb.645:                              ;   in Loop: Header=BB6_130 Depth=2
	v_cmp_lt_u32_e32 vcc_lo, 0xffffff, v30
	v_sub_nc_u32_e32 v3, v116, v43
	v_cndmask_b32_e64 v116, 0, 1, vcc_lo
	v_add_co_ci_u32_e64 v3, null, 0, v3, vcc_lo
	v_lshrrev_b32_e32 v30, v116, v30
; %bb.646:                              ;   in Loop: Header=BB6_130 Depth=2
	s_andn2_saveexec_b32 s13, s13
; %bb.647:                              ;   in Loop: Header=BB6_130 Depth=2
	v_bfe_u32 v3, v30, 23, 1
; %bb.648:                              ;   in Loop: Header=BB6_130 Depth=2
	s_or_b32 exec_lo, exec_lo, s13
	v_lshrrev_b32_e32 v30, 20, v30
	v_min_i32_e32 v116, 15, v3
	v_cmp_gt_i32_e32 vcc_lo, 16, v3
	v_and_b32_sdwa v2, v2, v59 dst_sel:DWORD dst_unused:UNUSED_PAD src0_sel:BYTE_3 src1_sel:DWORD
	v_lshlrev_b32_e32 v116, 3, v116
	v_cndmask_b32_e32 v30, 7, v30, vcc_lo
	v_and_b32_e32 v116, 0xf8, v116
	v_and_b32_e32 v43, 7, v30
	v_or_b32_e32 v3, v3, v30
	v_or3_b32 v2, v2, v116, v43
	v_cmp_ne_u32_e32 vcc_lo, 0, v3
	v_lshlrev_b32_e32 v2, 8, v2
	v_cndmask_b32_e32 v94, 0, v2, vcc_lo
.LBB6_649:                              ;   in Loop: Header=BB6_130 Depth=2
	s_or_b32 exec_lo, exec_lo, s28
.LBB6_650:                              ;   in Loop: Header=BB6_130 Depth=2
	s_or_b32 exec_lo, exec_lo, s27
	v_and_b32_sdwa v3, v34, v62 dst_sel:DWORD dst_unused:UNUSED_PAD src0_sel:WORD_1 src1_sel:DWORD
	s_mov_b32 s13, 0
	s_mov_b32 s27, exec_lo
	v_cmpx_lt_i16_e32 0x7f, v3
	s_xor_b32 s27, exec_lo, s27
	s_cbranch_execz .LBB6_1512
; %bb.651:                              ;   in Loop: Header=BB6_130 Depth=2
	s_mov_b32 s13, -1
	s_mov_b32 s28, exec_lo
	v_cmpx_eq_u16_e32 0x80, v3
; %bb.652:                              ;   in Loop: Header=BB6_130 Depth=2
	s_xor_b32 s13, exec_lo, -1
; %bb.653:                              ;   in Loop: Header=BB6_130 Depth=2
	s_or_b32 exec_lo, exec_lo, s28
	s_and_b32 s13, s13, exec_lo
                                        ; implicit-def: $vgpr3
	s_or_saveexec_b32 s27, s27
	v_mov_b32_e32 v2, 0x7f800001
	s_xor_b32 exec_lo, exec_lo, s27
	s_cbranch_execnz .LBB6_1513
.LBB6_654:                              ;   in Loop: Header=BB6_130 Depth=2
	s_or_b32 exec_lo, exec_lo, s27
	s_and_saveexec_b32 s27, s13
	s_cbranch_execz .LBB6_656
.LBB6_655:                              ;   in Loop: Header=BB6_130 Depth=2
	v_bfe_u32 v2, v34, 16, 3
	v_bfe_u32 v116, v34, 19, 4
	v_lshlrev_b32_e32 v43, 8, v34
	v_ffbh_u32_e32 v3, v2
	v_cmp_eq_u32_e32 vcc_lo, 0, v116
	v_min_u32_e32 v3, 32, v3
	v_subrev_nc_u32_e32 v30, 28, v3
	v_sub_nc_u32_e32 v3, 29, v3
	v_lshlrev_b32_sdwa v30, v30, v34 dst_sel:DWORD dst_unused:UNUSED_PAD src0_sel:DWORD src1_sel:WORD_1
	v_cndmask_b32_e32 v3, v116, v3, vcc_lo
	v_and_b32_e32 v30, 7, v30
	v_lshl_add_u32 v3, v3, 23, 0x3b800000
	v_cndmask_b32_e32 v2, v2, v30, vcc_lo
	v_and_b32_e32 v30, 0x80000000, v43
	v_lshlrev_b32_e32 v2, 20, v2
	v_or3_b32 v2, v30, v3, v2
.LBB6_656:                              ;   in Loop: Header=BB6_130 Depth=2
	s_or_b32 exec_lo, exec_lo, s27
	v_and_b32_sdwa v30, v28, v62 dst_sel:DWORD dst_unused:UNUSED_PAD src0_sel:WORD_1 src1_sel:DWORD
	s_mov_b32 s13, 0
	s_mov_b32 s27, exec_lo
	v_cmpx_lt_i16_e32 0x7f, v30
	s_xor_b32 s27, exec_lo, s27
	s_cbranch_execz .LBB6_1514
; %bb.657:                              ;   in Loop: Header=BB6_130 Depth=2
	s_mov_b32 s13, -1
	s_mov_b32 s28, exec_lo
	v_cmpx_eq_u16_e32 0x80, v30
; %bb.658:                              ;   in Loop: Header=BB6_130 Depth=2
	s_xor_b32 s13, exec_lo, -1
; %bb.659:                              ;   in Loop: Header=BB6_130 Depth=2
	s_or_b32 exec_lo, exec_lo, s28
	s_and_b32 s13, s13, exec_lo
                                        ; implicit-def: $vgpr30
	s_or_saveexec_b32 s27, s27
	v_mov_b32_e32 v3, 0x7f800001
	s_xor_b32 exec_lo, exec_lo, s27
	s_cbranch_execnz .LBB6_1515
.LBB6_660:                              ;   in Loop: Header=BB6_130 Depth=2
	s_or_b32 exec_lo, exec_lo, s27
	s_and_saveexec_b32 s27, s13
	s_cbranch_execz .LBB6_662
.LBB6_661:                              ;   in Loop: Header=BB6_130 Depth=2
	v_bfe_u32 v3, v28, 16, 3
	v_bfe_u32 v43, v28, 19, 4
	v_lshlrev_b32_e32 v46, 8, v28
	v_ffbh_u32_e32 v30, v3
	v_cmp_eq_u32_e32 vcc_lo, 0, v43
	v_min_u32_e32 v30, 32, v30
	v_subrev_nc_u32_e32 v116, 28, v30
	v_sub_nc_u32_e32 v30, 29, v30
	v_lshlrev_b32_sdwa v116, v116, v28 dst_sel:DWORD dst_unused:UNUSED_PAD src0_sel:DWORD src1_sel:WORD_1
	v_cndmask_b32_e32 v30, v43, v30, vcc_lo
	v_and_b32_e32 v116, 7, v116
	v_lshl_add_u32 v30, v30, 23, 0x3b800000
	v_cndmask_b32_e32 v3, v3, v116, vcc_lo
	v_and_b32_e32 v116, 0x80000000, v46
	v_lshlrev_b32_e32 v3, 20, v3
	v_or3_b32 v3, v116, v30, v3
.LBB6_662:                              ;   in Loop: Header=BB6_130 Depth=2
	s_or_b32 exec_lo, exec_lo, s27
	v_add_f32_e32 v2, v2, v3
	v_mov_b32_e32 v95, 0x80
	s_mov_b32 s27, exec_lo
	v_and_b32_e32 v3, 0x7f800000, v2
	v_cmpx_ne_u32_e32 0x7f800000, v3
	s_cbranch_execz .LBB6_670
; %bb.663:                              ;   in Loop: Header=BB6_130 Depth=2
	v_mov_b32_e32 v95, 0
	s_mov_b32 s28, exec_lo
	v_cmpx_ne_u32_e32 0, v2
	s_cbranch_execz .LBB6_669
; %bb.664:                              ;   in Loop: Header=BB6_130 Depth=2
	v_bfe_u32 v3, v2, 23, 8
	v_and_b32_e32 v30, 0x7fffff, v2
	v_sub_nc_u32_e32 v116, 0x78, v3
	v_cmp_gt_u32_e32 vcc_lo, 0x79, v3
	v_or_b32_e32 v43, 0x800000, v30
	v_cndmask_b32_e32 v116, 0, v116, vcc_lo
	v_cmp_eq_u32_e32 vcc_lo, 0, v3
	v_add_nc_u32_e32 v3, 0xffffff89, v3
	v_cndmask_b32_e64 v116, v116, 0x77, vcc_lo
	v_cndmask_b32_e32 v30, v43, v30, vcc_lo
	v_cndmask_b32_e64 v3, v3, 0xffffff8a, vcc_lo
	v_lshl_add_u32 v43, 0x100000, v116, -1
	v_lshrrev_b32_e32 v46, v116, v30
	v_lshlrev_b32_e64 v95, v116, 0x80000
	v_add_nc_u32_e32 v116, v116, v3
	v_and_b32_e32 v30, v43, v30
	v_bfe_u32 v57, v46, 20, 1
	v_cmp_eq_u32_e64 s13, v30, v95
	v_add_nc_u32_e32 v43, -1, v57
	v_cndmask_b32_e64 v30, 0, v43, s13
	v_lshrrev_b32_e32 v43, 23, v46
	s_mov_b32 s13, exec_lo
	v_add_nc_u32_e32 v30, v30, v46
	v_xor_b32_e32 v43, 1, v43
	v_and_b32_e32 v3, 0xfffff, v30
	v_add_nc_u32_e32 v30, v3, v46
                                        ; implicit-def: $vgpr3
	v_cmpx_ne_u32_e64 v116, v43
	s_xor_b32 s13, exec_lo, s13
; %bb.665:                              ;   in Loop: Header=BB6_130 Depth=2
	v_cmp_lt_u32_e32 vcc_lo, 0xffffff, v30
	v_sub_nc_u32_e32 v3, v116, v43
	v_cndmask_b32_e64 v116, 0, 1, vcc_lo
	v_add_co_ci_u32_e64 v3, null, 0, v3, vcc_lo
	v_lshrrev_b32_e32 v30, v116, v30
; %bb.666:                              ;   in Loop: Header=BB6_130 Depth=2
	s_andn2_saveexec_b32 s13, s13
; %bb.667:                              ;   in Loop: Header=BB6_130 Depth=2
	v_bfe_u32 v3, v30, 23, 1
; %bb.668:                              ;   in Loop: Header=BB6_130 Depth=2
	s_or_b32 exec_lo, exec_lo, s13
	v_lshrrev_b32_e32 v30, 20, v30
	v_min_i32_e32 v116, 15, v3
	v_cmp_gt_i32_e32 vcc_lo, 16, v3
	v_and_b32_sdwa v2, v2, v59 dst_sel:DWORD dst_unused:UNUSED_PAD src0_sel:BYTE_3 src1_sel:DWORD
	v_lshlrev_b32_e32 v116, 3, v116
	v_cndmask_b32_e32 v30, 7, v30, vcc_lo
	v_and_b32_e32 v116, 0xf8, v116
	v_and_b32_e32 v43, 7, v30
	v_or_b32_e32 v3, v3, v30
	v_or3_b32 v2, v116, v2, v43
	v_cmp_ne_u32_e32 vcc_lo, 0, v3
	v_cndmask_b32_e32 v95, 0, v2, vcc_lo
.LBB6_669:                              ;   in Loop: Header=BB6_130 Depth=2
	s_or_b32 exec_lo, exec_lo, s28
.LBB6_670:                              ;   in Loop: Header=BB6_130 Depth=2
	s_or_b32 exec_lo, exec_lo, s27
	v_cmp_gt_i16_sdwa s27, v34, v58 src0_sel:BYTE_3 src1_sel:DWORD
	s_mov_b32 s13, 0
	s_and_saveexec_b32 s28, s27
	s_xor_b32 s27, exec_lo, s28
	s_cbranch_execz .LBB6_1516
; %bb.671:                              ;   in Loop: Header=BB6_130 Depth=2
	v_cmp_eq_u16_sdwa s29, v34, v59 src0_sel:BYTE_3 src1_sel:DWORD
	s_mov_b32 s13, -1
	s_and_saveexec_b32 s28, s29
; %bb.672:                              ;   in Loop: Header=BB6_130 Depth=2
	s_xor_b32 s13, exec_lo, -1
; %bb.673:                              ;   in Loop: Header=BB6_130 Depth=2
	s_or_b32 exec_lo, exec_lo, s28
	s_and_b32 s13, s13, exec_lo
	s_or_saveexec_b32 s27, s27
	v_mov_b32_e32 v2, 0x7f800001
	s_xor_b32 exec_lo, exec_lo, s27
	s_cbranch_execnz .LBB6_1517
.LBB6_674:                              ;   in Loop: Header=BB6_130 Depth=2
	s_or_b32 exec_lo, exec_lo, s27
	s_and_saveexec_b32 s27, s13
	s_cbranch_execz .LBB6_676
.LBB6_675:                              ;   in Loop: Header=BB6_130 Depth=2
	v_bfe_u32 v2, v34, 24, 3
	v_bfe_u32 v116, v34, 27, 4
	v_ffbh_u32_e32 v3, v2
	v_cmp_eq_u32_e32 vcc_lo, 0, v116
	v_min_u32_e32 v3, 32, v3
	v_subrev_nc_u32_e32 v30, 28, v3
	v_sub_nc_u32_e32 v3, 29, v3
	v_lshlrev_b32_sdwa v30, v30, v34 dst_sel:DWORD dst_unused:UNUSED_PAD src0_sel:DWORD src1_sel:BYTE_3
	v_cndmask_b32_e32 v3, v116, v3, vcc_lo
	v_and_b32_e32 v30, 7, v30
	v_lshl_add_u32 v3, v3, 23, 0x3b800000
	v_cndmask_b32_e32 v2, v2, v30, vcc_lo
	v_and_b32_e32 v30, 0x80000000, v34
	v_lshlrev_b32_e32 v2, 20, v2
	v_or3_b32 v2, v30, v3, v2
.LBB6_676:                              ;   in Loop: Header=BB6_130 Depth=2
	s_or_b32 exec_lo, exec_lo, s27
	v_cmp_gt_i16_sdwa s27, v28, v58 src0_sel:BYTE_3 src1_sel:DWORD
	s_mov_b32 s13, 0
	s_and_saveexec_b32 s28, s27
	s_xor_b32 s27, exec_lo, s28
	s_cbranch_execz .LBB6_1518
; %bb.677:                              ;   in Loop: Header=BB6_130 Depth=2
	v_cmp_eq_u16_sdwa s29, v28, v59 src0_sel:BYTE_3 src1_sel:DWORD
	s_mov_b32 s13, -1
	s_and_saveexec_b32 s28, s29
; %bb.678:                              ;   in Loop: Header=BB6_130 Depth=2
	s_xor_b32 s13, exec_lo, -1
; %bb.679:                              ;   in Loop: Header=BB6_130 Depth=2
	s_or_b32 exec_lo, exec_lo, s28
	s_and_b32 s13, s13, exec_lo
	s_or_saveexec_b32 s27, s27
	v_mov_b32_e32 v3, 0x7f800001
	s_xor_b32 exec_lo, exec_lo, s27
	s_cbranch_execnz .LBB6_1519
.LBB6_680:                              ;   in Loop: Header=BB6_130 Depth=2
	s_or_b32 exec_lo, exec_lo, s27
	s_and_saveexec_b32 s27, s13
	s_cbranch_execz .LBB6_682
.LBB6_681:                              ;   in Loop: Header=BB6_130 Depth=2
	v_bfe_u32 v3, v28, 24, 3
	v_bfe_u32 v116, v28, 27, 4
	v_ffbh_u32_e32 v30, v3
	v_cmp_eq_u32_e32 vcc_lo, 0, v116
	v_min_u32_e32 v30, 32, v30
	v_subrev_nc_u32_e32 v34, 28, v30
	v_sub_nc_u32_e32 v30, 29, v30
	v_lshlrev_b32_sdwa v34, v34, v28 dst_sel:DWORD dst_unused:UNUSED_PAD src0_sel:DWORD src1_sel:BYTE_3
	v_cndmask_b32_e32 v30, v116, v30, vcc_lo
	v_and_b32_e32 v28, 0x80000000, v28
	v_and_b32_e32 v34, 7, v34
	v_lshl_add_u32 v30, v30, 23, 0x3b800000
	v_cndmask_b32_e32 v3, v3, v34, vcc_lo
	v_lshlrev_b32_e32 v3, 20, v3
	v_or3_b32 v3, v28, v30, v3
.LBB6_682:                              ;   in Loop: Header=BB6_130 Depth=2
	s_or_b32 exec_lo, exec_lo, s27
	v_add_f32_e32 v2, v2, v3
	v_mov_b32_e32 v28, 0x8000
	s_mov_b32 s27, exec_lo
	v_and_b32_e32 v3, 0x7f800000, v2
	v_cmpx_ne_u32_e32 0x7f800000, v3
	s_cbranch_execz .LBB6_690
; %bb.683:                              ;   in Loop: Header=BB6_130 Depth=2
	v_mov_b32_e32 v28, 0
	s_mov_b32 s28, exec_lo
	v_cmpx_ne_u32_e32 0, v2
	s_cbranch_execz .LBB6_689
; %bb.684:                              ;   in Loop: Header=BB6_130 Depth=2
	v_bfe_u32 v3, v2, 23, 8
	v_and_b32_e32 v28, 0x7fffff, v2
	v_sub_nc_u32_e32 v30, 0x78, v3
	v_cmp_gt_u32_e32 vcc_lo, 0x79, v3
	v_or_b32_e32 v34, 0x800000, v28
	v_cndmask_b32_e32 v30, 0, v30, vcc_lo
	v_cmp_eq_u32_e32 vcc_lo, 0, v3
	v_add_nc_u32_e32 v3, 0xffffff89, v3
	v_cndmask_b32_e64 v30, v30, 0x77, vcc_lo
	v_cndmask_b32_e32 v28, v34, v28, vcc_lo
	v_cndmask_b32_e64 v3, v3, 0xffffff8a, vcc_lo
	v_lshl_add_u32 v34, 0x100000, v30, -1
	v_lshrrev_b32_e32 v116, v30, v28
	v_lshlrev_b32_e64 v46, v30, 0x80000
	v_add_nc_u32_e32 v30, v30, v3
	v_and_b32_e32 v28, v34, v28
	v_bfe_u32 v43, v116, 20, 1
	v_cmp_eq_u32_e64 s13, v28, v46
	v_add_nc_u32_e32 v34, -1, v43
	v_cndmask_b32_e64 v28, 0, v34, s13
	v_lshrrev_b32_e32 v34, 23, v116
	s_mov_b32 s13, exec_lo
	v_add_nc_u32_e32 v28, v28, v116
	v_xor_b32_e32 v34, 1, v34
	v_and_b32_e32 v3, 0xfffff, v28
	v_add_nc_u32_e32 v28, v3, v116
                                        ; implicit-def: $vgpr3
	v_cmpx_ne_u32_e64 v30, v34
	s_xor_b32 s13, exec_lo, s13
; %bb.685:                              ;   in Loop: Header=BB6_130 Depth=2
	v_cmp_lt_u32_e32 vcc_lo, 0xffffff, v28
	v_sub_nc_u32_e32 v3, v30, v34
	v_cndmask_b32_e64 v30, 0, 1, vcc_lo
	v_add_co_ci_u32_e64 v3, null, 0, v3, vcc_lo
	v_lshrrev_b32_e32 v28, v30, v28
; %bb.686:                              ;   in Loop: Header=BB6_130 Depth=2
	s_andn2_saveexec_b32 s13, s13
; %bb.687:                              ;   in Loop: Header=BB6_130 Depth=2
	v_bfe_u32 v3, v28, 23, 1
; %bb.688:                              ;   in Loop: Header=BB6_130 Depth=2
	s_or_b32 exec_lo, exec_lo, s13
	v_lshrrev_b32_e32 v28, 20, v28
	v_min_i32_e32 v30, 15, v3
	v_cmp_gt_i32_e32 vcc_lo, 16, v3
	v_and_b32_sdwa v2, v2, v59 dst_sel:DWORD dst_unused:UNUSED_PAD src0_sel:BYTE_3 src1_sel:DWORD
	v_lshlrev_b32_e32 v30, 3, v30
	v_cndmask_b32_e32 v28, 7, v28, vcc_lo
	v_and_b32_e32 v30, 0xf8, v30
	v_and_b32_e32 v34, 7, v28
	v_or_b32_e32 v3, v3, v28
	v_or3_b32 v2, v2, v30, v34
	v_cmp_ne_u32_e32 vcc_lo, 0, v3
	v_lshlrev_b32_e32 v2, 8, v2
	v_cndmask_b32_e32 v28, 0, v2, vcc_lo
.LBB6_689:                              ;   in Loop: Header=BB6_130 Depth=2
	s_or_b32 exec_lo, exec_lo, s28
.LBB6_690:                              ;   in Loop: Header=BB6_130 Depth=2
	s_or_b32 exec_lo, exec_lo, s27
	v_cmp_gt_i16_sdwa s27, v35, v58 src0_sel:BYTE_0 src1_sel:DWORD
	s_mov_b32 s13, 0
	s_and_saveexec_b32 s28, s27
	s_xor_b32 s27, exec_lo, s28
	s_cbranch_execz .LBB6_1520
; %bb.691:                              ;   in Loop: Header=BB6_130 Depth=2
	v_cmp_eq_u16_sdwa s29, v35, v59 src0_sel:BYTE_0 src1_sel:DWORD
	s_mov_b32 s13, -1
	s_and_saveexec_b32 s28, s29
; %bb.692:                              ;   in Loop: Header=BB6_130 Depth=2
	s_xor_b32 s13, exec_lo, -1
; %bb.693:                              ;   in Loop: Header=BB6_130 Depth=2
	s_or_b32 exec_lo, exec_lo, s28
	s_and_b32 s13, s13, exec_lo
	s_or_saveexec_b32 s27, s27
	v_mov_b32_e32 v2, 0x7f800001
	s_xor_b32 exec_lo, exec_lo, s27
	s_cbranch_execnz .LBB6_1521
.LBB6_694:                              ;   in Loop: Header=BB6_130 Depth=2
	s_or_b32 exec_lo, exec_lo, s27
	s_and_saveexec_b32 s27, s13
	s_cbranch_execz .LBB6_696
.LBB6_695:                              ;   in Loop: Header=BB6_130 Depth=2
	v_and_b32_e32 v2, 7, v35
	v_bfe_u32 v34, v35, 3, 4
	v_lshlrev_b32_e32 v116, 24, v35
	v_ffbh_u32_e32 v3, v2
	v_cmp_eq_u32_e32 vcc_lo, 0, v34
	v_min_u32_e32 v3, 32, v3
	v_subrev_nc_u32_e32 v30, 28, v3
	v_sub_nc_u32_e32 v3, 29, v3
	v_lshlrev_b32_e32 v30, v30, v35
	v_cndmask_b32_e32 v3, v34, v3, vcc_lo
	v_and_b32_e32 v30, 7, v30
	v_lshl_add_u32 v3, v3, 23, 0x3b800000
	v_cndmask_b32_e32 v2, v2, v30, vcc_lo
	v_and_b32_e32 v30, 0x80000000, v116
	v_lshlrev_b32_e32 v2, 20, v2
	v_or3_b32 v2, v30, v3, v2
.LBB6_696:                              ;   in Loop: Header=BB6_130 Depth=2
	s_or_b32 exec_lo, exec_lo, s27
	v_cmp_gt_i16_sdwa s27, v29, v58 src0_sel:BYTE_0 src1_sel:DWORD
	s_mov_b32 s13, 0
	s_and_saveexec_b32 s28, s27
	s_xor_b32 s27, exec_lo, s28
	s_cbranch_execz .LBB6_1522
; %bb.697:                              ;   in Loop: Header=BB6_130 Depth=2
	v_cmp_eq_u16_sdwa s29, v29, v59 src0_sel:BYTE_0 src1_sel:DWORD
	s_mov_b32 s13, -1
	s_and_saveexec_b32 s28, s29
; %bb.698:                              ;   in Loop: Header=BB6_130 Depth=2
	s_xor_b32 s13, exec_lo, -1
; %bb.699:                              ;   in Loop: Header=BB6_130 Depth=2
	s_or_b32 exec_lo, exec_lo, s28
	s_and_b32 s13, s13, exec_lo
	s_or_saveexec_b32 s27, s27
	v_mov_b32_e32 v3, 0x7f800001
	s_xor_b32 exec_lo, exec_lo, s27
	s_cbranch_execnz .LBB6_1523
.LBB6_700:                              ;   in Loop: Header=BB6_130 Depth=2
	s_or_b32 exec_lo, exec_lo, s27
	s_and_saveexec_b32 s27, s13
	s_cbranch_execz .LBB6_702
.LBB6_701:                              ;   in Loop: Header=BB6_130 Depth=2
	v_and_b32_e32 v3, 7, v29
	v_bfe_u32 v116, v29, 3, 4
	v_lshlrev_b32_e32 v43, 24, v29
	v_ffbh_u32_e32 v30, v3
	v_cmp_eq_u32_e32 vcc_lo, 0, v116
	v_min_u32_e32 v30, 32, v30
	v_subrev_nc_u32_e32 v34, 28, v30
	v_sub_nc_u32_e32 v30, 29, v30
	v_lshlrev_b32_e32 v34, v34, v29
	v_cndmask_b32_e32 v30, v116, v30, vcc_lo
	v_and_b32_e32 v34, 7, v34
	v_lshl_add_u32 v30, v30, 23, 0x3b800000
	v_cndmask_b32_e32 v3, v3, v34, vcc_lo
	v_and_b32_e32 v34, 0x80000000, v43
	v_lshlrev_b32_e32 v3, 20, v3
	v_or3_b32 v3, v34, v30, v3
.LBB6_702:                              ;   in Loop: Header=BB6_130 Depth=2
	s_or_b32 exec_lo, exec_lo, s27
	v_add_f32_e32 v2, v2, v3
	v_mov_b32_e32 v34, 0x80
	s_mov_b32 s27, exec_lo
	v_and_b32_e32 v3, 0x7f800000, v2
	v_cmpx_ne_u32_e32 0x7f800000, v3
	s_cbranch_execz .LBB6_710
; %bb.703:                              ;   in Loop: Header=BB6_130 Depth=2
	v_mov_b32_e32 v34, 0
	s_mov_b32 s28, exec_lo
	v_cmpx_ne_u32_e32 0, v2
	s_cbranch_execz .LBB6_709
; %bb.704:                              ;   in Loop: Header=BB6_130 Depth=2
	v_bfe_u32 v3, v2, 23, 8
	v_and_b32_e32 v30, 0x7fffff, v2
	v_sub_nc_u32_e32 v34, 0x78, v3
	v_cmp_gt_u32_e32 vcc_lo, 0x79, v3
	v_or_b32_e32 v116, 0x800000, v30
	v_cndmask_b32_e32 v34, 0, v34, vcc_lo
	v_cmp_eq_u32_e32 vcc_lo, 0, v3
	v_add_nc_u32_e32 v3, 0xffffff89, v3
	v_cndmask_b32_e64 v34, v34, 0x77, vcc_lo
	v_cndmask_b32_e32 v30, v116, v30, vcc_lo
	v_cndmask_b32_e64 v3, v3, 0xffffff8a, vcc_lo
	v_lshl_add_u32 v116, 0x100000, v34, -1
	v_lshrrev_b32_e32 v43, v34, v30
	v_lshlrev_b32_e64 v57, v34, 0x80000
	v_add_nc_u32_e32 v34, v34, v3
	v_and_b32_e32 v30, v116, v30
	v_bfe_u32 v46, v43, 20, 1
	v_cmp_eq_u32_e64 s13, v30, v57
	v_add_nc_u32_e32 v116, -1, v46
	v_cndmask_b32_e64 v30, 0, v116, s13
	v_lshrrev_b32_e32 v116, 23, v43
	s_mov_b32 s13, exec_lo
	v_add_nc_u32_e32 v30, v30, v43
	v_xor_b32_e32 v116, 1, v116
	v_and_b32_e32 v3, 0xfffff, v30
	v_add_nc_u32_e32 v30, v3, v43
                                        ; implicit-def: $vgpr3
	v_cmpx_ne_u32_e64 v34, v116
	s_xor_b32 s13, exec_lo, s13
; %bb.705:                              ;   in Loop: Header=BB6_130 Depth=2
	v_cmp_lt_u32_e32 vcc_lo, 0xffffff, v30
	v_sub_nc_u32_e32 v3, v34, v116
	v_cndmask_b32_e64 v34, 0, 1, vcc_lo
	v_add_co_ci_u32_e64 v3, null, 0, v3, vcc_lo
	v_lshrrev_b32_e32 v30, v34, v30
; %bb.706:                              ;   in Loop: Header=BB6_130 Depth=2
	s_andn2_saveexec_b32 s13, s13
; %bb.707:                              ;   in Loop: Header=BB6_130 Depth=2
	v_bfe_u32 v3, v30, 23, 1
; %bb.708:                              ;   in Loop: Header=BB6_130 Depth=2
	s_or_b32 exec_lo, exec_lo, s13
	v_lshrrev_b32_e32 v30, 20, v30
	v_min_i32_e32 v34, 15, v3
	v_cmp_gt_i32_e32 vcc_lo, 16, v3
	v_and_b32_sdwa v2, v2, v59 dst_sel:DWORD dst_unused:UNUSED_PAD src0_sel:BYTE_3 src1_sel:DWORD
	v_lshlrev_b32_e32 v34, 3, v34
	v_cndmask_b32_e32 v30, 7, v30, vcc_lo
	v_and_b32_e32 v34, 0xf8, v34
	v_and_b32_e32 v116, 7, v30
	v_or_b32_e32 v3, v3, v30
	v_or3_b32 v2, v34, v2, v116
	v_cmp_ne_u32_e32 vcc_lo, 0, v3
	v_cndmask_b32_e32 v34, 0, v2, vcc_lo
.LBB6_709:                              ;   in Loop: Header=BB6_130 Depth=2
	s_or_b32 exec_lo, exec_lo, s28
.LBB6_710:                              ;   in Loop: Header=BB6_130 Depth=2
	s_or_b32 exec_lo, exec_lo, s27
	v_cmp_gt_i16_sdwa s27, v35, v58 src0_sel:BYTE_1 src1_sel:DWORD
	s_mov_b32 s13, 0
	s_and_saveexec_b32 s28, s27
	s_xor_b32 s27, exec_lo, s28
	s_cbranch_execz .LBB6_1524
; %bb.711:                              ;   in Loop: Header=BB6_130 Depth=2
	v_cmp_eq_u16_sdwa s29, v35, v59 src0_sel:BYTE_1 src1_sel:DWORD
	s_mov_b32 s13, -1
	s_and_saveexec_b32 s28, s29
; %bb.712:                              ;   in Loop: Header=BB6_130 Depth=2
	s_xor_b32 s13, exec_lo, -1
; %bb.713:                              ;   in Loop: Header=BB6_130 Depth=2
	s_or_b32 exec_lo, exec_lo, s28
	s_and_b32 s13, s13, exec_lo
	s_or_saveexec_b32 s27, s27
	v_mov_b32_e32 v2, 0x7f800001
	s_xor_b32 exec_lo, exec_lo, s27
	s_cbranch_execnz .LBB6_1525
.LBB6_714:                              ;   in Loop: Header=BB6_130 Depth=2
	s_or_b32 exec_lo, exec_lo, s27
	s_and_saveexec_b32 s27, s13
	s_cbranch_execz .LBB6_716
.LBB6_715:                              ;   in Loop: Header=BB6_130 Depth=2
	v_and_b32_sdwa v2, v60, v35 dst_sel:DWORD dst_unused:UNUSED_PAD src0_sel:DWORD src1_sel:BYTE_1
	v_and_b32_e32 v3, 7, v2
	v_bfe_u32 v43, v2, 3, 4
	v_ffbh_u32_e32 v30, v3
	v_cmp_eq_u32_e32 vcc_lo, 0, v43
	v_min_u32_e32 v30, 32, v30
	v_subrev_nc_u32_e32 v116, 28, v30
	v_sub_nc_u32_e32 v30, 29, v30
	v_lshlrev_b32_e32 v2, v116, v2
	v_lshlrev_b32_sdwa v116, v61, v35 dst_sel:DWORD dst_unused:UNUSED_PAD src0_sel:DWORD src1_sel:BYTE_1
	v_cndmask_b32_e32 v30, v43, v30, vcc_lo
	v_and_b32_e32 v2, 7, v2
	v_lshl_add_u32 v30, v30, 23, 0x3b800000
	v_cndmask_b32_e32 v2, v3, v2, vcc_lo
	v_and_b32_e32 v3, 0x80000000, v116
	v_lshlrev_b32_e32 v2, 20, v2
	v_or3_b32 v2, v3, v30, v2
.LBB6_716:                              ;   in Loop: Header=BB6_130 Depth=2
	s_or_b32 exec_lo, exec_lo, s27
	v_cmp_gt_i16_sdwa s27, v29, v58 src0_sel:BYTE_1 src1_sel:DWORD
	s_mov_b32 s13, 0
	s_and_saveexec_b32 s28, s27
	s_xor_b32 s27, exec_lo, s28
	s_cbranch_execz .LBB6_1526
; %bb.717:                              ;   in Loop: Header=BB6_130 Depth=2
	v_cmp_eq_u16_sdwa s29, v29, v59 src0_sel:BYTE_1 src1_sel:DWORD
	s_mov_b32 s13, -1
	s_and_saveexec_b32 s28, s29
; %bb.718:                              ;   in Loop: Header=BB6_130 Depth=2
	s_xor_b32 s13, exec_lo, -1
; %bb.719:                              ;   in Loop: Header=BB6_130 Depth=2
	s_or_b32 exec_lo, exec_lo, s28
	s_and_b32 s13, s13, exec_lo
	s_or_saveexec_b32 s27, s27
	v_mov_b32_e32 v3, 0x7f800001
	s_xor_b32 exec_lo, exec_lo, s27
	s_cbranch_execnz .LBB6_1527
.LBB6_720:                              ;   in Loop: Header=BB6_130 Depth=2
	s_or_b32 exec_lo, exec_lo, s27
	s_and_saveexec_b32 s27, s13
	s_cbranch_execz .LBB6_722
.LBB6_721:                              ;   in Loop: Header=BB6_130 Depth=2
	v_and_b32_sdwa v3, v60, v29 dst_sel:DWORD dst_unused:UNUSED_PAD src0_sel:DWORD src1_sel:BYTE_1
	v_and_b32_e32 v30, 7, v3
	v_bfe_u32 v46, v3, 3, 4
	v_ffbh_u32_e32 v116, v30
	v_cmp_eq_u32_e32 vcc_lo, 0, v46
	v_min_u32_e32 v116, 32, v116
	v_subrev_nc_u32_e32 v43, 28, v116
	v_sub_nc_u32_e32 v116, 29, v116
	v_lshlrev_b32_e32 v3, v43, v3
	v_lshlrev_b32_sdwa v43, v61, v29 dst_sel:DWORD dst_unused:UNUSED_PAD src0_sel:DWORD src1_sel:BYTE_1
	v_cndmask_b32_e32 v116, v46, v116, vcc_lo
	v_and_b32_e32 v3, 7, v3
	v_lshl_add_u32 v116, v116, 23, 0x3b800000
	v_cndmask_b32_e32 v3, v30, v3, vcc_lo
	v_and_b32_e32 v30, 0x80000000, v43
	v_lshlrev_b32_e32 v3, 20, v3
	v_or3_b32 v3, v30, v116, v3
.LBB6_722:                              ;   in Loop: Header=BB6_130 Depth=2
	s_or_b32 exec_lo, exec_lo, s27
	v_add_f32_e32 v2, v2, v3
	v_mov_b32_e32 v104, 0x8000
	s_mov_b32 s27, exec_lo
	v_and_b32_e32 v3, 0x7f800000, v2
	v_cmpx_ne_u32_e32 0x7f800000, v3
	s_cbranch_execz .LBB6_730
; %bb.723:                              ;   in Loop: Header=BB6_130 Depth=2
	v_mov_b32_e32 v104, 0
	s_mov_b32 s28, exec_lo
	v_cmpx_ne_u32_e32 0, v2
	s_cbranch_execz .LBB6_729
; %bb.724:                              ;   in Loop: Header=BB6_130 Depth=2
	v_bfe_u32 v3, v2, 23, 8
	v_and_b32_e32 v30, 0x7fffff, v2
	v_sub_nc_u32_e32 v116, 0x78, v3
	v_cmp_gt_u32_e32 vcc_lo, 0x79, v3
	v_or_b32_e32 v43, 0x800000, v30
	v_cndmask_b32_e32 v116, 0, v116, vcc_lo
	v_cmp_eq_u32_e32 vcc_lo, 0, v3
	v_add_nc_u32_e32 v3, 0xffffff89, v3
	v_cndmask_b32_e64 v116, v116, 0x77, vcc_lo
	v_cndmask_b32_e32 v30, v43, v30, vcc_lo
	v_cndmask_b32_e64 v3, v3, 0xffffff8a, vcc_lo
	v_lshl_add_u32 v43, 0x100000, v116, -1
	v_lshrrev_b32_e32 v46, v116, v30
	v_lshlrev_b32_e64 v104, v116, 0x80000
	v_add_nc_u32_e32 v116, v116, v3
	v_and_b32_e32 v30, v43, v30
	v_bfe_u32 v57, v46, 20, 1
	v_cmp_eq_u32_e64 s13, v30, v104
	v_add_nc_u32_e32 v43, -1, v57
	v_cndmask_b32_e64 v30, 0, v43, s13
	v_lshrrev_b32_e32 v43, 23, v46
	s_mov_b32 s13, exec_lo
	v_add_nc_u32_e32 v30, v30, v46
	v_xor_b32_e32 v43, 1, v43
	v_and_b32_e32 v3, 0xfffff, v30
	v_add_nc_u32_e32 v30, v3, v46
                                        ; implicit-def: $vgpr3
	v_cmpx_ne_u32_e64 v116, v43
	s_xor_b32 s13, exec_lo, s13
; %bb.725:                              ;   in Loop: Header=BB6_130 Depth=2
	v_cmp_lt_u32_e32 vcc_lo, 0xffffff, v30
	v_sub_nc_u32_e32 v3, v116, v43
	v_cndmask_b32_e64 v116, 0, 1, vcc_lo
	v_add_co_ci_u32_e64 v3, null, 0, v3, vcc_lo
	v_lshrrev_b32_e32 v30, v116, v30
; %bb.726:                              ;   in Loop: Header=BB6_130 Depth=2
	s_andn2_saveexec_b32 s13, s13
; %bb.727:                              ;   in Loop: Header=BB6_130 Depth=2
	v_bfe_u32 v3, v30, 23, 1
; %bb.728:                              ;   in Loop: Header=BB6_130 Depth=2
	s_or_b32 exec_lo, exec_lo, s13
	v_lshrrev_b32_e32 v30, 20, v30
	v_min_i32_e32 v116, 15, v3
	v_cmp_gt_i32_e32 vcc_lo, 16, v3
	v_and_b32_sdwa v2, v2, v59 dst_sel:DWORD dst_unused:UNUSED_PAD src0_sel:BYTE_3 src1_sel:DWORD
	v_lshlrev_b32_e32 v116, 3, v116
	v_cndmask_b32_e32 v30, 7, v30, vcc_lo
	v_and_b32_e32 v116, 0xf8, v116
	v_and_b32_e32 v43, 7, v30
	v_or_b32_e32 v3, v3, v30
	v_or3_b32 v2, v2, v116, v43
	v_cmp_ne_u32_e32 vcc_lo, 0, v3
	v_lshlrev_b32_e32 v2, 8, v2
	v_cndmask_b32_e32 v104, 0, v2, vcc_lo
.LBB6_729:                              ;   in Loop: Header=BB6_130 Depth=2
	s_or_b32 exec_lo, exec_lo, s28
.LBB6_730:                              ;   in Loop: Header=BB6_130 Depth=2
	s_or_b32 exec_lo, exec_lo, s27
	v_and_b32_sdwa v3, v35, v62 dst_sel:DWORD dst_unused:UNUSED_PAD src0_sel:WORD_1 src1_sel:DWORD
	s_mov_b32 s13, 0
	s_mov_b32 s27, exec_lo
	v_cmpx_lt_i16_e32 0x7f, v3
	s_xor_b32 s27, exec_lo, s27
	s_cbranch_execz .LBB6_1528
; %bb.731:                              ;   in Loop: Header=BB6_130 Depth=2
	s_mov_b32 s13, -1
	s_mov_b32 s28, exec_lo
	v_cmpx_eq_u16_e32 0x80, v3
; %bb.732:                              ;   in Loop: Header=BB6_130 Depth=2
	s_xor_b32 s13, exec_lo, -1
; %bb.733:                              ;   in Loop: Header=BB6_130 Depth=2
	s_or_b32 exec_lo, exec_lo, s28
	s_and_b32 s13, s13, exec_lo
                                        ; implicit-def: $vgpr3
	s_or_saveexec_b32 s27, s27
	v_mov_b32_e32 v2, 0x7f800001
	s_xor_b32 exec_lo, exec_lo, s27
	s_cbranch_execnz .LBB6_1529
.LBB6_734:                              ;   in Loop: Header=BB6_130 Depth=2
	s_or_b32 exec_lo, exec_lo, s27
	s_and_saveexec_b32 s27, s13
	s_cbranch_execz .LBB6_736
.LBB6_735:                              ;   in Loop: Header=BB6_130 Depth=2
	v_bfe_u32 v2, v35, 16, 3
	v_bfe_u32 v116, v35, 19, 4
	v_lshlrev_b32_e32 v43, 8, v35
	v_ffbh_u32_e32 v3, v2
	v_cmp_eq_u32_e32 vcc_lo, 0, v116
	v_min_u32_e32 v3, 32, v3
	v_subrev_nc_u32_e32 v30, 28, v3
	v_sub_nc_u32_e32 v3, 29, v3
	v_lshlrev_b32_sdwa v30, v30, v35 dst_sel:DWORD dst_unused:UNUSED_PAD src0_sel:DWORD src1_sel:WORD_1
	v_cndmask_b32_e32 v3, v116, v3, vcc_lo
	v_and_b32_e32 v30, 7, v30
	v_lshl_add_u32 v3, v3, 23, 0x3b800000
	v_cndmask_b32_e32 v2, v2, v30, vcc_lo
	v_and_b32_e32 v30, 0x80000000, v43
	v_lshlrev_b32_e32 v2, 20, v2
	v_or3_b32 v2, v30, v3, v2
.LBB6_736:                              ;   in Loop: Header=BB6_130 Depth=2
	s_or_b32 exec_lo, exec_lo, s27
	v_and_b32_sdwa v30, v29, v62 dst_sel:DWORD dst_unused:UNUSED_PAD src0_sel:WORD_1 src1_sel:DWORD
	s_mov_b32 s13, 0
	s_mov_b32 s27, exec_lo
	v_cmpx_lt_i16_e32 0x7f, v30
	s_xor_b32 s27, exec_lo, s27
	s_cbranch_execz .LBB6_1530
; %bb.737:                              ;   in Loop: Header=BB6_130 Depth=2
	s_mov_b32 s13, -1
	s_mov_b32 s28, exec_lo
	v_cmpx_eq_u16_e32 0x80, v30
; %bb.738:                              ;   in Loop: Header=BB6_130 Depth=2
	s_xor_b32 s13, exec_lo, -1
; %bb.739:                              ;   in Loop: Header=BB6_130 Depth=2
	s_or_b32 exec_lo, exec_lo, s28
	s_and_b32 s13, s13, exec_lo
                                        ; implicit-def: $vgpr30
	s_or_saveexec_b32 s27, s27
	v_mov_b32_e32 v3, 0x7f800001
	s_xor_b32 exec_lo, exec_lo, s27
	s_cbranch_execnz .LBB6_1531
.LBB6_740:                              ;   in Loop: Header=BB6_130 Depth=2
	s_or_b32 exec_lo, exec_lo, s27
	s_and_saveexec_b32 s27, s13
	s_cbranch_execz .LBB6_742
.LBB6_741:                              ;   in Loop: Header=BB6_130 Depth=2
	v_bfe_u32 v3, v29, 16, 3
	v_bfe_u32 v43, v29, 19, 4
	v_lshlrev_b32_e32 v46, 8, v29
	v_ffbh_u32_e32 v30, v3
	v_cmp_eq_u32_e32 vcc_lo, 0, v43
	v_min_u32_e32 v30, 32, v30
	v_subrev_nc_u32_e32 v116, 28, v30
	v_sub_nc_u32_e32 v30, 29, v30
	v_lshlrev_b32_sdwa v116, v116, v29 dst_sel:DWORD dst_unused:UNUSED_PAD src0_sel:DWORD src1_sel:WORD_1
	v_cndmask_b32_e32 v30, v43, v30, vcc_lo
	v_and_b32_e32 v116, 7, v116
	v_lshl_add_u32 v30, v30, 23, 0x3b800000
	v_cndmask_b32_e32 v3, v3, v116, vcc_lo
	v_and_b32_e32 v116, 0x80000000, v46
	v_lshlrev_b32_e32 v3, 20, v3
	v_or3_b32 v3, v116, v30, v3
.LBB6_742:                              ;   in Loop: Header=BB6_130 Depth=2
	s_or_b32 exec_lo, exec_lo, s27
	v_add_f32_e32 v2, v2, v3
	v_mov_b32_e32 v105, 0x80
	s_mov_b32 s27, exec_lo
	v_and_b32_e32 v3, 0x7f800000, v2
	v_cmpx_ne_u32_e32 0x7f800000, v3
	s_cbranch_execz .LBB6_750
; %bb.743:                              ;   in Loop: Header=BB6_130 Depth=2
	v_mov_b32_e32 v105, 0
	s_mov_b32 s28, exec_lo
	v_cmpx_ne_u32_e32 0, v2
	s_cbranch_execz .LBB6_749
; %bb.744:                              ;   in Loop: Header=BB6_130 Depth=2
	v_bfe_u32 v3, v2, 23, 8
	v_and_b32_e32 v30, 0x7fffff, v2
	v_sub_nc_u32_e32 v116, 0x78, v3
	v_cmp_gt_u32_e32 vcc_lo, 0x79, v3
	v_or_b32_e32 v43, 0x800000, v30
	v_cndmask_b32_e32 v116, 0, v116, vcc_lo
	v_cmp_eq_u32_e32 vcc_lo, 0, v3
	v_add_nc_u32_e32 v3, 0xffffff89, v3
	v_cndmask_b32_e64 v116, v116, 0x77, vcc_lo
	v_cndmask_b32_e32 v30, v43, v30, vcc_lo
	v_cndmask_b32_e64 v3, v3, 0xffffff8a, vcc_lo
	v_lshl_add_u32 v43, 0x100000, v116, -1
	v_lshrrev_b32_e32 v46, v116, v30
	v_lshlrev_b32_e64 v105, v116, 0x80000
	v_add_nc_u32_e32 v116, v116, v3
	v_and_b32_e32 v30, v43, v30
	v_bfe_u32 v57, v46, 20, 1
	v_cmp_eq_u32_e64 s13, v30, v105
	v_add_nc_u32_e32 v43, -1, v57
	v_cndmask_b32_e64 v30, 0, v43, s13
	v_lshrrev_b32_e32 v43, 23, v46
	s_mov_b32 s13, exec_lo
	v_add_nc_u32_e32 v30, v30, v46
	v_xor_b32_e32 v43, 1, v43
	v_and_b32_e32 v3, 0xfffff, v30
	v_add_nc_u32_e32 v30, v3, v46
                                        ; implicit-def: $vgpr3
	v_cmpx_ne_u32_e64 v116, v43
	s_xor_b32 s13, exec_lo, s13
; %bb.745:                              ;   in Loop: Header=BB6_130 Depth=2
	v_cmp_lt_u32_e32 vcc_lo, 0xffffff, v30
	v_sub_nc_u32_e32 v3, v116, v43
	v_cndmask_b32_e64 v116, 0, 1, vcc_lo
	v_add_co_ci_u32_e64 v3, null, 0, v3, vcc_lo
	v_lshrrev_b32_e32 v30, v116, v30
; %bb.746:                              ;   in Loop: Header=BB6_130 Depth=2
	s_andn2_saveexec_b32 s13, s13
; %bb.747:                              ;   in Loop: Header=BB6_130 Depth=2
	v_bfe_u32 v3, v30, 23, 1
; %bb.748:                              ;   in Loop: Header=BB6_130 Depth=2
	s_or_b32 exec_lo, exec_lo, s13
	v_lshrrev_b32_e32 v30, 20, v30
	v_min_i32_e32 v116, 15, v3
	v_cmp_gt_i32_e32 vcc_lo, 16, v3
	v_and_b32_sdwa v2, v2, v59 dst_sel:DWORD dst_unused:UNUSED_PAD src0_sel:BYTE_3 src1_sel:DWORD
	v_lshlrev_b32_e32 v116, 3, v116
	v_cndmask_b32_e32 v30, 7, v30, vcc_lo
	v_and_b32_e32 v116, 0xf8, v116
	v_and_b32_e32 v43, 7, v30
	v_or_b32_e32 v3, v3, v30
	v_or3_b32 v2, v116, v2, v43
	v_cmp_ne_u32_e32 vcc_lo, 0, v3
	v_cndmask_b32_e32 v105, 0, v2, vcc_lo
.LBB6_749:                              ;   in Loop: Header=BB6_130 Depth=2
	s_or_b32 exec_lo, exec_lo, s28
.LBB6_750:                              ;   in Loop: Header=BB6_130 Depth=2
	s_or_b32 exec_lo, exec_lo, s27
	v_cmp_gt_i16_sdwa s27, v35, v58 src0_sel:BYTE_3 src1_sel:DWORD
	s_mov_b32 s13, 0
	s_and_saveexec_b32 s28, s27
	s_xor_b32 s27, exec_lo, s28
	s_cbranch_execz .LBB6_1532
; %bb.751:                              ;   in Loop: Header=BB6_130 Depth=2
	v_cmp_eq_u16_sdwa s29, v35, v59 src0_sel:BYTE_3 src1_sel:DWORD
	s_mov_b32 s13, -1
	s_and_saveexec_b32 s28, s29
; %bb.752:                              ;   in Loop: Header=BB6_130 Depth=2
	s_xor_b32 s13, exec_lo, -1
; %bb.753:                              ;   in Loop: Header=BB6_130 Depth=2
	s_or_b32 exec_lo, exec_lo, s28
	s_and_b32 s13, s13, exec_lo
	s_or_saveexec_b32 s27, s27
	v_mov_b32_e32 v2, 0x7f800001
	s_xor_b32 exec_lo, exec_lo, s27
	s_cbranch_execnz .LBB6_1533
.LBB6_754:                              ;   in Loop: Header=BB6_130 Depth=2
	s_or_b32 exec_lo, exec_lo, s27
	s_and_saveexec_b32 s27, s13
	s_cbranch_execz .LBB6_756
.LBB6_755:                              ;   in Loop: Header=BB6_130 Depth=2
	v_bfe_u32 v2, v35, 24, 3
	v_bfe_u32 v116, v35, 27, 4
	v_ffbh_u32_e32 v3, v2
	v_cmp_eq_u32_e32 vcc_lo, 0, v116
	v_min_u32_e32 v3, 32, v3
	v_subrev_nc_u32_e32 v30, 28, v3
	v_sub_nc_u32_e32 v3, 29, v3
	v_lshlrev_b32_sdwa v30, v30, v35 dst_sel:DWORD dst_unused:UNUSED_PAD src0_sel:DWORD src1_sel:BYTE_3
	v_cndmask_b32_e32 v3, v116, v3, vcc_lo
	v_and_b32_e32 v30, 7, v30
	v_lshl_add_u32 v3, v3, 23, 0x3b800000
	v_cndmask_b32_e32 v2, v2, v30, vcc_lo
	v_and_b32_e32 v30, 0x80000000, v35
	v_lshlrev_b32_e32 v2, 20, v2
	v_or3_b32 v2, v30, v3, v2
.LBB6_756:                              ;   in Loop: Header=BB6_130 Depth=2
	s_or_b32 exec_lo, exec_lo, s27
	v_cmp_gt_i16_sdwa s27, v29, v58 src0_sel:BYTE_3 src1_sel:DWORD
	s_mov_b32 s13, 0
	s_and_saveexec_b32 s28, s27
	s_xor_b32 s27, exec_lo, s28
	s_cbranch_execz .LBB6_1534
; %bb.757:                              ;   in Loop: Header=BB6_130 Depth=2
	v_cmp_eq_u16_sdwa s29, v29, v59 src0_sel:BYTE_3 src1_sel:DWORD
	s_mov_b32 s13, -1
	s_and_saveexec_b32 s28, s29
; %bb.758:                              ;   in Loop: Header=BB6_130 Depth=2
	s_xor_b32 s13, exec_lo, -1
; %bb.759:                              ;   in Loop: Header=BB6_130 Depth=2
	s_or_b32 exec_lo, exec_lo, s28
	s_and_b32 s13, s13, exec_lo
	s_or_saveexec_b32 s27, s27
	v_mov_b32_e32 v3, 0x7f800001
	s_xor_b32 exec_lo, exec_lo, s27
	s_cbranch_execnz .LBB6_1535
.LBB6_760:                              ;   in Loop: Header=BB6_130 Depth=2
	s_or_b32 exec_lo, exec_lo, s27
	s_and_saveexec_b32 s27, s13
	s_cbranch_execz .LBB6_762
.LBB6_761:                              ;   in Loop: Header=BB6_130 Depth=2
	v_bfe_u32 v3, v29, 24, 3
	v_bfe_u32 v116, v29, 27, 4
	v_ffbh_u32_e32 v30, v3
	v_cmp_eq_u32_e32 vcc_lo, 0, v116
	v_min_u32_e32 v30, 32, v30
	v_subrev_nc_u32_e32 v35, 28, v30
	v_sub_nc_u32_e32 v30, 29, v30
	v_lshlrev_b32_sdwa v35, v35, v29 dst_sel:DWORD dst_unused:UNUSED_PAD src0_sel:DWORD src1_sel:BYTE_3
	v_cndmask_b32_e32 v30, v116, v30, vcc_lo
	v_and_b32_e32 v29, 0x80000000, v29
	v_and_b32_e32 v35, 7, v35
	v_lshl_add_u32 v30, v30, 23, 0x3b800000
	v_cndmask_b32_e32 v3, v3, v35, vcc_lo
	v_lshlrev_b32_e32 v3, 20, v3
	v_or3_b32 v3, v29, v30, v3
.LBB6_762:                              ;   in Loop: Header=BB6_130 Depth=2
	s_or_b32 exec_lo, exec_lo, s27
	v_add_f32_e32 v2, v2, v3
	v_mov_b32_e32 v29, 0x8000
	s_mov_b32 s27, exec_lo
	v_and_b32_e32 v3, 0x7f800000, v2
	v_cmpx_ne_u32_e32 0x7f800000, v3
	s_cbranch_execz .LBB6_770
; %bb.763:                              ;   in Loop: Header=BB6_130 Depth=2
	v_mov_b32_e32 v29, 0
	s_mov_b32 s28, exec_lo
	v_cmpx_ne_u32_e32 0, v2
	s_cbranch_execz .LBB6_769
; %bb.764:                              ;   in Loop: Header=BB6_130 Depth=2
	v_bfe_u32 v3, v2, 23, 8
	v_and_b32_e32 v29, 0x7fffff, v2
	v_sub_nc_u32_e32 v30, 0x78, v3
	v_cmp_gt_u32_e32 vcc_lo, 0x79, v3
	v_or_b32_e32 v35, 0x800000, v29
	v_cndmask_b32_e32 v30, 0, v30, vcc_lo
	v_cmp_eq_u32_e32 vcc_lo, 0, v3
	v_add_nc_u32_e32 v3, 0xffffff89, v3
	v_cndmask_b32_e64 v30, v30, 0x77, vcc_lo
	v_cndmask_b32_e32 v29, v35, v29, vcc_lo
	v_cndmask_b32_e64 v3, v3, 0xffffff8a, vcc_lo
	v_lshl_add_u32 v35, 0x100000, v30, -1
	v_lshrrev_b32_e32 v116, v30, v29
	v_lshlrev_b32_e64 v46, v30, 0x80000
	v_add_nc_u32_e32 v30, v30, v3
	v_and_b32_e32 v29, v35, v29
	v_bfe_u32 v43, v116, 20, 1
	v_cmp_eq_u32_e64 s13, v29, v46
	v_add_nc_u32_e32 v35, -1, v43
	v_cndmask_b32_e64 v29, 0, v35, s13
	v_lshrrev_b32_e32 v35, 23, v116
	s_mov_b32 s13, exec_lo
	v_add_nc_u32_e32 v29, v29, v116
	v_xor_b32_e32 v35, 1, v35
	v_and_b32_e32 v3, 0xfffff, v29
	v_add_nc_u32_e32 v29, v3, v116
                                        ; implicit-def: $vgpr3
	v_cmpx_ne_u32_e64 v30, v35
	s_xor_b32 s13, exec_lo, s13
; %bb.765:                              ;   in Loop: Header=BB6_130 Depth=2
	v_cmp_lt_u32_e32 vcc_lo, 0xffffff, v29
	v_sub_nc_u32_e32 v3, v30, v35
	v_cndmask_b32_e64 v30, 0, 1, vcc_lo
	v_add_co_ci_u32_e64 v3, null, 0, v3, vcc_lo
	v_lshrrev_b32_e32 v29, v30, v29
; %bb.766:                              ;   in Loop: Header=BB6_130 Depth=2
	s_andn2_saveexec_b32 s13, s13
; %bb.767:                              ;   in Loop: Header=BB6_130 Depth=2
	v_bfe_u32 v3, v29, 23, 1
; %bb.768:                              ;   in Loop: Header=BB6_130 Depth=2
	s_or_b32 exec_lo, exec_lo, s13
	v_lshrrev_b32_e32 v29, 20, v29
	v_min_i32_e32 v30, 15, v3
	v_cmp_gt_i32_e32 vcc_lo, 16, v3
	v_and_b32_sdwa v2, v2, v59 dst_sel:DWORD dst_unused:UNUSED_PAD src0_sel:BYTE_3 src1_sel:DWORD
	v_lshlrev_b32_e32 v30, 3, v30
	v_cndmask_b32_e32 v29, 7, v29, vcc_lo
	v_and_b32_e32 v30, 0xf8, v30
	v_and_b32_e32 v35, 7, v29
	v_or_b32_e32 v3, v3, v29
	v_or3_b32 v2, v2, v30, v35
	v_cmp_ne_u32_e32 vcc_lo, 0, v3
	v_lshlrev_b32_e32 v2, 8, v2
	v_cndmask_b32_e32 v29, 0, v2, vcc_lo
.LBB6_769:                              ;   in Loop: Header=BB6_130 Depth=2
	s_or_b32 exec_lo, exec_lo, s28
.LBB6_770:                              ;   in Loop: Header=BB6_130 Depth=2
	s_or_b32 exec_lo, exec_lo, s27
	v_cmp_gt_i16_sdwa s27, v22, v58 src0_sel:BYTE_0 src1_sel:DWORD
	s_mov_b32 s13, 0
	s_and_saveexec_b32 s28, s27
	s_xor_b32 s27, exec_lo, s28
	s_cbranch_execz .LBB6_1536
; %bb.771:                              ;   in Loop: Header=BB6_130 Depth=2
	v_cmp_eq_u16_sdwa s29, v22, v59 src0_sel:BYTE_0 src1_sel:DWORD
	s_mov_b32 s13, -1
	s_and_saveexec_b32 s28, s29
; %bb.772:                              ;   in Loop: Header=BB6_130 Depth=2
	s_xor_b32 s13, exec_lo, -1
; %bb.773:                              ;   in Loop: Header=BB6_130 Depth=2
	s_or_b32 exec_lo, exec_lo, s28
	s_and_b32 s13, s13, exec_lo
	s_or_saveexec_b32 s27, s27
	v_mov_b32_e32 v2, 0x7f800001
	s_xor_b32 exec_lo, exec_lo, s27
	s_cbranch_execnz .LBB6_1537
.LBB6_774:                              ;   in Loop: Header=BB6_130 Depth=2
	s_or_b32 exec_lo, exec_lo, s27
	s_and_saveexec_b32 s27, s13
	s_cbranch_execz .LBB6_776
.LBB6_775:                              ;   in Loop: Header=BB6_130 Depth=2
	v_and_b32_e32 v2, 7, v22
	v_bfe_u32 v35, v22, 3, 4
	v_lshlrev_b32_e32 v116, 24, v22
	v_ffbh_u32_e32 v3, v2
	v_cmp_eq_u32_e32 vcc_lo, 0, v35
	v_min_u32_e32 v3, 32, v3
	v_subrev_nc_u32_e32 v30, 28, v3
	v_sub_nc_u32_e32 v3, 29, v3
	v_lshlrev_b32_e32 v30, v30, v22
	v_cndmask_b32_e32 v3, v35, v3, vcc_lo
	v_and_b32_e32 v30, 7, v30
	v_lshl_add_u32 v3, v3, 23, 0x3b800000
	v_cndmask_b32_e32 v2, v2, v30, vcc_lo
	v_and_b32_e32 v30, 0x80000000, v116
	v_lshlrev_b32_e32 v2, 20, v2
	v_or3_b32 v2, v30, v3, v2
.LBB6_776:                              ;   in Loop: Header=BB6_130 Depth=2
	s_or_b32 exec_lo, exec_lo, s27
	s_waitcnt vmcnt(1)
	v_cmp_gt_i16_sdwa s27, v18, v58 src0_sel:BYTE_0 src1_sel:DWORD
	s_mov_b32 s13, 0
	s_and_saveexec_b32 s28, s27
	s_xor_b32 s27, exec_lo, s28
	s_cbranch_execz .LBB6_1538
; %bb.777:                              ;   in Loop: Header=BB6_130 Depth=2
	v_cmp_eq_u16_sdwa s29, v18, v59 src0_sel:BYTE_0 src1_sel:DWORD
	s_mov_b32 s13, -1
	s_and_saveexec_b32 s28, s29
; %bb.778:                              ;   in Loop: Header=BB6_130 Depth=2
	s_xor_b32 s13, exec_lo, -1
; %bb.779:                              ;   in Loop: Header=BB6_130 Depth=2
	s_or_b32 exec_lo, exec_lo, s28
	s_and_b32 s13, s13, exec_lo
	s_or_saveexec_b32 s27, s27
	v_mov_b32_e32 v3, 0x7f800001
	s_xor_b32 exec_lo, exec_lo, s27
	s_cbranch_execnz .LBB6_1539
.LBB6_780:                              ;   in Loop: Header=BB6_130 Depth=2
	s_or_b32 exec_lo, exec_lo, s27
	s_and_saveexec_b32 s27, s13
	s_cbranch_execz .LBB6_782
.LBB6_781:                              ;   in Loop: Header=BB6_130 Depth=2
	v_and_b32_e32 v3, 7, v18
	v_bfe_u32 v116, v18, 3, 4
	v_lshlrev_b32_e32 v43, 24, v18
	v_ffbh_u32_e32 v30, v3
	v_cmp_eq_u32_e32 vcc_lo, 0, v116
	v_min_u32_e32 v30, 32, v30
	v_subrev_nc_u32_e32 v35, 28, v30
	v_sub_nc_u32_e32 v30, 29, v30
	v_lshlrev_b32_e32 v35, v35, v18
	v_cndmask_b32_e32 v30, v116, v30, vcc_lo
	v_and_b32_e32 v35, 7, v35
	v_lshl_add_u32 v30, v30, 23, 0x3b800000
	v_cndmask_b32_e32 v3, v3, v35, vcc_lo
	v_and_b32_e32 v35, 0x80000000, v43
	v_lshlrev_b32_e32 v3, 20, v3
	v_or3_b32 v3, v35, v30, v3
.LBB6_782:                              ;   in Loop: Header=BB6_130 Depth=2
	s_or_b32 exec_lo, exec_lo, s27
	v_add_f32_e32 v2, v2, v3
	v_mov_b32_e32 v35, 0x80
	s_mov_b32 s27, exec_lo
	v_and_b32_e32 v3, 0x7f800000, v2
	v_cmpx_ne_u32_e32 0x7f800000, v3
	s_cbranch_execz .LBB6_790
; %bb.783:                              ;   in Loop: Header=BB6_130 Depth=2
	v_mov_b32_e32 v35, 0
	s_mov_b32 s28, exec_lo
	v_cmpx_ne_u32_e32 0, v2
	s_cbranch_execz .LBB6_789
; %bb.784:                              ;   in Loop: Header=BB6_130 Depth=2
	v_bfe_u32 v3, v2, 23, 8
	v_and_b32_e32 v30, 0x7fffff, v2
	v_sub_nc_u32_e32 v35, 0x78, v3
	v_cmp_gt_u32_e32 vcc_lo, 0x79, v3
	v_or_b32_e32 v116, 0x800000, v30
	v_cndmask_b32_e32 v35, 0, v35, vcc_lo
	v_cmp_eq_u32_e32 vcc_lo, 0, v3
	v_add_nc_u32_e32 v3, 0xffffff89, v3
	v_cndmask_b32_e64 v35, v35, 0x77, vcc_lo
	v_cndmask_b32_e32 v30, v116, v30, vcc_lo
	v_cndmask_b32_e64 v3, v3, 0xffffff8a, vcc_lo
	v_lshl_add_u32 v116, 0x100000, v35, -1
	v_lshrrev_b32_e32 v43, v35, v30
	v_lshlrev_b32_e64 v57, v35, 0x80000
	v_add_nc_u32_e32 v35, v35, v3
	v_and_b32_e32 v30, v116, v30
	v_bfe_u32 v46, v43, 20, 1
	v_cmp_eq_u32_e64 s13, v30, v57
	v_add_nc_u32_e32 v116, -1, v46
	v_cndmask_b32_e64 v30, 0, v116, s13
	v_lshrrev_b32_e32 v116, 23, v43
	s_mov_b32 s13, exec_lo
	v_add_nc_u32_e32 v30, v30, v43
	v_xor_b32_e32 v116, 1, v116
	v_and_b32_e32 v3, 0xfffff, v30
	v_add_nc_u32_e32 v30, v3, v43
                                        ; implicit-def: $vgpr3
	v_cmpx_ne_u32_e64 v35, v116
	s_xor_b32 s13, exec_lo, s13
; %bb.785:                              ;   in Loop: Header=BB6_130 Depth=2
	v_cmp_lt_u32_e32 vcc_lo, 0xffffff, v30
	v_sub_nc_u32_e32 v3, v35, v116
	v_cndmask_b32_e64 v35, 0, 1, vcc_lo
	v_add_co_ci_u32_e64 v3, null, 0, v3, vcc_lo
	v_lshrrev_b32_e32 v30, v35, v30
; %bb.786:                              ;   in Loop: Header=BB6_130 Depth=2
	s_andn2_saveexec_b32 s13, s13
; %bb.787:                              ;   in Loop: Header=BB6_130 Depth=2
	v_bfe_u32 v3, v30, 23, 1
; %bb.788:                              ;   in Loop: Header=BB6_130 Depth=2
	s_or_b32 exec_lo, exec_lo, s13
	v_lshrrev_b32_e32 v30, 20, v30
	v_min_i32_e32 v35, 15, v3
	v_cmp_gt_i32_e32 vcc_lo, 16, v3
	v_and_b32_sdwa v2, v2, v59 dst_sel:DWORD dst_unused:UNUSED_PAD src0_sel:BYTE_3 src1_sel:DWORD
	v_lshlrev_b32_e32 v35, 3, v35
	v_cndmask_b32_e32 v30, 7, v30, vcc_lo
	v_and_b32_e32 v35, 0xf8, v35
	v_and_b32_e32 v116, 7, v30
	v_or_b32_e32 v3, v3, v30
	v_or3_b32 v2, v35, v2, v116
	v_cmp_ne_u32_e32 vcc_lo, 0, v3
	v_cndmask_b32_e32 v35, 0, v2, vcc_lo
.LBB6_789:                              ;   in Loop: Header=BB6_130 Depth=2
	s_or_b32 exec_lo, exec_lo, s28
.LBB6_790:                              ;   in Loop: Header=BB6_130 Depth=2
	s_or_b32 exec_lo, exec_lo, s27
	v_cmp_gt_i16_sdwa s27, v22, v58 src0_sel:BYTE_1 src1_sel:DWORD
	s_mov_b32 s13, 0
	s_and_saveexec_b32 s28, s27
	s_xor_b32 s27, exec_lo, s28
	s_cbranch_execz .LBB6_1540
; %bb.791:                              ;   in Loop: Header=BB6_130 Depth=2
	v_cmp_eq_u16_sdwa s29, v22, v59 src0_sel:BYTE_1 src1_sel:DWORD
	s_mov_b32 s13, -1
	s_and_saveexec_b32 s28, s29
; %bb.792:                              ;   in Loop: Header=BB6_130 Depth=2
	s_xor_b32 s13, exec_lo, -1
; %bb.793:                              ;   in Loop: Header=BB6_130 Depth=2
	s_or_b32 exec_lo, exec_lo, s28
	s_and_b32 s13, s13, exec_lo
	s_or_saveexec_b32 s27, s27
	v_mov_b32_e32 v2, 0x7f800001
	s_xor_b32 exec_lo, exec_lo, s27
	s_cbranch_execnz .LBB6_1541
.LBB6_794:                              ;   in Loop: Header=BB6_130 Depth=2
	s_or_b32 exec_lo, exec_lo, s27
	s_and_saveexec_b32 s27, s13
	s_cbranch_execz .LBB6_796
.LBB6_795:                              ;   in Loop: Header=BB6_130 Depth=2
	v_and_b32_sdwa v2, v60, v22 dst_sel:DWORD dst_unused:UNUSED_PAD src0_sel:DWORD src1_sel:BYTE_1
	v_and_b32_e32 v3, 7, v2
	v_bfe_u32 v43, v2, 3, 4
	v_ffbh_u32_e32 v30, v3
	v_cmp_eq_u32_e32 vcc_lo, 0, v43
	v_min_u32_e32 v30, 32, v30
	v_subrev_nc_u32_e32 v116, 28, v30
	v_sub_nc_u32_e32 v30, 29, v30
	v_lshlrev_b32_e32 v2, v116, v2
	v_lshlrev_b32_sdwa v116, v61, v22 dst_sel:DWORD dst_unused:UNUSED_PAD src0_sel:DWORD src1_sel:BYTE_1
	v_cndmask_b32_e32 v30, v43, v30, vcc_lo
	v_and_b32_e32 v2, 7, v2
	v_lshl_add_u32 v30, v30, 23, 0x3b800000
	v_cndmask_b32_e32 v2, v3, v2, vcc_lo
	v_and_b32_e32 v3, 0x80000000, v116
	v_lshlrev_b32_e32 v2, 20, v2
	v_or3_b32 v2, v3, v30, v2
.LBB6_796:                              ;   in Loop: Header=BB6_130 Depth=2
	s_or_b32 exec_lo, exec_lo, s27
	v_cmp_gt_i16_sdwa s27, v18, v58 src0_sel:BYTE_1 src1_sel:DWORD
	s_mov_b32 s13, 0
	s_and_saveexec_b32 s28, s27
	s_xor_b32 s27, exec_lo, s28
	s_cbranch_execz .LBB6_1542
; %bb.797:                              ;   in Loop: Header=BB6_130 Depth=2
	v_cmp_eq_u16_sdwa s29, v18, v59 src0_sel:BYTE_1 src1_sel:DWORD
	s_mov_b32 s13, -1
	s_and_saveexec_b32 s28, s29
; %bb.798:                              ;   in Loop: Header=BB6_130 Depth=2
	s_xor_b32 s13, exec_lo, -1
; %bb.799:                              ;   in Loop: Header=BB6_130 Depth=2
	s_or_b32 exec_lo, exec_lo, s28
	s_and_b32 s13, s13, exec_lo
	s_or_saveexec_b32 s27, s27
	v_mov_b32_e32 v3, 0x7f800001
	s_xor_b32 exec_lo, exec_lo, s27
	s_cbranch_execnz .LBB6_1543
.LBB6_800:                              ;   in Loop: Header=BB6_130 Depth=2
	s_or_b32 exec_lo, exec_lo, s27
	s_and_saveexec_b32 s27, s13
	s_cbranch_execz .LBB6_802
.LBB6_801:                              ;   in Loop: Header=BB6_130 Depth=2
	v_and_b32_sdwa v3, v60, v18 dst_sel:DWORD dst_unused:UNUSED_PAD src0_sel:DWORD src1_sel:BYTE_1
	v_and_b32_e32 v30, 7, v3
	v_bfe_u32 v46, v3, 3, 4
	v_ffbh_u32_e32 v116, v30
	v_cmp_eq_u32_e32 vcc_lo, 0, v46
	v_min_u32_e32 v116, 32, v116
	v_subrev_nc_u32_e32 v43, 28, v116
	v_sub_nc_u32_e32 v116, 29, v116
	v_lshlrev_b32_e32 v3, v43, v3
	v_lshlrev_b32_sdwa v43, v61, v18 dst_sel:DWORD dst_unused:UNUSED_PAD src0_sel:DWORD src1_sel:BYTE_1
	v_cndmask_b32_e32 v116, v46, v116, vcc_lo
	v_and_b32_e32 v3, 7, v3
	v_lshl_add_u32 v116, v116, 23, 0x3b800000
	v_cndmask_b32_e32 v3, v30, v3, vcc_lo
	v_and_b32_e32 v30, 0x80000000, v43
	v_lshlrev_b32_e32 v3, 20, v3
	v_or3_b32 v3, v30, v116, v3
.LBB6_802:                              ;   in Loop: Header=BB6_130 Depth=2
	s_or_b32 exec_lo, exec_lo, s27
	v_add_f32_e32 v2, v2, v3
	v_mov_b32_e32 v106, 0x8000
	s_mov_b32 s27, exec_lo
	v_and_b32_e32 v3, 0x7f800000, v2
	v_cmpx_ne_u32_e32 0x7f800000, v3
	s_cbranch_execz .LBB6_810
; %bb.803:                              ;   in Loop: Header=BB6_130 Depth=2
	v_mov_b32_e32 v106, 0
	s_mov_b32 s28, exec_lo
	v_cmpx_ne_u32_e32 0, v2
	s_cbranch_execz .LBB6_809
; %bb.804:                              ;   in Loop: Header=BB6_130 Depth=2
	v_bfe_u32 v3, v2, 23, 8
	v_and_b32_e32 v30, 0x7fffff, v2
	v_sub_nc_u32_e32 v116, 0x78, v3
	v_cmp_gt_u32_e32 vcc_lo, 0x79, v3
	v_or_b32_e32 v43, 0x800000, v30
	v_cndmask_b32_e32 v116, 0, v116, vcc_lo
	v_cmp_eq_u32_e32 vcc_lo, 0, v3
	v_add_nc_u32_e32 v3, 0xffffff89, v3
	v_cndmask_b32_e64 v116, v116, 0x77, vcc_lo
	v_cndmask_b32_e32 v30, v43, v30, vcc_lo
	v_cndmask_b32_e64 v3, v3, 0xffffff8a, vcc_lo
	v_lshl_add_u32 v43, 0x100000, v116, -1
	v_lshrrev_b32_e32 v46, v116, v30
	v_lshlrev_b32_e64 v106, v116, 0x80000
	v_add_nc_u32_e32 v116, v116, v3
	v_and_b32_e32 v30, v43, v30
	v_bfe_u32 v57, v46, 20, 1
	v_cmp_eq_u32_e64 s13, v30, v106
	v_add_nc_u32_e32 v43, -1, v57
	v_cndmask_b32_e64 v30, 0, v43, s13
	v_lshrrev_b32_e32 v43, 23, v46
	s_mov_b32 s13, exec_lo
	v_add_nc_u32_e32 v30, v30, v46
	v_xor_b32_e32 v43, 1, v43
	v_and_b32_e32 v3, 0xfffff, v30
	v_add_nc_u32_e32 v30, v3, v46
                                        ; implicit-def: $vgpr3
	v_cmpx_ne_u32_e64 v116, v43
	s_xor_b32 s13, exec_lo, s13
; %bb.805:                              ;   in Loop: Header=BB6_130 Depth=2
	v_cmp_lt_u32_e32 vcc_lo, 0xffffff, v30
	v_sub_nc_u32_e32 v3, v116, v43
	v_cndmask_b32_e64 v116, 0, 1, vcc_lo
	v_add_co_ci_u32_e64 v3, null, 0, v3, vcc_lo
	v_lshrrev_b32_e32 v30, v116, v30
; %bb.806:                              ;   in Loop: Header=BB6_130 Depth=2
	s_andn2_saveexec_b32 s13, s13
; %bb.807:                              ;   in Loop: Header=BB6_130 Depth=2
	v_bfe_u32 v3, v30, 23, 1
; %bb.808:                              ;   in Loop: Header=BB6_130 Depth=2
	s_or_b32 exec_lo, exec_lo, s13
	v_lshrrev_b32_e32 v30, 20, v30
	v_min_i32_e32 v116, 15, v3
	v_cmp_gt_i32_e32 vcc_lo, 16, v3
	v_and_b32_sdwa v2, v2, v59 dst_sel:DWORD dst_unused:UNUSED_PAD src0_sel:BYTE_3 src1_sel:DWORD
	v_lshlrev_b32_e32 v116, 3, v116
	v_cndmask_b32_e32 v30, 7, v30, vcc_lo
	v_and_b32_e32 v116, 0xf8, v116
	v_and_b32_e32 v43, 7, v30
	v_or_b32_e32 v3, v3, v30
	v_or3_b32 v2, v2, v116, v43
	v_cmp_ne_u32_e32 vcc_lo, 0, v3
	v_lshlrev_b32_e32 v2, 8, v2
	v_cndmask_b32_e32 v106, 0, v2, vcc_lo
.LBB6_809:                              ;   in Loop: Header=BB6_130 Depth=2
	s_or_b32 exec_lo, exec_lo, s28
.LBB6_810:                              ;   in Loop: Header=BB6_130 Depth=2
	s_or_b32 exec_lo, exec_lo, s27
	v_and_b32_sdwa v3, v22, v62 dst_sel:DWORD dst_unused:UNUSED_PAD src0_sel:WORD_1 src1_sel:DWORD
	s_mov_b32 s13, 0
	s_mov_b32 s27, exec_lo
	v_cmpx_lt_i16_e32 0x7f, v3
	s_xor_b32 s27, exec_lo, s27
	s_cbranch_execz .LBB6_1544
; %bb.811:                              ;   in Loop: Header=BB6_130 Depth=2
	s_mov_b32 s13, -1
	s_mov_b32 s28, exec_lo
	v_cmpx_eq_u16_e32 0x80, v3
; %bb.812:                              ;   in Loop: Header=BB6_130 Depth=2
	s_xor_b32 s13, exec_lo, -1
; %bb.813:                              ;   in Loop: Header=BB6_130 Depth=2
	s_or_b32 exec_lo, exec_lo, s28
	s_and_b32 s13, s13, exec_lo
                                        ; implicit-def: $vgpr3
	s_or_saveexec_b32 s27, s27
	v_mov_b32_e32 v2, 0x7f800001
	s_xor_b32 exec_lo, exec_lo, s27
	s_cbranch_execnz .LBB6_1545
.LBB6_814:                              ;   in Loop: Header=BB6_130 Depth=2
	s_or_b32 exec_lo, exec_lo, s27
	s_and_saveexec_b32 s27, s13
	s_cbranch_execz .LBB6_816
.LBB6_815:                              ;   in Loop: Header=BB6_130 Depth=2
	v_bfe_u32 v2, v22, 16, 3
	v_bfe_u32 v116, v22, 19, 4
	v_lshlrev_b32_e32 v43, 8, v22
	v_ffbh_u32_e32 v3, v2
	v_cmp_eq_u32_e32 vcc_lo, 0, v116
	v_min_u32_e32 v3, 32, v3
	v_subrev_nc_u32_e32 v30, 28, v3
	v_sub_nc_u32_e32 v3, 29, v3
	v_lshlrev_b32_sdwa v30, v30, v22 dst_sel:DWORD dst_unused:UNUSED_PAD src0_sel:DWORD src1_sel:WORD_1
	v_cndmask_b32_e32 v3, v116, v3, vcc_lo
	v_and_b32_e32 v30, 7, v30
	v_lshl_add_u32 v3, v3, 23, 0x3b800000
	v_cndmask_b32_e32 v2, v2, v30, vcc_lo
	v_and_b32_e32 v30, 0x80000000, v43
	v_lshlrev_b32_e32 v2, 20, v2
	v_or3_b32 v2, v30, v3, v2
.LBB6_816:                              ;   in Loop: Header=BB6_130 Depth=2
	s_or_b32 exec_lo, exec_lo, s27
	v_and_b32_sdwa v30, v18, v62 dst_sel:DWORD dst_unused:UNUSED_PAD src0_sel:WORD_1 src1_sel:DWORD
	s_mov_b32 s13, 0
	s_mov_b32 s27, exec_lo
	v_cmpx_lt_i16_e32 0x7f, v30
	s_xor_b32 s27, exec_lo, s27
	s_cbranch_execz .LBB6_1546
; %bb.817:                              ;   in Loop: Header=BB6_130 Depth=2
	s_mov_b32 s13, -1
	s_mov_b32 s28, exec_lo
	v_cmpx_eq_u16_e32 0x80, v30
; %bb.818:                              ;   in Loop: Header=BB6_130 Depth=2
	s_xor_b32 s13, exec_lo, -1
; %bb.819:                              ;   in Loop: Header=BB6_130 Depth=2
	s_or_b32 exec_lo, exec_lo, s28
	s_and_b32 s13, s13, exec_lo
                                        ; implicit-def: $vgpr30
	s_or_saveexec_b32 s27, s27
	v_mov_b32_e32 v3, 0x7f800001
	s_xor_b32 exec_lo, exec_lo, s27
	s_cbranch_execnz .LBB6_1547
.LBB6_820:                              ;   in Loop: Header=BB6_130 Depth=2
	s_or_b32 exec_lo, exec_lo, s27
	s_and_saveexec_b32 s27, s13
	s_cbranch_execz .LBB6_822
.LBB6_821:                              ;   in Loop: Header=BB6_130 Depth=2
	v_bfe_u32 v3, v18, 16, 3
	v_bfe_u32 v43, v18, 19, 4
	v_lshlrev_b32_e32 v46, 8, v18
	v_ffbh_u32_e32 v30, v3
	v_cmp_eq_u32_e32 vcc_lo, 0, v43
	v_min_u32_e32 v30, 32, v30
	v_subrev_nc_u32_e32 v116, 28, v30
	v_sub_nc_u32_e32 v30, 29, v30
	v_lshlrev_b32_sdwa v116, v116, v18 dst_sel:DWORD dst_unused:UNUSED_PAD src0_sel:DWORD src1_sel:WORD_1
	v_cndmask_b32_e32 v30, v43, v30, vcc_lo
	v_and_b32_e32 v116, 7, v116
	v_lshl_add_u32 v30, v30, 23, 0x3b800000
	v_cndmask_b32_e32 v3, v3, v116, vcc_lo
	v_and_b32_e32 v116, 0x80000000, v46
	v_lshlrev_b32_e32 v3, 20, v3
	v_or3_b32 v3, v116, v30, v3
.LBB6_822:                              ;   in Loop: Header=BB6_130 Depth=2
	s_or_b32 exec_lo, exec_lo, s27
	v_add_f32_e32 v2, v2, v3
	v_mov_b32_e32 v107, 0x80
	s_mov_b32 s27, exec_lo
	v_and_b32_e32 v3, 0x7f800000, v2
	v_cmpx_ne_u32_e32 0x7f800000, v3
	s_cbranch_execz .LBB6_830
; %bb.823:                              ;   in Loop: Header=BB6_130 Depth=2
	v_mov_b32_e32 v107, 0
	s_mov_b32 s28, exec_lo
	v_cmpx_ne_u32_e32 0, v2
	s_cbranch_execz .LBB6_829
; %bb.824:                              ;   in Loop: Header=BB6_130 Depth=2
	v_bfe_u32 v3, v2, 23, 8
	v_and_b32_e32 v30, 0x7fffff, v2
	v_sub_nc_u32_e32 v116, 0x78, v3
	v_cmp_gt_u32_e32 vcc_lo, 0x79, v3
	v_or_b32_e32 v43, 0x800000, v30
	v_cndmask_b32_e32 v116, 0, v116, vcc_lo
	v_cmp_eq_u32_e32 vcc_lo, 0, v3
	v_add_nc_u32_e32 v3, 0xffffff89, v3
	v_cndmask_b32_e64 v116, v116, 0x77, vcc_lo
	v_cndmask_b32_e32 v30, v43, v30, vcc_lo
	v_cndmask_b32_e64 v3, v3, 0xffffff8a, vcc_lo
	v_lshl_add_u32 v43, 0x100000, v116, -1
	v_lshrrev_b32_e32 v46, v116, v30
	v_lshlrev_b32_e64 v107, v116, 0x80000
	v_add_nc_u32_e32 v116, v116, v3
	v_and_b32_e32 v30, v43, v30
	v_bfe_u32 v57, v46, 20, 1
	v_cmp_eq_u32_e64 s13, v30, v107
	v_add_nc_u32_e32 v43, -1, v57
	v_cndmask_b32_e64 v30, 0, v43, s13
	v_lshrrev_b32_e32 v43, 23, v46
	s_mov_b32 s13, exec_lo
	v_add_nc_u32_e32 v30, v30, v46
	v_xor_b32_e32 v43, 1, v43
	v_and_b32_e32 v3, 0xfffff, v30
	v_add_nc_u32_e32 v30, v3, v46
                                        ; implicit-def: $vgpr3
	v_cmpx_ne_u32_e64 v116, v43
	s_xor_b32 s13, exec_lo, s13
; %bb.825:                              ;   in Loop: Header=BB6_130 Depth=2
	v_cmp_lt_u32_e32 vcc_lo, 0xffffff, v30
	v_sub_nc_u32_e32 v3, v116, v43
	v_cndmask_b32_e64 v116, 0, 1, vcc_lo
	v_add_co_ci_u32_e64 v3, null, 0, v3, vcc_lo
	v_lshrrev_b32_e32 v30, v116, v30
; %bb.826:                              ;   in Loop: Header=BB6_130 Depth=2
	s_andn2_saveexec_b32 s13, s13
; %bb.827:                              ;   in Loop: Header=BB6_130 Depth=2
	v_bfe_u32 v3, v30, 23, 1
; %bb.828:                              ;   in Loop: Header=BB6_130 Depth=2
	s_or_b32 exec_lo, exec_lo, s13
	v_lshrrev_b32_e32 v30, 20, v30
	v_min_i32_e32 v116, 15, v3
	v_cmp_gt_i32_e32 vcc_lo, 16, v3
	v_and_b32_sdwa v2, v2, v59 dst_sel:DWORD dst_unused:UNUSED_PAD src0_sel:BYTE_3 src1_sel:DWORD
	v_lshlrev_b32_e32 v116, 3, v116
	v_cndmask_b32_e32 v30, 7, v30, vcc_lo
	v_and_b32_e32 v116, 0xf8, v116
	v_and_b32_e32 v43, 7, v30
	v_or_b32_e32 v3, v3, v30
	v_or3_b32 v2, v116, v2, v43
	v_cmp_ne_u32_e32 vcc_lo, 0, v3
	v_cndmask_b32_e32 v107, 0, v2, vcc_lo
.LBB6_829:                              ;   in Loop: Header=BB6_130 Depth=2
	s_or_b32 exec_lo, exec_lo, s28
.LBB6_830:                              ;   in Loop: Header=BB6_130 Depth=2
	s_or_b32 exec_lo, exec_lo, s27
	v_cmp_gt_i16_sdwa s27, v22, v58 src0_sel:BYTE_3 src1_sel:DWORD
	s_mov_b32 s13, 0
	s_and_saveexec_b32 s28, s27
	s_xor_b32 s27, exec_lo, s28
	s_cbranch_execz .LBB6_1548
; %bb.831:                              ;   in Loop: Header=BB6_130 Depth=2
	v_cmp_eq_u16_sdwa s29, v22, v59 src0_sel:BYTE_3 src1_sel:DWORD
	s_mov_b32 s13, -1
	s_and_saveexec_b32 s28, s29
; %bb.832:                              ;   in Loop: Header=BB6_130 Depth=2
	s_xor_b32 s13, exec_lo, -1
; %bb.833:                              ;   in Loop: Header=BB6_130 Depth=2
	s_or_b32 exec_lo, exec_lo, s28
	s_and_b32 s13, s13, exec_lo
	s_or_saveexec_b32 s27, s27
	v_mov_b32_e32 v2, 0x7f800001
	s_xor_b32 exec_lo, exec_lo, s27
	s_cbranch_execnz .LBB6_1549
.LBB6_834:                              ;   in Loop: Header=BB6_130 Depth=2
	s_or_b32 exec_lo, exec_lo, s27
	s_and_saveexec_b32 s27, s13
	s_cbranch_execz .LBB6_836
.LBB6_835:                              ;   in Loop: Header=BB6_130 Depth=2
	v_bfe_u32 v2, v22, 24, 3
	v_bfe_u32 v116, v22, 27, 4
	v_ffbh_u32_e32 v3, v2
	v_cmp_eq_u32_e32 vcc_lo, 0, v116
	v_min_u32_e32 v3, 32, v3
	v_subrev_nc_u32_e32 v30, 28, v3
	v_sub_nc_u32_e32 v3, 29, v3
	v_lshlrev_b32_sdwa v30, v30, v22 dst_sel:DWORD dst_unused:UNUSED_PAD src0_sel:DWORD src1_sel:BYTE_3
	v_cndmask_b32_e32 v3, v116, v3, vcc_lo
	v_and_b32_e32 v22, 0x80000000, v22
	v_and_b32_e32 v30, 7, v30
	v_lshl_add_u32 v3, v3, 23, 0x3b800000
	v_cndmask_b32_e32 v2, v2, v30, vcc_lo
	v_lshlrev_b32_e32 v2, 20, v2
	v_or3_b32 v2, v22, v3, v2
.LBB6_836:                              ;   in Loop: Header=BB6_130 Depth=2
	s_or_b32 exec_lo, exec_lo, s27
	v_cmp_gt_i16_sdwa s27, v18, v58 src0_sel:BYTE_3 src1_sel:DWORD
	s_mov_b32 s13, 0
	s_and_saveexec_b32 s28, s27
	s_xor_b32 s27, exec_lo, s28
	s_cbranch_execz .LBB6_1550
; %bb.837:                              ;   in Loop: Header=BB6_130 Depth=2
	v_cmp_eq_u16_sdwa s29, v18, v59 src0_sel:BYTE_3 src1_sel:DWORD
	s_mov_b32 s13, -1
	s_and_saveexec_b32 s28, s29
; %bb.838:                              ;   in Loop: Header=BB6_130 Depth=2
	s_xor_b32 s13, exec_lo, -1
; %bb.839:                              ;   in Loop: Header=BB6_130 Depth=2
	s_or_b32 exec_lo, exec_lo, s28
	s_and_b32 s13, s13, exec_lo
	s_or_saveexec_b32 s27, s27
	v_mov_b32_e32 v3, 0x7f800001
	s_xor_b32 exec_lo, exec_lo, s27
	s_cbranch_execnz .LBB6_1551
.LBB6_840:                              ;   in Loop: Header=BB6_130 Depth=2
	s_or_b32 exec_lo, exec_lo, s27
	s_and_saveexec_b32 s27, s13
	s_cbranch_execz .LBB6_842
.LBB6_841:                              ;   in Loop: Header=BB6_130 Depth=2
	v_bfe_u32 v3, v18, 24, 3
	v_bfe_u32 v116, v18, 27, 4
	v_ffbh_u32_e32 v22, v3
	v_cmp_eq_u32_e32 vcc_lo, 0, v116
	v_min_u32_e32 v22, 32, v22
	v_subrev_nc_u32_e32 v30, 28, v22
	v_sub_nc_u32_e32 v22, 29, v22
	v_lshlrev_b32_sdwa v30, v30, v18 dst_sel:DWORD dst_unused:UNUSED_PAD src0_sel:DWORD src1_sel:BYTE_3
	v_cndmask_b32_e32 v22, v116, v22, vcc_lo
	v_and_b32_e32 v18, 0x80000000, v18
	v_and_b32_e32 v30, 7, v30
	v_lshl_add_u32 v22, v22, 23, 0x3b800000
	v_cndmask_b32_e32 v3, v3, v30, vcc_lo
	v_lshlrev_b32_e32 v3, 20, v3
	v_or3_b32 v3, v18, v22, v3
.LBB6_842:                              ;   in Loop: Header=BB6_130 Depth=2
	s_or_b32 exec_lo, exec_lo, s27
	v_add_f32_e32 v2, v2, v3
	v_mov_b32_e32 v18, 0x8000
	s_mov_b32 s27, exec_lo
	v_and_b32_e32 v3, 0x7f800000, v2
	v_cmpx_ne_u32_e32 0x7f800000, v3
	s_cbranch_execz .LBB6_850
; %bb.843:                              ;   in Loop: Header=BB6_130 Depth=2
	v_mov_b32_e32 v18, 0
	s_mov_b32 s28, exec_lo
	v_cmpx_ne_u32_e32 0, v2
	s_cbranch_execz .LBB6_849
; %bb.844:                              ;   in Loop: Header=BB6_130 Depth=2
	v_bfe_u32 v3, v2, 23, 8
	v_and_b32_e32 v18, 0x7fffff, v2
	v_sub_nc_u32_e32 v22, 0x78, v3
	v_cmp_gt_u32_e32 vcc_lo, 0x79, v3
	v_or_b32_e32 v30, 0x800000, v18
	v_cndmask_b32_e32 v22, 0, v22, vcc_lo
	v_cmp_eq_u32_e32 vcc_lo, 0, v3
	v_add_nc_u32_e32 v3, 0xffffff89, v3
	v_cndmask_b32_e64 v22, v22, 0x77, vcc_lo
	v_cndmask_b32_e32 v18, v30, v18, vcc_lo
	v_cndmask_b32_e64 v3, v3, 0xffffff8a, vcc_lo
	v_lshl_add_u32 v30, 0x100000, v22, -1
	v_lshrrev_b32_e32 v116, v22, v18
	v_lshlrev_b32_e64 v46, v22, 0x80000
	v_add_nc_u32_e32 v22, v22, v3
	v_and_b32_e32 v18, v30, v18
	v_bfe_u32 v43, v116, 20, 1
	v_cmp_eq_u32_e64 s13, v18, v46
	v_add_nc_u32_e32 v30, -1, v43
	v_cndmask_b32_e64 v18, 0, v30, s13
	v_lshrrev_b32_e32 v30, 23, v116
	s_mov_b32 s13, exec_lo
	v_add_nc_u32_e32 v18, v18, v116
	v_xor_b32_e32 v30, 1, v30
	v_and_b32_e32 v3, 0xfffff, v18
	v_add_nc_u32_e32 v18, v3, v116
                                        ; implicit-def: $vgpr3
	v_cmpx_ne_u32_e64 v22, v30
	s_xor_b32 s13, exec_lo, s13
; %bb.845:                              ;   in Loop: Header=BB6_130 Depth=2
	v_cmp_lt_u32_e32 vcc_lo, 0xffffff, v18
	v_sub_nc_u32_e32 v3, v22, v30
	v_cndmask_b32_e64 v22, 0, 1, vcc_lo
	v_add_co_ci_u32_e64 v3, null, 0, v3, vcc_lo
	v_lshrrev_b32_e32 v18, v22, v18
; %bb.846:                              ;   in Loop: Header=BB6_130 Depth=2
	s_andn2_saveexec_b32 s13, s13
; %bb.847:                              ;   in Loop: Header=BB6_130 Depth=2
	v_bfe_u32 v3, v18, 23, 1
; %bb.848:                              ;   in Loop: Header=BB6_130 Depth=2
	s_or_b32 exec_lo, exec_lo, s13
	v_lshrrev_b32_e32 v18, 20, v18
	v_min_i32_e32 v22, 15, v3
	v_cmp_gt_i32_e32 vcc_lo, 16, v3
	v_and_b32_sdwa v2, v2, v59 dst_sel:DWORD dst_unused:UNUSED_PAD src0_sel:BYTE_3 src1_sel:DWORD
	v_lshlrev_b32_e32 v22, 3, v22
	v_cndmask_b32_e32 v18, 7, v18, vcc_lo
	v_and_b32_e32 v22, 0xf8, v22
	v_and_b32_e32 v30, 7, v18
	v_or_b32_e32 v3, v3, v18
	v_or3_b32 v2, v2, v22, v30
	v_cmp_ne_u32_e32 vcc_lo, 0, v3
	v_lshlrev_b32_e32 v2, 8, v2
	v_cndmask_b32_e32 v18, 0, v2, vcc_lo
.LBB6_849:                              ;   in Loop: Header=BB6_130 Depth=2
	s_or_b32 exec_lo, exec_lo, s28
.LBB6_850:                              ;   in Loop: Header=BB6_130 Depth=2
	s_or_b32 exec_lo, exec_lo, s27
	v_cmp_gt_i16_sdwa s27, v23, v58 src0_sel:BYTE_0 src1_sel:DWORD
	s_mov_b32 s13, 0
	s_and_saveexec_b32 s28, s27
	s_xor_b32 s27, exec_lo, s28
	s_cbranch_execz .LBB6_1552
; %bb.851:                              ;   in Loop: Header=BB6_130 Depth=2
	v_cmp_eq_u16_sdwa s29, v23, v59 src0_sel:BYTE_0 src1_sel:DWORD
	s_mov_b32 s13, -1
	s_and_saveexec_b32 s28, s29
; %bb.852:                              ;   in Loop: Header=BB6_130 Depth=2
	s_xor_b32 s13, exec_lo, -1
; %bb.853:                              ;   in Loop: Header=BB6_130 Depth=2
	s_or_b32 exec_lo, exec_lo, s28
	s_and_b32 s13, s13, exec_lo
	s_or_saveexec_b32 s27, s27
	v_mov_b32_e32 v2, 0x7f800001
	s_xor_b32 exec_lo, exec_lo, s27
	s_cbranch_execnz .LBB6_1553
.LBB6_854:                              ;   in Loop: Header=BB6_130 Depth=2
	s_or_b32 exec_lo, exec_lo, s27
	s_and_saveexec_b32 s27, s13
	s_cbranch_execz .LBB6_856
.LBB6_855:                              ;   in Loop: Header=BB6_130 Depth=2
	v_and_b32_e32 v2, 7, v23
	v_bfe_u32 v30, v23, 3, 4
	v_lshlrev_b32_e32 v116, 24, v23
	v_ffbh_u32_e32 v3, v2
	v_cmp_eq_u32_e32 vcc_lo, 0, v30
	v_min_u32_e32 v3, 32, v3
	v_subrev_nc_u32_e32 v22, 28, v3
	v_sub_nc_u32_e32 v3, 29, v3
	v_lshlrev_b32_e32 v22, v22, v23
	v_cndmask_b32_e32 v3, v30, v3, vcc_lo
	v_and_b32_e32 v22, 7, v22
	v_lshl_add_u32 v3, v3, 23, 0x3b800000
	v_cndmask_b32_e32 v2, v2, v22, vcc_lo
	v_and_b32_e32 v22, 0x80000000, v116
	v_lshlrev_b32_e32 v2, 20, v2
	v_or3_b32 v2, v22, v3, v2
.LBB6_856:                              ;   in Loop: Header=BB6_130 Depth=2
	s_or_b32 exec_lo, exec_lo, s27
	v_cmp_gt_i16_sdwa s27, v19, v58 src0_sel:BYTE_0 src1_sel:DWORD
	s_mov_b32 s13, 0
	s_and_saveexec_b32 s28, s27
	s_xor_b32 s27, exec_lo, s28
	s_cbranch_execz .LBB6_1554
; %bb.857:                              ;   in Loop: Header=BB6_130 Depth=2
	v_cmp_eq_u16_sdwa s29, v19, v59 src0_sel:BYTE_0 src1_sel:DWORD
	s_mov_b32 s13, -1
	s_and_saveexec_b32 s28, s29
; %bb.858:                              ;   in Loop: Header=BB6_130 Depth=2
	s_xor_b32 s13, exec_lo, -1
; %bb.859:                              ;   in Loop: Header=BB6_130 Depth=2
	s_or_b32 exec_lo, exec_lo, s28
	s_and_b32 s13, s13, exec_lo
	s_or_saveexec_b32 s27, s27
	v_mov_b32_e32 v3, 0x7f800001
	s_xor_b32 exec_lo, exec_lo, s27
	s_cbranch_execnz .LBB6_1555
.LBB6_860:                              ;   in Loop: Header=BB6_130 Depth=2
	s_or_b32 exec_lo, exec_lo, s27
	s_and_saveexec_b32 s27, s13
	s_cbranch_execz .LBB6_862
.LBB6_861:                              ;   in Loop: Header=BB6_130 Depth=2
	v_and_b32_e32 v3, 7, v19
	v_bfe_u32 v116, v19, 3, 4
	v_lshlrev_b32_e32 v43, 24, v19
	v_ffbh_u32_e32 v22, v3
	v_cmp_eq_u32_e32 vcc_lo, 0, v116
	v_min_u32_e32 v22, 32, v22
	v_subrev_nc_u32_e32 v30, 28, v22
	v_sub_nc_u32_e32 v22, 29, v22
	v_lshlrev_b32_e32 v30, v30, v19
	v_cndmask_b32_e32 v22, v116, v22, vcc_lo
	v_and_b32_e32 v30, 7, v30
	v_lshl_add_u32 v22, v22, 23, 0x3b800000
	v_cndmask_b32_e32 v3, v3, v30, vcc_lo
	v_and_b32_e32 v30, 0x80000000, v43
	v_lshlrev_b32_e32 v3, 20, v3
	v_or3_b32 v3, v30, v22, v3
.LBB6_862:                              ;   in Loop: Header=BB6_130 Depth=2
	s_or_b32 exec_lo, exec_lo, s27
	v_add_f32_e32 v2, v2, v3
	v_mov_b32_e32 v22, 0x80
	s_mov_b32 s27, exec_lo
	v_and_b32_e32 v3, 0x7f800000, v2
	v_cmpx_ne_u32_e32 0x7f800000, v3
	s_cbranch_execz .LBB6_870
; %bb.863:                              ;   in Loop: Header=BB6_130 Depth=2
	v_mov_b32_e32 v22, 0
	s_mov_b32 s28, exec_lo
	v_cmpx_ne_u32_e32 0, v2
	s_cbranch_execz .LBB6_869
; %bb.864:                              ;   in Loop: Header=BB6_130 Depth=2
	v_bfe_u32 v3, v2, 23, 8
	v_and_b32_e32 v22, 0x7fffff, v2
	v_sub_nc_u32_e32 v30, 0x78, v3
	v_cmp_gt_u32_e32 vcc_lo, 0x79, v3
	v_or_b32_e32 v116, 0x800000, v22
	v_cndmask_b32_e32 v30, 0, v30, vcc_lo
	v_cmp_eq_u32_e32 vcc_lo, 0, v3
	v_add_nc_u32_e32 v3, 0xffffff89, v3
	v_cndmask_b32_e64 v30, v30, 0x77, vcc_lo
	v_cndmask_b32_e32 v22, v116, v22, vcc_lo
	v_cndmask_b32_e64 v3, v3, 0xffffff8a, vcc_lo
	v_lshl_add_u32 v116, 0x100000, v30, -1
	v_lshrrev_b32_e32 v43, v30, v22
	v_lshlrev_b32_e64 v57, v30, 0x80000
	v_add_nc_u32_e32 v30, v30, v3
	v_and_b32_e32 v22, v116, v22
	v_bfe_u32 v46, v43, 20, 1
	v_cmp_eq_u32_e64 s13, v22, v57
	v_add_nc_u32_e32 v116, -1, v46
	v_cndmask_b32_e64 v22, 0, v116, s13
	v_lshrrev_b32_e32 v116, 23, v43
	s_mov_b32 s13, exec_lo
	v_add_nc_u32_e32 v22, v22, v43
	v_xor_b32_e32 v116, 1, v116
	v_and_b32_e32 v3, 0xfffff, v22
	v_add_nc_u32_e32 v22, v3, v43
                                        ; implicit-def: $vgpr3
	v_cmpx_ne_u32_e64 v30, v116
	s_xor_b32 s13, exec_lo, s13
; %bb.865:                              ;   in Loop: Header=BB6_130 Depth=2
	v_cmp_lt_u32_e32 vcc_lo, 0xffffff, v22
	v_sub_nc_u32_e32 v3, v30, v116
	v_cndmask_b32_e64 v30, 0, 1, vcc_lo
	v_add_co_ci_u32_e64 v3, null, 0, v3, vcc_lo
	v_lshrrev_b32_e32 v22, v30, v22
; %bb.866:                              ;   in Loop: Header=BB6_130 Depth=2
	s_andn2_saveexec_b32 s13, s13
; %bb.867:                              ;   in Loop: Header=BB6_130 Depth=2
	v_bfe_u32 v3, v22, 23, 1
; %bb.868:                              ;   in Loop: Header=BB6_130 Depth=2
	s_or_b32 exec_lo, exec_lo, s13
	v_lshrrev_b32_e32 v22, 20, v22
	v_min_i32_e32 v30, 15, v3
	v_cmp_gt_i32_e32 vcc_lo, 16, v3
	v_and_b32_sdwa v2, v2, v59 dst_sel:DWORD dst_unused:UNUSED_PAD src0_sel:BYTE_3 src1_sel:DWORD
	v_lshlrev_b32_e32 v30, 3, v30
	v_cndmask_b32_e32 v22, 7, v22, vcc_lo
	v_and_b32_e32 v30, 0xf8, v30
	v_and_b32_e32 v116, 7, v22
	v_or_b32_e32 v3, v3, v22
	v_or3_b32 v2, v30, v2, v116
	v_cmp_ne_u32_e32 vcc_lo, 0, v3
	v_cndmask_b32_e32 v22, 0, v2, vcc_lo
.LBB6_869:                              ;   in Loop: Header=BB6_130 Depth=2
	s_or_b32 exec_lo, exec_lo, s28
.LBB6_870:                              ;   in Loop: Header=BB6_130 Depth=2
	s_or_b32 exec_lo, exec_lo, s27
	v_cmp_gt_i16_sdwa s27, v23, v58 src0_sel:BYTE_1 src1_sel:DWORD
	s_mov_b32 s13, 0
	s_and_saveexec_b32 s28, s27
	s_xor_b32 s27, exec_lo, s28
	s_cbranch_execz .LBB6_1556
; %bb.871:                              ;   in Loop: Header=BB6_130 Depth=2
	v_cmp_eq_u16_sdwa s29, v23, v59 src0_sel:BYTE_1 src1_sel:DWORD
	s_mov_b32 s13, -1
	s_and_saveexec_b32 s28, s29
; %bb.872:                              ;   in Loop: Header=BB6_130 Depth=2
	s_xor_b32 s13, exec_lo, -1
; %bb.873:                              ;   in Loop: Header=BB6_130 Depth=2
	s_or_b32 exec_lo, exec_lo, s28
	s_and_b32 s13, s13, exec_lo
	s_or_saveexec_b32 s27, s27
	v_mov_b32_e32 v2, 0x7f800001
	s_xor_b32 exec_lo, exec_lo, s27
	s_cbranch_execnz .LBB6_1557
.LBB6_874:                              ;   in Loop: Header=BB6_130 Depth=2
	s_or_b32 exec_lo, exec_lo, s27
	s_and_saveexec_b32 s27, s13
	s_cbranch_execz .LBB6_876
.LBB6_875:                              ;   in Loop: Header=BB6_130 Depth=2
	v_and_b32_sdwa v2, v60, v23 dst_sel:DWORD dst_unused:UNUSED_PAD src0_sel:DWORD src1_sel:BYTE_1
	v_and_b32_e32 v3, 7, v2
	v_bfe_u32 v43, v2, 3, 4
	v_ffbh_u32_e32 v30, v3
	v_cmp_eq_u32_e32 vcc_lo, 0, v43
	v_min_u32_e32 v30, 32, v30
	v_subrev_nc_u32_e32 v116, 28, v30
	v_sub_nc_u32_e32 v30, 29, v30
	v_lshlrev_b32_e32 v2, v116, v2
	v_lshlrev_b32_sdwa v116, v61, v23 dst_sel:DWORD dst_unused:UNUSED_PAD src0_sel:DWORD src1_sel:BYTE_1
	v_cndmask_b32_e32 v30, v43, v30, vcc_lo
	v_and_b32_e32 v2, 7, v2
	v_lshl_add_u32 v30, v30, 23, 0x3b800000
	v_cndmask_b32_e32 v2, v3, v2, vcc_lo
	v_and_b32_e32 v3, 0x80000000, v116
	v_lshlrev_b32_e32 v2, 20, v2
	v_or3_b32 v2, v3, v30, v2
.LBB6_876:                              ;   in Loop: Header=BB6_130 Depth=2
	s_or_b32 exec_lo, exec_lo, s27
	v_cmp_gt_i16_sdwa s27, v19, v58 src0_sel:BYTE_1 src1_sel:DWORD
	s_mov_b32 s13, 0
	s_and_saveexec_b32 s28, s27
	s_xor_b32 s27, exec_lo, s28
	s_cbranch_execz .LBB6_1558
; %bb.877:                              ;   in Loop: Header=BB6_130 Depth=2
	v_cmp_eq_u16_sdwa s29, v19, v59 src0_sel:BYTE_1 src1_sel:DWORD
	s_mov_b32 s13, -1
	s_and_saveexec_b32 s28, s29
; %bb.878:                              ;   in Loop: Header=BB6_130 Depth=2
	s_xor_b32 s13, exec_lo, -1
; %bb.879:                              ;   in Loop: Header=BB6_130 Depth=2
	s_or_b32 exec_lo, exec_lo, s28
	s_and_b32 s13, s13, exec_lo
	s_or_saveexec_b32 s27, s27
	v_mov_b32_e32 v3, 0x7f800001
	s_xor_b32 exec_lo, exec_lo, s27
	s_cbranch_execnz .LBB6_1559
.LBB6_880:                              ;   in Loop: Header=BB6_130 Depth=2
	s_or_b32 exec_lo, exec_lo, s27
	s_and_saveexec_b32 s27, s13
	s_cbranch_execz .LBB6_882
.LBB6_881:                              ;   in Loop: Header=BB6_130 Depth=2
	v_and_b32_sdwa v3, v60, v19 dst_sel:DWORD dst_unused:UNUSED_PAD src0_sel:DWORD src1_sel:BYTE_1
	v_and_b32_e32 v30, 7, v3
	v_bfe_u32 v46, v3, 3, 4
	v_ffbh_u32_e32 v116, v30
	v_cmp_eq_u32_e32 vcc_lo, 0, v46
	v_min_u32_e32 v116, 32, v116
	v_subrev_nc_u32_e32 v43, 28, v116
	v_sub_nc_u32_e32 v116, 29, v116
	v_lshlrev_b32_e32 v3, v43, v3
	v_lshlrev_b32_sdwa v43, v61, v19 dst_sel:DWORD dst_unused:UNUSED_PAD src0_sel:DWORD src1_sel:BYTE_1
	v_cndmask_b32_e32 v116, v46, v116, vcc_lo
	v_and_b32_e32 v3, 7, v3
	v_lshl_add_u32 v116, v116, 23, 0x3b800000
	v_cndmask_b32_e32 v3, v30, v3, vcc_lo
	v_and_b32_e32 v30, 0x80000000, v43
	v_lshlrev_b32_e32 v3, 20, v3
	v_or3_b32 v3, v30, v116, v3
.LBB6_882:                              ;   in Loop: Header=BB6_130 Depth=2
	s_or_b32 exec_lo, exec_lo, s27
	v_add_f32_e32 v2, v2, v3
	v_mov_b32_e32 v108, 0x8000
	s_mov_b32 s27, exec_lo
	v_and_b32_e32 v3, 0x7f800000, v2
	v_cmpx_ne_u32_e32 0x7f800000, v3
	s_cbranch_execz .LBB6_890
; %bb.883:                              ;   in Loop: Header=BB6_130 Depth=2
	v_mov_b32_e32 v108, 0
	s_mov_b32 s28, exec_lo
	v_cmpx_ne_u32_e32 0, v2
	s_cbranch_execz .LBB6_889
; %bb.884:                              ;   in Loop: Header=BB6_130 Depth=2
	v_bfe_u32 v3, v2, 23, 8
	v_and_b32_e32 v30, 0x7fffff, v2
	v_sub_nc_u32_e32 v116, 0x78, v3
	v_cmp_gt_u32_e32 vcc_lo, 0x79, v3
	v_or_b32_e32 v43, 0x800000, v30
	v_cndmask_b32_e32 v116, 0, v116, vcc_lo
	v_cmp_eq_u32_e32 vcc_lo, 0, v3
	v_add_nc_u32_e32 v3, 0xffffff89, v3
	v_cndmask_b32_e64 v116, v116, 0x77, vcc_lo
	v_cndmask_b32_e32 v30, v43, v30, vcc_lo
	v_cndmask_b32_e64 v3, v3, 0xffffff8a, vcc_lo
	v_lshl_add_u32 v43, 0x100000, v116, -1
	v_lshrrev_b32_e32 v46, v116, v30
	v_lshlrev_b32_e64 v108, v116, 0x80000
	v_add_nc_u32_e32 v116, v116, v3
	v_and_b32_e32 v30, v43, v30
	v_bfe_u32 v57, v46, 20, 1
	v_cmp_eq_u32_e64 s13, v30, v108
	v_add_nc_u32_e32 v43, -1, v57
	v_cndmask_b32_e64 v30, 0, v43, s13
	v_lshrrev_b32_e32 v43, 23, v46
	s_mov_b32 s13, exec_lo
	v_add_nc_u32_e32 v30, v30, v46
	v_xor_b32_e32 v43, 1, v43
	v_and_b32_e32 v3, 0xfffff, v30
	v_add_nc_u32_e32 v30, v3, v46
                                        ; implicit-def: $vgpr3
	v_cmpx_ne_u32_e64 v116, v43
	s_xor_b32 s13, exec_lo, s13
; %bb.885:                              ;   in Loop: Header=BB6_130 Depth=2
	v_cmp_lt_u32_e32 vcc_lo, 0xffffff, v30
	v_sub_nc_u32_e32 v3, v116, v43
	v_cndmask_b32_e64 v116, 0, 1, vcc_lo
	v_add_co_ci_u32_e64 v3, null, 0, v3, vcc_lo
	v_lshrrev_b32_e32 v30, v116, v30
; %bb.886:                              ;   in Loop: Header=BB6_130 Depth=2
	s_andn2_saveexec_b32 s13, s13
; %bb.887:                              ;   in Loop: Header=BB6_130 Depth=2
	v_bfe_u32 v3, v30, 23, 1
; %bb.888:                              ;   in Loop: Header=BB6_130 Depth=2
	s_or_b32 exec_lo, exec_lo, s13
	v_lshrrev_b32_e32 v30, 20, v30
	v_min_i32_e32 v116, 15, v3
	v_cmp_gt_i32_e32 vcc_lo, 16, v3
	v_and_b32_sdwa v2, v2, v59 dst_sel:DWORD dst_unused:UNUSED_PAD src0_sel:BYTE_3 src1_sel:DWORD
	v_lshlrev_b32_e32 v116, 3, v116
	v_cndmask_b32_e32 v30, 7, v30, vcc_lo
	v_and_b32_e32 v116, 0xf8, v116
	v_and_b32_e32 v43, 7, v30
	v_or_b32_e32 v3, v3, v30
	v_or3_b32 v2, v2, v116, v43
	v_cmp_ne_u32_e32 vcc_lo, 0, v3
	v_lshlrev_b32_e32 v2, 8, v2
	v_cndmask_b32_e32 v108, 0, v2, vcc_lo
.LBB6_889:                              ;   in Loop: Header=BB6_130 Depth=2
	s_or_b32 exec_lo, exec_lo, s28
.LBB6_890:                              ;   in Loop: Header=BB6_130 Depth=2
	s_or_b32 exec_lo, exec_lo, s27
	v_and_b32_sdwa v3, v23, v62 dst_sel:DWORD dst_unused:UNUSED_PAD src0_sel:WORD_1 src1_sel:DWORD
	s_mov_b32 s13, 0
	s_mov_b32 s27, exec_lo
	v_cmpx_lt_i16_e32 0x7f, v3
	s_xor_b32 s27, exec_lo, s27
	s_cbranch_execz .LBB6_1560
; %bb.891:                              ;   in Loop: Header=BB6_130 Depth=2
	s_mov_b32 s13, -1
	s_mov_b32 s28, exec_lo
	v_cmpx_eq_u16_e32 0x80, v3
; %bb.892:                              ;   in Loop: Header=BB6_130 Depth=2
	s_xor_b32 s13, exec_lo, -1
; %bb.893:                              ;   in Loop: Header=BB6_130 Depth=2
	s_or_b32 exec_lo, exec_lo, s28
	s_and_b32 s13, s13, exec_lo
                                        ; implicit-def: $vgpr3
	s_or_saveexec_b32 s27, s27
	v_mov_b32_e32 v2, 0x7f800001
	s_xor_b32 exec_lo, exec_lo, s27
	s_cbranch_execnz .LBB6_1561
.LBB6_894:                              ;   in Loop: Header=BB6_130 Depth=2
	s_or_b32 exec_lo, exec_lo, s27
	s_and_saveexec_b32 s27, s13
	s_cbranch_execz .LBB6_896
.LBB6_895:                              ;   in Loop: Header=BB6_130 Depth=2
	v_bfe_u32 v2, v23, 16, 3
	v_bfe_u32 v116, v23, 19, 4
	v_lshlrev_b32_e32 v43, 8, v23
	v_ffbh_u32_e32 v3, v2
	v_cmp_eq_u32_e32 vcc_lo, 0, v116
	v_min_u32_e32 v3, 32, v3
	v_subrev_nc_u32_e32 v30, 28, v3
	v_sub_nc_u32_e32 v3, 29, v3
	v_lshlrev_b32_sdwa v30, v30, v23 dst_sel:DWORD dst_unused:UNUSED_PAD src0_sel:DWORD src1_sel:WORD_1
	v_cndmask_b32_e32 v3, v116, v3, vcc_lo
	v_and_b32_e32 v30, 7, v30
	v_lshl_add_u32 v3, v3, 23, 0x3b800000
	v_cndmask_b32_e32 v2, v2, v30, vcc_lo
	v_and_b32_e32 v30, 0x80000000, v43
	v_lshlrev_b32_e32 v2, 20, v2
	v_or3_b32 v2, v30, v3, v2
.LBB6_896:                              ;   in Loop: Header=BB6_130 Depth=2
	s_or_b32 exec_lo, exec_lo, s27
	v_and_b32_sdwa v30, v19, v62 dst_sel:DWORD dst_unused:UNUSED_PAD src0_sel:WORD_1 src1_sel:DWORD
	s_mov_b32 s13, 0
	s_mov_b32 s27, exec_lo
	v_cmpx_lt_i16_e32 0x7f, v30
	s_xor_b32 s27, exec_lo, s27
	s_cbranch_execz .LBB6_1562
; %bb.897:                              ;   in Loop: Header=BB6_130 Depth=2
	s_mov_b32 s13, -1
	s_mov_b32 s28, exec_lo
	v_cmpx_eq_u16_e32 0x80, v30
; %bb.898:                              ;   in Loop: Header=BB6_130 Depth=2
	s_xor_b32 s13, exec_lo, -1
; %bb.899:                              ;   in Loop: Header=BB6_130 Depth=2
	s_or_b32 exec_lo, exec_lo, s28
	s_and_b32 s13, s13, exec_lo
                                        ; implicit-def: $vgpr30
	s_or_saveexec_b32 s27, s27
	v_mov_b32_e32 v3, 0x7f800001
	s_xor_b32 exec_lo, exec_lo, s27
	s_cbranch_execnz .LBB6_1563
.LBB6_900:                              ;   in Loop: Header=BB6_130 Depth=2
	s_or_b32 exec_lo, exec_lo, s27
	s_and_saveexec_b32 s27, s13
	s_cbranch_execz .LBB6_902
.LBB6_901:                              ;   in Loop: Header=BB6_130 Depth=2
	v_bfe_u32 v3, v19, 16, 3
	v_bfe_u32 v43, v19, 19, 4
	v_lshlrev_b32_e32 v46, 8, v19
	v_ffbh_u32_e32 v30, v3
	v_cmp_eq_u32_e32 vcc_lo, 0, v43
	v_min_u32_e32 v30, 32, v30
	v_subrev_nc_u32_e32 v116, 28, v30
	v_sub_nc_u32_e32 v30, 29, v30
	v_lshlrev_b32_sdwa v116, v116, v19 dst_sel:DWORD dst_unused:UNUSED_PAD src0_sel:DWORD src1_sel:WORD_1
	v_cndmask_b32_e32 v30, v43, v30, vcc_lo
	v_and_b32_e32 v116, 7, v116
	v_lshl_add_u32 v30, v30, 23, 0x3b800000
	v_cndmask_b32_e32 v3, v3, v116, vcc_lo
	v_and_b32_e32 v116, 0x80000000, v46
	v_lshlrev_b32_e32 v3, 20, v3
	v_or3_b32 v3, v116, v30, v3
.LBB6_902:                              ;   in Loop: Header=BB6_130 Depth=2
	s_or_b32 exec_lo, exec_lo, s27
	v_add_f32_e32 v2, v2, v3
	v_mov_b32_e32 v109, 0x80
	s_mov_b32 s27, exec_lo
	v_and_b32_e32 v3, 0x7f800000, v2
	v_cmpx_ne_u32_e32 0x7f800000, v3
	s_cbranch_execz .LBB6_910
; %bb.903:                              ;   in Loop: Header=BB6_130 Depth=2
	v_mov_b32_e32 v109, 0
	s_mov_b32 s28, exec_lo
	v_cmpx_ne_u32_e32 0, v2
	s_cbranch_execz .LBB6_909
; %bb.904:                              ;   in Loop: Header=BB6_130 Depth=2
	v_bfe_u32 v3, v2, 23, 8
	v_and_b32_e32 v30, 0x7fffff, v2
	v_sub_nc_u32_e32 v116, 0x78, v3
	v_cmp_gt_u32_e32 vcc_lo, 0x79, v3
	v_or_b32_e32 v43, 0x800000, v30
	v_cndmask_b32_e32 v116, 0, v116, vcc_lo
	v_cmp_eq_u32_e32 vcc_lo, 0, v3
	v_add_nc_u32_e32 v3, 0xffffff89, v3
	v_cndmask_b32_e64 v116, v116, 0x77, vcc_lo
	v_cndmask_b32_e32 v30, v43, v30, vcc_lo
	v_cndmask_b32_e64 v3, v3, 0xffffff8a, vcc_lo
	v_lshl_add_u32 v43, 0x100000, v116, -1
	v_lshrrev_b32_e32 v46, v116, v30
	v_lshlrev_b32_e64 v109, v116, 0x80000
	v_add_nc_u32_e32 v116, v116, v3
	v_and_b32_e32 v30, v43, v30
	v_bfe_u32 v57, v46, 20, 1
	v_cmp_eq_u32_e64 s13, v30, v109
	v_add_nc_u32_e32 v43, -1, v57
	v_cndmask_b32_e64 v30, 0, v43, s13
	v_lshrrev_b32_e32 v43, 23, v46
	s_mov_b32 s13, exec_lo
	v_add_nc_u32_e32 v30, v30, v46
	v_xor_b32_e32 v43, 1, v43
	v_and_b32_e32 v3, 0xfffff, v30
	v_add_nc_u32_e32 v30, v3, v46
                                        ; implicit-def: $vgpr3
	v_cmpx_ne_u32_e64 v116, v43
	s_xor_b32 s13, exec_lo, s13
; %bb.905:                              ;   in Loop: Header=BB6_130 Depth=2
	v_cmp_lt_u32_e32 vcc_lo, 0xffffff, v30
	v_sub_nc_u32_e32 v3, v116, v43
	v_cndmask_b32_e64 v116, 0, 1, vcc_lo
	v_add_co_ci_u32_e64 v3, null, 0, v3, vcc_lo
	v_lshrrev_b32_e32 v30, v116, v30
; %bb.906:                              ;   in Loop: Header=BB6_130 Depth=2
	s_andn2_saveexec_b32 s13, s13
; %bb.907:                              ;   in Loop: Header=BB6_130 Depth=2
	v_bfe_u32 v3, v30, 23, 1
; %bb.908:                              ;   in Loop: Header=BB6_130 Depth=2
	s_or_b32 exec_lo, exec_lo, s13
	v_lshrrev_b32_e32 v30, 20, v30
	v_min_i32_e32 v116, 15, v3
	v_cmp_gt_i32_e32 vcc_lo, 16, v3
	v_and_b32_sdwa v2, v2, v59 dst_sel:DWORD dst_unused:UNUSED_PAD src0_sel:BYTE_3 src1_sel:DWORD
	v_lshlrev_b32_e32 v116, 3, v116
	v_cndmask_b32_e32 v30, 7, v30, vcc_lo
	v_and_b32_e32 v116, 0xf8, v116
	v_and_b32_e32 v43, 7, v30
	v_or_b32_e32 v3, v3, v30
	v_or3_b32 v2, v116, v2, v43
	v_cmp_ne_u32_e32 vcc_lo, 0, v3
	v_cndmask_b32_e32 v109, 0, v2, vcc_lo
.LBB6_909:                              ;   in Loop: Header=BB6_130 Depth=2
	s_or_b32 exec_lo, exec_lo, s28
.LBB6_910:                              ;   in Loop: Header=BB6_130 Depth=2
	s_or_b32 exec_lo, exec_lo, s27
	v_cmp_gt_i16_sdwa s27, v23, v58 src0_sel:BYTE_3 src1_sel:DWORD
	s_mov_b32 s13, 0
	s_and_saveexec_b32 s28, s27
	s_xor_b32 s27, exec_lo, s28
	s_cbranch_execz .LBB6_1564
; %bb.911:                              ;   in Loop: Header=BB6_130 Depth=2
	v_cmp_eq_u16_sdwa s29, v23, v59 src0_sel:BYTE_3 src1_sel:DWORD
	s_mov_b32 s13, -1
	s_and_saveexec_b32 s28, s29
; %bb.912:                              ;   in Loop: Header=BB6_130 Depth=2
	s_xor_b32 s13, exec_lo, -1
; %bb.913:                              ;   in Loop: Header=BB6_130 Depth=2
	s_or_b32 exec_lo, exec_lo, s28
	s_and_b32 s13, s13, exec_lo
	s_or_saveexec_b32 s27, s27
	v_mov_b32_e32 v2, 0x7f800001
	s_xor_b32 exec_lo, exec_lo, s27
	s_cbranch_execnz .LBB6_1565
.LBB6_914:                              ;   in Loop: Header=BB6_130 Depth=2
	s_or_b32 exec_lo, exec_lo, s27
	s_and_saveexec_b32 s27, s13
	s_cbranch_execz .LBB6_916
.LBB6_915:                              ;   in Loop: Header=BB6_130 Depth=2
	v_bfe_u32 v2, v23, 24, 3
	v_bfe_u32 v116, v23, 27, 4
	v_ffbh_u32_e32 v3, v2
	v_cmp_eq_u32_e32 vcc_lo, 0, v116
	v_min_u32_e32 v3, 32, v3
	v_subrev_nc_u32_e32 v30, 28, v3
	v_sub_nc_u32_e32 v3, 29, v3
	v_lshlrev_b32_sdwa v30, v30, v23 dst_sel:DWORD dst_unused:UNUSED_PAD src0_sel:DWORD src1_sel:BYTE_3
	v_cndmask_b32_e32 v3, v116, v3, vcc_lo
	v_and_b32_e32 v23, 0x80000000, v23
	v_and_b32_e32 v30, 7, v30
	v_lshl_add_u32 v3, v3, 23, 0x3b800000
	v_cndmask_b32_e32 v2, v2, v30, vcc_lo
	v_lshlrev_b32_e32 v2, 20, v2
	v_or3_b32 v2, v23, v3, v2
.LBB6_916:                              ;   in Loop: Header=BB6_130 Depth=2
	s_or_b32 exec_lo, exec_lo, s27
	v_cmp_gt_i16_sdwa s27, v19, v58 src0_sel:BYTE_3 src1_sel:DWORD
	s_mov_b32 s13, 0
	s_and_saveexec_b32 s28, s27
	s_xor_b32 s27, exec_lo, s28
	s_cbranch_execz .LBB6_1566
; %bb.917:                              ;   in Loop: Header=BB6_130 Depth=2
	v_cmp_eq_u16_sdwa s29, v19, v59 src0_sel:BYTE_3 src1_sel:DWORD
	s_mov_b32 s13, -1
	s_and_saveexec_b32 s28, s29
; %bb.918:                              ;   in Loop: Header=BB6_130 Depth=2
	s_xor_b32 s13, exec_lo, -1
; %bb.919:                              ;   in Loop: Header=BB6_130 Depth=2
	s_or_b32 exec_lo, exec_lo, s28
	s_and_b32 s13, s13, exec_lo
	s_or_saveexec_b32 s27, s27
	v_mov_b32_e32 v3, 0x7f800001
	s_xor_b32 exec_lo, exec_lo, s27
	s_cbranch_execnz .LBB6_1567
.LBB6_920:                              ;   in Loop: Header=BB6_130 Depth=2
	s_or_b32 exec_lo, exec_lo, s27
	s_and_saveexec_b32 s27, s13
	s_cbranch_execz .LBB6_922
.LBB6_921:                              ;   in Loop: Header=BB6_130 Depth=2
	v_bfe_u32 v3, v19, 24, 3
	v_bfe_u32 v116, v19, 27, 4
	v_ffbh_u32_e32 v23, v3
	v_cmp_eq_u32_e32 vcc_lo, 0, v116
	v_min_u32_e32 v23, 32, v23
	v_subrev_nc_u32_e32 v30, 28, v23
	v_sub_nc_u32_e32 v23, 29, v23
	v_lshlrev_b32_sdwa v30, v30, v19 dst_sel:DWORD dst_unused:UNUSED_PAD src0_sel:DWORD src1_sel:BYTE_3
	v_cndmask_b32_e32 v23, v116, v23, vcc_lo
	v_and_b32_e32 v19, 0x80000000, v19
	v_and_b32_e32 v30, 7, v30
	v_lshl_add_u32 v23, v23, 23, 0x3b800000
	v_cndmask_b32_e32 v3, v3, v30, vcc_lo
	v_lshlrev_b32_e32 v3, 20, v3
	v_or3_b32 v3, v19, v23, v3
.LBB6_922:                              ;   in Loop: Header=BB6_130 Depth=2
	s_or_b32 exec_lo, exec_lo, s27
	v_add_f32_e32 v2, v2, v3
	v_mov_b32_e32 v19, 0x8000
	s_mov_b32 s27, exec_lo
	v_and_b32_e32 v3, 0x7f800000, v2
	v_cmpx_ne_u32_e32 0x7f800000, v3
	s_cbranch_execz .LBB6_930
; %bb.923:                              ;   in Loop: Header=BB6_130 Depth=2
	v_mov_b32_e32 v19, 0
	s_mov_b32 s28, exec_lo
	v_cmpx_ne_u32_e32 0, v2
	s_cbranch_execz .LBB6_929
; %bb.924:                              ;   in Loop: Header=BB6_130 Depth=2
	v_bfe_u32 v3, v2, 23, 8
	v_and_b32_e32 v19, 0x7fffff, v2
	v_sub_nc_u32_e32 v23, 0x78, v3
	v_cmp_gt_u32_e32 vcc_lo, 0x79, v3
	v_or_b32_e32 v30, 0x800000, v19
	v_cndmask_b32_e32 v23, 0, v23, vcc_lo
	v_cmp_eq_u32_e32 vcc_lo, 0, v3
	v_add_nc_u32_e32 v3, 0xffffff89, v3
	v_cndmask_b32_e64 v23, v23, 0x77, vcc_lo
	v_cndmask_b32_e32 v19, v30, v19, vcc_lo
	v_cndmask_b32_e64 v3, v3, 0xffffff8a, vcc_lo
	v_lshl_add_u32 v30, 0x100000, v23, -1
	v_lshrrev_b32_e32 v116, v23, v19
	v_lshlrev_b32_e64 v46, v23, 0x80000
	v_add_nc_u32_e32 v23, v23, v3
	v_and_b32_e32 v19, v30, v19
	v_bfe_u32 v43, v116, 20, 1
	v_cmp_eq_u32_e64 s13, v19, v46
	v_add_nc_u32_e32 v30, -1, v43
	v_cndmask_b32_e64 v19, 0, v30, s13
	v_lshrrev_b32_e32 v30, 23, v116
	s_mov_b32 s13, exec_lo
	v_add_nc_u32_e32 v19, v19, v116
	v_xor_b32_e32 v30, 1, v30
	v_and_b32_e32 v3, 0xfffff, v19
	v_add_nc_u32_e32 v19, v3, v116
                                        ; implicit-def: $vgpr3
	v_cmpx_ne_u32_e64 v23, v30
	s_xor_b32 s13, exec_lo, s13
; %bb.925:                              ;   in Loop: Header=BB6_130 Depth=2
	v_cmp_lt_u32_e32 vcc_lo, 0xffffff, v19
	v_sub_nc_u32_e32 v3, v23, v30
	v_cndmask_b32_e64 v23, 0, 1, vcc_lo
	v_add_co_ci_u32_e64 v3, null, 0, v3, vcc_lo
	v_lshrrev_b32_e32 v19, v23, v19
; %bb.926:                              ;   in Loop: Header=BB6_130 Depth=2
	s_andn2_saveexec_b32 s13, s13
; %bb.927:                              ;   in Loop: Header=BB6_130 Depth=2
	v_bfe_u32 v3, v19, 23, 1
; %bb.928:                              ;   in Loop: Header=BB6_130 Depth=2
	s_or_b32 exec_lo, exec_lo, s13
	v_lshrrev_b32_e32 v19, 20, v19
	v_min_i32_e32 v23, 15, v3
	v_cmp_gt_i32_e32 vcc_lo, 16, v3
	v_and_b32_sdwa v2, v2, v59 dst_sel:DWORD dst_unused:UNUSED_PAD src0_sel:BYTE_3 src1_sel:DWORD
	v_lshlrev_b32_e32 v23, 3, v23
	v_cndmask_b32_e32 v19, 7, v19, vcc_lo
	v_and_b32_e32 v23, 0xf8, v23
	v_and_b32_e32 v30, 7, v19
	v_or_b32_e32 v3, v3, v19
	v_or3_b32 v2, v2, v23, v30
	v_cmp_ne_u32_e32 vcc_lo, 0, v3
	v_lshlrev_b32_e32 v2, 8, v2
	v_cndmask_b32_e32 v19, 0, v2, vcc_lo
.LBB6_929:                              ;   in Loop: Header=BB6_130 Depth=2
	s_or_b32 exec_lo, exec_lo, s28
.LBB6_930:                              ;   in Loop: Header=BB6_130 Depth=2
	s_or_b32 exec_lo, exec_lo, s27
	v_cmp_gt_i16_sdwa s27, v24, v58 src0_sel:BYTE_0 src1_sel:DWORD
	s_mov_b32 s13, 0
	s_and_saveexec_b32 s28, s27
	s_xor_b32 s27, exec_lo, s28
	s_cbranch_execz .LBB6_1568
; %bb.931:                              ;   in Loop: Header=BB6_130 Depth=2
	v_cmp_eq_u16_sdwa s29, v24, v59 src0_sel:BYTE_0 src1_sel:DWORD
	s_mov_b32 s13, -1
	s_and_saveexec_b32 s28, s29
; %bb.932:                              ;   in Loop: Header=BB6_130 Depth=2
	s_xor_b32 s13, exec_lo, -1
; %bb.933:                              ;   in Loop: Header=BB6_130 Depth=2
	s_or_b32 exec_lo, exec_lo, s28
	s_and_b32 s13, s13, exec_lo
	s_or_saveexec_b32 s27, s27
	v_mov_b32_e32 v2, 0x7f800001
	s_xor_b32 exec_lo, exec_lo, s27
	s_cbranch_execnz .LBB6_1569
.LBB6_934:                              ;   in Loop: Header=BB6_130 Depth=2
	s_or_b32 exec_lo, exec_lo, s27
	s_and_saveexec_b32 s27, s13
	s_cbranch_execz .LBB6_936
.LBB6_935:                              ;   in Loop: Header=BB6_130 Depth=2
	v_and_b32_e32 v2, 7, v24
	v_bfe_u32 v30, v24, 3, 4
	v_lshlrev_b32_e32 v116, 24, v24
	v_ffbh_u32_e32 v3, v2
	v_cmp_eq_u32_e32 vcc_lo, 0, v30
	v_min_u32_e32 v3, 32, v3
	v_subrev_nc_u32_e32 v23, 28, v3
	v_sub_nc_u32_e32 v3, 29, v3
	v_lshlrev_b32_e32 v23, v23, v24
	v_cndmask_b32_e32 v3, v30, v3, vcc_lo
	v_and_b32_e32 v23, 7, v23
	v_lshl_add_u32 v3, v3, 23, 0x3b800000
	v_cndmask_b32_e32 v2, v2, v23, vcc_lo
	v_and_b32_e32 v23, 0x80000000, v116
	v_lshlrev_b32_e32 v2, 20, v2
	v_or3_b32 v2, v23, v3, v2
.LBB6_936:                              ;   in Loop: Header=BB6_130 Depth=2
	s_or_b32 exec_lo, exec_lo, s27
	v_cmp_gt_i16_sdwa s27, v20, v58 src0_sel:BYTE_0 src1_sel:DWORD
	s_mov_b32 s13, 0
	s_and_saveexec_b32 s28, s27
	s_xor_b32 s27, exec_lo, s28
	s_cbranch_execz .LBB6_1570
; %bb.937:                              ;   in Loop: Header=BB6_130 Depth=2
	v_cmp_eq_u16_sdwa s29, v20, v59 src0_sel:BYTE_0 src1_sel:DWORD
	s_mov_b32 s13, -1
	s_and_saveexec_b32 s28, s29
; %bb.938:                              ;   in Loop: Header=BB6_130 Depth=2
	s_xor_b32 s13, exec_lo, -1
; %bb.939:                              ;   in Loop: Header=BB6_130 Depth=2
	s_or_b32 exec_lo, exec_lo, s28
	s_and_b32 s13, s13, exec_lo
	s_or_saveexec_b32 s27, s27
	v_mov_b32_e32 v3, 0x7f800001
	s_xor_b32 exec_lo, exec_lo, s27
	s_cbranch_execnz .LBB6_1571
.LBB6_940:                              ;   in Loop: Header=BB6_130 Depth=2
	s_or_b32 exec_lo, exec_lo, s27
	s_and_saveexec_b32 s27, s13
	s_cbranch_execz .LBB6_942
.LBB6_941:                              ;   in Loop: Header=BB6_130 Depth=2
	v_and_b32_e32 v3, 7, v20
	v_bfe_u32 v116, v20, 3, 4
	v_lshlrev_b32_e32 v43, 24, v20
	v_ffbh_u32_e32 v23, v3
	v_cmp_eq_u32_e32 vcc_lo, 0, v116
	v_min_u32_e32 v23, 32, v23
	v_subrev_nc_u32_e32 v30, 28, v23
	v_sub_nc_u32_e32 v23, 29, v23
	v_lshlrev_b32_e32 v30, v30, v20
	v_cndmask_b32_e32 v23, v116, v23, vcc_lo
	v_and_b32_e32 v30, 7, v30
	v_lshl_add_u32 v23, v23, 23, 0x3b800000
	v_cndmask_b32_e32 v3, v3, v30, vcc_lo
	v_and_b32_e32 v30, 0x80000000, v43
	v_lshlrev_b32_e32 v3, 20, v3
	v_or3_b32 v3, v30, v23, v3
.LBB6_942:                              ;   in Loop: Header=BB6_130 Depth=2
	s_or_b32 exec_lo, exec_lo, s27
	v_add_f32_e32 v2, v2, v3
	v_mov_b32_e32 v23, 0x80
	s_mov_b32 s27, exec_lo
	v_and_b32_e32 v3, 0x7f800000, v2
	v_cmpx_ne_u32_e32 0x7f800000, v3
	s_cbranch_execz .LBB6_950
; %bb.943:                              ;   in Loop: Header=BB6_130 Depth=2
	v_mov_b32_e32 v23, 0
	s_mov_b32 s28, exec_lo
	v_cmpx_ne_u32_e32 0, v2
	s_cbranch_execz .LBB6_949
; %bb.944:                              ;   in Loop: Header=BB6_130 Depth=2
	v_bfe_u32 v3, v2, 23, 8
	v_and_b32_e32 v23, 0x7fffff, v2
	v_sub_nc_u32_e32 v30, 0x78, v3
	v_cmp_gt_u32_e32 vcc_lo, 0x79, v3
	v_or_b32_e32 v116, 0x800000, v23
	v_cndmask_b32_e32 v30, 0, v30, vcc_lo
	v_cmp_eq_u32_e32 vcc_lo, 0, v3
	v_add_nc_u32_e32 v3, 0xffffff89, v3
	v_cndmask_b32_e64 v30, v30, 0x77, vcc_lo
	v_cndmask_b32_e32 v23, v116, v23, vcc_lo
	v_cndmask_b32_e64 v3, v3, 0xffffff8a, vcc_lo
	v_lshl_add_u32 v116, 0x100000, v30, -1
	v_lshrrev_b32_e32 v43, v30, v23
	v_lshlrev_b32_e64 v57, v30, 0x80000
	v_add_nc_u32_e32 v30, v30, v3
	v_and_b32_e32 v23, v116, v23
	v_bfe_u32 v46, v43, 20, 1
	v_cmp_eq_u32_e64 s13, v23, v57
	v_add_nc_u32_e32 v116, -1, v46
	v_cndmask_b32_e64 v23, 0, v116, s13
	v_lshrrev_b32_e32 v116, 23, v43
	s_mov_b32 s13, exec_lo
	v_add_nc_u32_e32 v23, v23, v43
	v_xor_b32_e32 v116, 1, v116
	v_and_b32_e32 v3, 0xfffff, v23
	v_add_nc_u32_e32 v23, v3, v43
                                        ; implicit-def: $vgpr3
	v_cmpx_ne_u32_e64 v30, v116
	s_xor_b32 s13, exec_lo, s13
; %bb.945:                              ;   in Loop: Header=BB6_130 Depth=2
	v_cmp_lt_u32_e32 vcc_lo, 0xffffff, v23
	v_sub_nc_u32_e32 v3, v30, v116
	v_cndmask_b32_e64 v30, 0, 1, vcc_lo
	v_add_co_ci_u32_e64 v3, null, 0, v3, vcc_lo
	v_lshrrev_b32_e32 v23, v30, v23
; %bb.946:                              ;   in Loop: Header=BB6_130 Depth=2
	s_andn2_saveexec_b32 s13, s13
; %bb.947:                              ;   in Loop: Header=BB6_130 Depth=2
	v_bfe_u32 v3, v23, 23, 1
; %bb.948:                              ;   in Loop: Header=BB6_130 Depth=2
	s_or_b32 exec_lo, exec_lo, s13
	v_lshrrev_b32_e32 v23, 20, v23
	v_min_i32_e32 v30, 15, v3
	v_cmp_gt_i32_e32 vcc_lo, 16, v3
	v_and_b32_sdwa v2, v2, v59 dst_sel:DWORD dst_unused:UNUSED_PAD src0_sel:BYTE_3 src1_sel:DWORD
	v_lshlrev_b32_e32 v30, 3, v30
	v_cndmask_b32_e32 v23, 7, v23, vcc_lo
	v_and_b32_e32 v30, 0xf8, v30
	v_and_b32_e32 v116, 7, v23
	v_or_b32_e32 v3, v3, v23
	v_or3_b32 v2, v30, v2, v116
	v_cmp_ne_u32_e32 vcc_lo, 0, v3
	v_cndmask_b32_e32 v23, 0, v2, vcc_lo
.LBB6_949:                              ;   in Loop: Header=BB6_130 Depth=2
	s_or_b32 exec_lo, exec_lo, s28
.LBB6_950:                              ;   in Loop: Header=BB6_130 Depth=2
	s_or_b32 exec_lo, exec_lo, s27
	v_cmp_gt_i16_sdwa s27, v24, v58 src0_sel:BYTE_1 src1_sel:DWORD
	s_mov_b32 s13, 0
	s_and_saveexec_b32 s28, s27
	s_xor_b32 s27, exec_lo, s28
	s_cbranch_execz .LBB6_1572
; %bb.951:                              ;   in Loop: Header=BB6_130 Depth=2
	v_cmp_eq_u16_sdwa s29, v24, v59 src0_sel:BYTE_1 src1_sel:DWORD
	s_mov_b32 s13, -1
	s_and_saveexec_b32 s28, s29
; %bb.952:                              ;   in Loop: Header=BB6_130 Depth=2
	s_xor_b32 s13, exec_lo, -1
; %bb.953:                              ;   in Loop: Header=BB6_130 Depth=2
	s_or_b32 exec_lo, exec_lo, s28
	s_and_b32 s13, s13, exec_lo
	s_or_saveexec_b32 s27, s27
	v_mov_b32_e32 v2, 0x7f800001
	s_xor_b32 exec_lo, exec_lo, s27
	s_cbranch_execnz .LBB6_1573
.LBB6_954:                              ;   in Loop: Header=BB6_130 Depth=2
	s_or_b32 exec_lo, exec_lo, s27
	s_and_saveexec_b32 s27, s13
	s_cbranch_execz .LBB6_956
.LBB6_955:                              ;   in Loop: Header=BB6_130 Depth=2
	v_and_b32_sdwa v2, v60, v24 dst_sel:DWORD dst_unused:UNUSED_PAD src0_sel:DWORD src1_sel:BYTE_1
	v_and_b32_e32 v3, 7, v2
	v_bfe_u32 v43, v2, 3, 4
	v_ffbh_u32_e32 v30, v3
	v_cmp_eq_u32_e32 vcc_lo, 0, v43
	v_min_u32_e32 v30, 32, v30
	v_subrev_nc_u32_e32 v116, 28, v30
	v_sub_nc_u32_e32 v30, 29, v30
	v_lshlrev_b32_e32 v2, v116, v2
	v_lshlrev_b32_sdwa v116, v61, v24 dst_sel:DWORD dst_unused:UNUSED_PAD src0_sel:DWORD src1_sel:BYTE_1
	v_cndmask_b32_e32 v30, v43, v30, vcc_lo
	v_and_b32_e32 v2, 7, v2
	v_lshl_add_u32 v30, v30, 23, 0x3b800000
	v_cndmask_b32_e32 v2, v3, v2, vcc_lo
	v_and_b32_e32 v3, 0x80000000, v116
	v_lshlrev_b32_e32 v2, 20, v2
	v_or3_b32 v2, v3, v30, v2
.LBB6_956:                              ;   in Loop: Header=BB6_130 Depth=2
	s_or_b32 exec_lo, exec_lo, s27
	v_cmp_gt_i16_sdwa s27, v20, v58 src0_sel:BYTE_1 src1_sel:DWORD
	s_mov_b32 s13, 0
	s_and_saveexec_b32 s28, s27
	s_xor_b32 s27, exec_lo, s28
	s_cbranch_execz .LBB6_1574
; %bb.957:                              ;   in Loop: Header=BB6_130 Depth=2
	v_cmp_eq_u16_sdwa s29, v20, v59 src0_sel:BYTE_1 src1_sel:DWORD
	s_mov_b32 s13, -1
	s_and_saveexec_b32 s28, s29
; %bb.958:                              ;   in Loop: Header=BB6_130 Depth=2
	s_xor_b32 s13, exec_lo, -1
; %bb.959:                              ;   in Loop: Header=BB6_130 Depth=2
	s_or_b32 exec_lo, exec_lo, s28
	s_and_b32 s13, s13, exec_lo
	s_or_saveexec_b32 s27, s27
	v_mov_b32_e32 v3, 0x7f800001
	s_xor_b32 exec_lo, exec_lo, s27
	s_cbranch_execnz .LBB6_1575
.LBB6_960:                              ;   in Loop: Header=BB6_130 Depth=2
	s_or_b32 exec_lo, exec_lo, s27
	s_and_saveexec_b32 s27, s13
	s_cbranch_execz .LBB6_962
.LBB6_961:                              ;   in Loop: Header=BB6_130 Depth=2
	v_and_b32_sdwa v3, v60, v20 dst_sel:DWORD dst_unused:UNUSED_PAD src0_sel:DWORD src1_sel:BYTE_1
	v_and_b32_e32 v30, 7, v3
	v_bfe_u32 v46, v3, 3, 4
	v_ffbh_u32_e32 v116, v30
	v_cmp_eq_u32_e32 vcc_lo, 0, v46
	v_min_u32_e32 v116, 32, v116
	v_subrev_nc_u32_e32 v43, 28, v116
	v_sub_nc_u32_e32 v116, 29, v116
	v_lshlrev_b32_e32 v3, v43, v3
	v_lshlrev_b32_sdwa v43, v61, v20 dst_sel:DWORD dst_unused:UNUSED_PAD src0_sel:DWORD src1_sel:BYTE_1
	v_cndmask_b32_e32 v116, v46, v116, vcc_lo
	v_and_b32_e32 v3, 7, v3
	v_lshl_add_u32 v116, v116, 23, 0x3b800000
	v_cndmask_b32_e32 v3, v30, v3, vcc_lo
	v_and_b32_e32 v30, 0x80000000, v43
	v_lshlrev_b32_e32 v3, 20, v3
	v_or3_b32 v3, v30, v116, v3
.LBB6_962:                              ;   in Loop: Header=BB6_130 Depth=2
	s_or_b32 exec_lo, exec_lo, s27
	v_add_f32_e32 v2, v2, v3
	v_mov_b32_e32 v110, 0x8000
	s_mov_b32 s27, exec_lo
	v_and_b32_e32 v3, 0x7f800000, v2
	v_cmpx_ne_u32_e32 0x7f800000, v3
	s_cbranch_execz .LBB6_970
; %bb.963:                              ;   in Loop: Header=BB6_130 Depth=2
	v_mov_b32_e32 v110, 0
	s_mov_b32 s28, exec_lo
	v_cmpx_ne_u32_e32 0, v2
	s_cbranch_execz .LBB6_969
; %bb.964:                              ;   in Loop: Header=BB6_130 Depth=2
	v_bfe_u32 v3, v2, 23, 8
	v_and_b32_e32 v30, 0x7fffff, v2
	v_sub_nc_u32_e32 v116, 0x78, v3
	v_cmp_gt_u32_e32 vcc_lo, 0x79, v3
	v_or_b32_e32 v43, 0x800000, v30
	v_cndmask_b32_e32 v116, 0, v116, vcc_lo
	v_cmp_eq_u32_e32 vcc_lo, 0, v3
	v_add_nc_u32_e32 v3, 0xffffff89, v3
	v_cndmask_b32_e64 v116, v116, 0x77, vcc_lo
	v_cndmask_b32_e32 v30, v43, v30, vcc_lo
	v_cndmask_b32_e64 v3, v3, 0xffffff8a, vcc_lo
	v_lshl_add_u32 v43, 0x100000, v116, -1
	v_lshrrev_b32_e32 v46, v116, v30
	v_lshlrev_b32_e64 v110, v116, 0x80000
	v_add_nc_u32_e32 v116, v116, v3
	v_and_b32_e32 v30, v43, v30
	v_bfe_u32 v57, v46, 20, 1
	v_cmp_eq_u32_e64 s13, v30, v110
	v_add_nc_u32_e32 v43, -1, v57
	v_cndmask_b32_e64 v30, 0, v43, s13
	v_lshrrev_b32_e32 v43, 23, v46
	s_mov_b32 s13, exec_lo
	v_add_nc_u32_e32 v30, v30, v46
	v_xor_b32_e32 v43, 1, v43
	v_and_b32_e32 v3, 0xfffff, v30
	v_add_nc_u32_e32 v30, v3, v46
                                        ; implicit-def: $vgpr3
	v_cmpx_ne_u32_e64 v116, v43
	s_xor_b32 s13, exec_lo, s13
; %bb.965:                              ;   in Loop: Header=BB6_130 Depth=2
	v_cmp_lt_u32_e32 vcc_lo, 0xffffff, v30
	v_sub_nc_u32_e32 v3, v116, v43
	v_cndmask_b32_e64 v116, 0, 1, vcc_lo
	v_add_co_ci_u32_e64 v3, null, 0, v3, vcc_lo
	v_lshrrev_b32_e32 v30, v116, v30
; %bb.966:                              ;   in Loop: Header=BB6_130 Depth=2
	s_andn2_saveexec_b32 s13, s13
; %bb.967:                              ;   in Loop: Header=BB6_130 Depth=2
	v_bfe_u32 v3, v30, 23, 1
; %bb.968:                              ;   in Loop: Header=BB6_130 Depth=2
	s_or_b32 exec_lo, exec_lo, s13
	v_lshrrev_b32_e32 v30, 20, v30
	v_min_i32_e32 v116, 15, v3
	v_cmp_gt_i32_e32 vcc_lo, 16, v3
	v_and_b32_sdwa v2, v2, v59 dst_sel:DWORD dst_unused:UNUSED_PAD src0_sel:BYTE_3 src1_sel:DWORD
	v_lshlrev_b32_e32 v116, 3, v116
	v_cndmask_b32_e32 v30, 7, v30, vcc_lo
	v_and_b32_e32 v116, 0xf8, v116
	v_and_b32_e32 v43, 7, v30
	v_or_b32_e32 v3, v3, v30
	v_or3_b32 v2, v2, v116, v43
	v_cmp_ne_u32_e32 vcc_lo, 0, v3
	v_lshlrev_b32_e32 v2, 8, v2
	v_cndmask_b32_e32 v110, 0, v2, vcc_lo
.LBB6_969:                              ;   in Loop: Header=BB6_130 Depth=2
	s_or_b32 exec_lo, exec_lo, s28
.LBB6_970:                              ;   in Loop: Header=BB6_130 Depth=2
	s_or_b32 exec_lo, exec_lo, s27
	v_and_b32_sdwa v3, v24, v62 dst_sel:DWORD dst_unused:UNUSED_PAD src0_sel:WORD_1 src1_sel:DWORD
	s_mov_b32 s13, 0
	s_mov_b32 s27, exec_lo
	v_cmpx_lt_i16_e32 0x7f, v3
	s_xor_b32 s27, exec_lo, s27
	s_cbranch_execz .LBB6_1576
; %bb.971:                              ;   in Loop: Header=BB6_130 Depth=2
	s_mov_b32 s13, -1
	s_mov_b32 s28, exec_lo
	v_cmpx_eq_u16_e32 0x80, v3
; %bb.972:                              ;   in Loop: Header=BB6_130 Depth=2
	s_xor_b32 s13, exec_lo, -1
; %bb.973:                              ;   in Loop: Header=BB6_130 Depth=2
	s_or_b32 exec_lo, exec_lo, s28
	s_and_b32 s13, s13, exec_lo
                                        ; implicit-def: $vgpr3
	s_or_saveexec_b32 s27, s27
	v_mov_b32_e32 v2, 0x7f800001
	s_xor_b32 exec_lo, exec_lo, s27
	s_cbranch_execnz .LBB6_1577
.LBB6_974:                              ;   in Loop: Header=BB6_130 Depth=2
	s_or_b32 exec_lo, exec_lo, s27
	s_and_saveexec_b32 s27, s13
	s_cbranch_execz .LBB6_976
.LBB6_975:                              ;   in Loop: Header=BB6_130 Depth=2
	v_bfe_u32 v2, v24, 16, 3
	v_bfe_u32 v116, v24, 19, 4
	v_lshlrev_b32_e32 v43, 8, v24
	v_ffbh_u32_e32 v3, v2
	v_cmp_eq_u32_e32 vcc_lo, 0, v116
	v_min_u32_e32 v3, 32, v3
	v_subrev_nc_u32_e32 v30, 28, v3
	v_sub_nc_u32_e32 v3, 29, v3
	v_lshlrev_b32_sdwa v30, v30, v24 dst_sel:DWORD dst_unused:UNUSED_PAD src0_sel:DWORD src1_sel:WORD_1
	v_cndmask_b32_e32 v3, v116, v3, vcc_lo
	v_and_b32_e32 v30, 7, v30
	v_lshl_add_u32 v3, v3, 23, 0x3b800000
	v_cndmask_b32_e32 v2, v2, v30, vcc_lo
	v_and_b32_e32 v30, 0x80000000, v43
	v_lshlrev_b32_e32 v2, 20, v2
	v_or3_b32 v2, v30, v3, v2
.LBB6_976:                              ;   in Loop: Header=BB6_130 Depth=2
	s_or_b32 exec_lo, exec_lo, s27
	v_and_b32_sdwa v30, v20, v62 dst_sel:DWORD dst_unused:UNUSED_PAD src0_sel:WORD_1 src1_sel:DWORD
	s_mov_b32 s13, 0
	s_mov_b32 s27, exec_lo
	v_cmpx_lt_i16_e32 0x7f, v30
	s_xor_b32 s27, exec_lo, s27
	s_cbranch_execz .LBB6_1578
; %bb.977:                              ;   in Loop: Header=BB6_130 Depth=2
	s_mov_b32 s13, -1
	s_mov_b32 s28, exec_lo
	v_cmpx_eq_u16_e32 0x80, v30
; %bb.978:                              ;   in Loop: Header=BB6_130 Depth=2
	s_xor_b32 s13, exec_lo, -1
; %bb.979:                              ;   in Loop: Header=BB6_130 Depth=2
	s_or_b32 exec_lo, exec_lo, s28
	s_and_b32 s13, s13, exec_lo
                                        ; implicit-def: $vgpr30
	s_or_saveexec_b32 s27, s27
	v_mov_b32_e32 v3, 0x7f800001
	s_xor_b32 exec_lo, exec_lo, s27
	s_cbranch_execnz .LBB6_1579
.LBB6_980:                              ;   in Loop: Header=BB6_130 Depth=2
	s_or_b32 exec_lo, exec_lo, s27
	s_and_saveexec_b32 s27, s13
	s_cbranch_execz .LBB6_982
.LBB6_981:                              ;   in Loop: Header=BB6_130 Depth=2
	v_bfe_u32 v3, v20, 16, 3
	v_bfe_u32 v43, v20, 19, 4
	v_lshlrev_b32_e32 v46, 8, v20
	v_ffbh_u32_e32 v30, v3
	v_cmp_eq_u32_e32 vcc_lo, 0, v43
	v_min_u32_e32 v30, 32, v30
	v_subrev_nc_u32_e32 v116, 28, v30
	v_sub_nc_u32_e32 v30, 29, v30
	v_lshlrev_b32_sdwa v116, v116, v20 dst_sel:DWORD dst_unused:UNUSED_PAD src0_sel:DWORD src1_sel:WORD_1
	v_cndmask_b32_e32 v30, v43, v30, vcc_lo
	v_and_b32_e32 v116, 7, v116
	v_lshl_add_u32 v30, v30, 23, 0x3b800000
	v_cndmask_b32_e32 v3, v3, v116, vcc_lo
	v_and_b32_e32 v116, 0x80000000, v46
	v_lshlrev_b32_e32 v3, 20, v3
	v_or3_b32 v3, v116, v30, v3
.LBB6_982:                              ;   in Loop: Header=BB6_130 Depth=2
	s_or_b32 exec_lo, exec_lo, s27
	v_add_f32_e32 v2, v2, v3
	v_mov_b32_e32 v111, 0x80
	s_mov_b32 s27, exec_lo
	v_and_b32_e32 v3, 0x7f800000, v2
	v_cmpx_ne_u32_e32 0x7f800000, v3
	s_cbranch_execz .LBB6_990
; %bb.983:                              ;   in Loop: Header=BB6_130 Depth=2
	v_mov_b32_e32 v111, 0
	s_mov_b32 s28, exec_lo
	v_cmpx_ne_u32_e32 0, v2
	s_cbranch_execz .LBB6_989
; %bb.984:                              ;   in Loop: Header=BB6_130 Depth=2
	v_bfe_u32 v3, v2, 23, 8
	v_and_b32_e32 v30, 0x7fffff, v2
	v_sub_nc_u32_e32 v116, 0x78, v3
	v_cmp_gt_u32_e32 vcc_lo, 0x79, v3
	v_or_b32_e32 v43, 0x800000, v30
	v_cndmask_b32_e32 v116, 0, v116, vcc_lo
	v_cmp_eq_u32_e32 vcc_lo, 0, v3
	v_add_nc_u32_e32 v3, 0xffffff89, v3
	v_cndmask_b32_e64 v116, v116, 0x77, vcc_lo
	v_cndmask_b32_e32 v30, v43, v30, vcc_lo
	v_cndmask_b32_e64 v3, v3, 0xffffff8a, vcc_lo
	v_lshl_add_u32 v43, 0x100000, v116, -1
	v_lshrrev_b32_e32 v46, v116, v30
	v_lshlrev_b32_e64 v111, v116, 0x80000
	v_add_nc_u32_e32 v116, v116, v3
	v_and_b32_e32 v30, v43, v30
	v_bfe_u32 v57, v46, 20, 1
	v_cmp_eq_u32_e64 s13, v30, v111
	v_add_nc_u32_e32 v43, -1, v57
	v_cndmask_b32_e64 v30, 0, v43, s13
	v_lshrrev_b32_e32 v43, 23, v46
	s_mov_b32 s13, exec_lo
	v_add_nc_u32_e32 v30, v30, v46
	v_xor_b32_e32 v43, 1, v43
	v_and_b32_e32 v3, 0xfffff, v30
	v_add_nc_u32_e32 v30, v3, v46
                                        ; implicit-def: $vgpr3
	v_cmpx_ne_u32_e64 v116, v43
	s_xor_b32 s13, exec_lo, s13
; %bb.985:                              ;   in Loop: Header=BB6_130 Depth=2
	v_cmp_lt_u32_e32 vcc_lo, 0xffffff, v30
	v_sub_nc_u32_e32 v3, v116, v43
	v_cndmask_b32_e64 v116, 0, 1, vcc_lo
	v_add_co_ci_u32_e64 v3, null, 0, v3, vcc_lo
	v_lshrrev_b32_e32 v30, v116, v30
; %bb.986:                              ;   in Loop: Header=BB6_130 Depth=2
	s_andn2_saveexec_b32 s13, s13
; %bb.987:                              ;   in Loop: Header=BB6_130 Depth=2
	v_bfe_u32 v3, v30, 23, 1
; %bb.988:                              ;   in Loop: Header=BB6_130 Depth=2
	s_or_b32 exec_lo, exec_lo, s13
	v_lshrrev_b32_e32 v30, 20, v30
	v_min_i32_e32 v116, 15, v3
	v_cmp_gt_i32_e32 vcc_lo, 16, v3
	v_and_b32_sdwa v2, v2, v59 dst_sel:DWORD dst_unused:UNUSED_PAD src0_sel:BYTE_3 src1_sel:DWORD
	v_lshlrev_b32_e32 v116, 3, v116
	v_cndmask_b32_e32 v30, 7, v30, vcc_lo
	v_and_b32_e32 v116, 0xf8, v116
	v_and_b32_e32 v43, 7, v30
	v_or_b32_e32 v3, v3, v30
	v_or3_b32 v2, v116, v2, v43
	v_cmp_ne_u32_e32 vcc_lo, 0, v3
	v_cndmask_b32_e32 v111, 0, v2, vcc_lo
.LBB6_989:                              ;   in Loop: Header=BB6_130 Depth=2
	s_or_b32 exec_lo, exec_lo, s28
.LBB6_990:                              ;   in Loop: Header=BB6_130 Depth=2
	s_or_b32 exec_lo, exec_lo, s27
	v_cmp_gt_i16_sdwa s27, v24, v58 src0_sel:BYTE_3 src1_sel:DWORD
	s_mov_b32 s13, 0
	s_and_saveexec_b32 s28, s27
	s_xor_b32 s27, exec_lo, s28
	s_cbranch_execz .LBB6_1580
; %bb.991:                              ;   in Loop: Header=BB6_130 Depth=2
	v_cmp_eq_u16_sdwa s29, v24, v59 src0_sel:BYTE_3 src1_sel:DWORD
	s_mov_b32 s13, -1
	s_and_saveexec_b32 s28, s29
; %bb.992:                              ;   in Loop: Header=BB6_130 Depth=2
	s_xor_b32 s13, exec_lo, -1
; %bb.993:                              ;   in Loop: Header=BB6_130 Depth=2
	s_or_b32 exec_lo, exec_lo, s28
	s_and_b32 s13, s13, exec_lo
	s_or_saveexec_b32 s27, s27
	v_mov_b32_e32 v2, 0x7f800001
	s_xor_b32 exec_lo, exec_lo, s27
	s_cbranch_execnz .LBB6_1581
.LBB6_994:                              ;   in Loop: Header=BB6_130 Depth=2
	s_or_b32 exec_lo, exec_lo, s27
	s_and_saveexec_b32 s27, s13
	s_cbranch_execz .LBB6_996
.LBB6_995:                              ;   in Loop: Header=BB6_130 Depth=2
	v_bfe_u32 v2, v24, 24, 3
	v_bfe_u32 v116, v24, 27, 4
	v_ffbh_u32_e32 v3, v2
	v_cmp_eq_u32_e32 vcc_lo, 0, v116
	v_min_u32_e32 v3, 32, v3
	v_subrev_nc_u32_e32 v30, 28, v3
	v_sub_nc_u32_e32 v3, 29, v3
	v_lshlrev_b32_sdwa v30, v30, v24 dst_sel:DWORD dst_unused:UNUSED_PAD src0_sel:DWORD src1_sel:BYTE_3
	v_cndmask_b32_e32 v3, v116, v3, vcc_lo
	v_and_b32_e32 v24, 0x80000000, v24
	v_and_b32_e32 v30, 7, v30
	v_lshl_add_u32 v3, v3, 23, 0x3b800000
	v_cndmask_b32_e32 v2, v2, v30, vcc_lo
	v_lshlrev_b32_e32 v2, 20, v2
	v_or3_b32 v2, v24, v3, v2
.LBB6_996:                              ;   in Loop: Header=BB6_130 Depth=2
	s_or_b32 exec_lo, exec_lo, s27
	v_cmp_gt_i16_sdwa s27, v20, v58 src0_sel:BYTE_3 src1_sel:DWORD
	s_mov_b32 s13, 0
	s_and_saveexec_b32 s28, s27
	s_xor_b32 s27, exec_lo, s28
	s_cbranch_execz .LBB6_1582
; %bb.997:                              ;   in Loop: Header=BB6_130 Depth=2
	v_cmp_eq_u16_sdwa s29, v20, v59 src0_sel:BYTE_3 src1_sel:DWORD
	s_mov_b32 s13, -1
	s_and_saveexec_b32 s28, s29
; %bb.998:                              ;   in Loop: Header=BB6_130 Depth=2
	s_xor_b32 s13, exec_lo, -1
; %bb.999:                              ;   in Loop: Header=BB6_130 Depth=2
	s_or_b32 exec_lo, exec_lo, s28
	s_and_b32 s13, s13, exec_lo
	s_or_saveexec_b32 s27, s27
	v_mov_b32_e32 v3, 0x7f800001
	s_xor_b32 exec_lo, exec_lo, s27
	s_cbranch_execnz .LBB6_1583
.LBB6_1000:                             ;   in Loop: Header=BB6_130 Depth=2
	s_or_b32 exec_lo, exec_lo, s27
	s_and_saveexec_b32 s27, s13
	s_cbranch_execz .LBB6_1002
.LBB6_1001:                             ;   in Loop: Header=BB6_130 Depth=2
	v_bfe_u32 v3, v20, 24, 3
	v_bfe_u32 v116, v20, 27, 4
	v_ffbh_u32_e32 v24, v3
	v_cmp_eq_u32_e32 vcc_lo, 0, v116
	v_min_u32_e32 v24, 32, v24
	v_subrev_nc_u32_e32 v30, 28, v24
	v_sub_nc_u32_e32 v24, 29, v24
	v_lshlrev_b32_sdwa v30, v30, v20 dst_sel:DWORD dst_unused:UNUSED_PAD src0_sel:DWORD src1_sel:BYTE_3
	v_cndmask_b32_e32 v24, v116, v24, vcc_lo
	v_and_b32_e32 v20, 0x80000000, v20
	v_and_b32_e32 v30, 7, v30
	v_lshl_add_u32 v24, v24, 23, 0x3b800000
	v_cndmask_b32_e32 v3, v3, v30, vcc_lo
	v_lshlrev_b32_e32 v3, 20, v3
	v_or3_b32 v3, v20, v24, v3
.LBB6_1002:                             ;   in Loop: Header=BB6_130 Depth=2
	s_or_b32 exec_lo, exec_lo, s27
	v_add_f32_e32 v2, v2, v3
	v_mov_b32_e32 v20, 0x8000
	s_mov_b32 s27, exec_lo
	v_and_b32_e32 v3, 0x7f800000, v2
	v_cmpx_ne_u32_e32 0x7f800000, v3
	s_cbranch_execz .LBB6_1010
; %bb.1003:                             ;   in Loop: Header=BB6_130 Depth=2
	v_mov_b32_e32 v20, 0
	s_mov_b32 s28, exec_lo
	v_cmpx_ne_u32_e32 0, v2
	s_cbranch_execz .LBB6_1009
; %bb.1004:                             ;   in Loop: Header=BB6_130 Depth=2
	v_bfe_u32 v3, v2, 23, 8
	v_and_b32_e32 v20, 0x7fffff, v2
	v_sub_nc_u32_e32 v24, 0x78, v3
	v_cmp_gt_u32_e32 vcc_lo, 0x79, v3
	v_or_b32_e32 v30, 0x800000, v20
	v_cndmask_b32_e32 v24, 0, v24, vcc_lo
	v_cmp_eq_u32_e32 vcc_lo, 0, v3
	v_add_nc_u32_e32 v3, 0xffffff89, v3
	v_cndmask_b32_e64 v24, v24, 0x77, vcc_lo
	v_cndmask_b32_e32 v20, v30, v20, vcc_lo
	v_cndmask_b32_e64 v3, v3, 0xffffff8a, vcc_lo
	v_lshl_add_u32 v30, 0x100000, v24, -1
	v_lshrrev_b32_e32 v116, v24, v20
	v_lshlrev_b32_e64 v46, v24, 0x80000
	v_add_nc_u32_e32 v24, v24, v3
	v_and_b32_e32 v20, v30, v20
	v_bfe_u32 v43, v116, 20, 1
	v_cmp_eq_u32_e64 s13, v20, v46
	v_add_nc_u32_e32 v30, -1, v43
	v_cndmask_b32_e64 v20, 0, v30, s13
	v_lshrrev_b32_e32 v30, 23, v116
	s_mov_b32 s13, exec_lo
	v_add_nc_u32_e32 v20, v20, v116
	v_xor_b32_e32 v30, 1, v30
	v_and_b32_e32 v3, 0xfffff, v20
	v_add_nc_u32_e32 v20, v3, v116
                                        ; implicit-def: $vgpr3
	v_cmpx_ne_u32_e64 v24, v30
	s_xor_b32 s13, exec_lo, s13
; %bb.1005:                             ;   in Loop: Header=BB6_130 Depth=2
	v_cmp_lt_u32_e32 vcc_lo, 0xffffff, v20
	v_sub_nc_u32_e32 v3, v24, v30
	v_cndmask_b32_e64 v24, 0, 1, vcc_lo
	v_add_co_ci_u32_e64 v3, null, 0, v3, vcc_lo
	v_lshrrev_b32_e32 v20, v24, v20
; %bb.1006:                             ;   in Loop: Header=BB6_130 Depth=2
	s_andn2_saveexec_b32 s13, s13
; %bb.1007:                             ;   in Loop: Header=BB6_130 Depth=2
	v_bfe_u32 v3, v20, 23, 1
; %bb.1008:                             ;   in Loop: Header=BB6_130 Depth=2
	s_or_b32 exec_lo, exec_lo, s13
	v_lshrrev_b32_e32 v20, 20, v20
	v_min_i32_e32 v24, 15, v3
	v_cmp_gt_i32_e32 vcc_lo, 16, v3
	v_and_b32_sdwa v2, v2, v59 dst_sel:DWORD dst_unused:UNUSED_PAD src0_sel:BYTE_3 src1_sel:DWORD
	v_lshlrev_b32_e32 v24, 3, v24
	v_cndmask_b32_e32 v20, 7, v20, vcc_lo
	v_and_b32_e32 v24, 0xf8, v24
	v_and_b32_e32 v30, 7, v20
	v_or_b32_e32 v3, v3, v20
	v_or3_b32 v2, v2, v24, v30
	v_cmp_ne_u32_e32 vcc_lo, 0, v3
	v_lshlrev_b32_e32 v2, 8, v2
	v_cndmask_b32_e32 v20, 0, v2, vcc_lo
.LBB6_1009:                             ;   in Loop: Header=BB6_130 Depth=2
	s_or_b32 exec_lo, exec_lo, s28
.LBB6_1010:                             ;   in Loop: Header=BB6_130 Depth=2
	s_or_b32 exec_lo, exec_lo, s27
	v_cmp_gt_i16_sdwa s27, v25, v58 src0_sel:BYTE_0 src1_sel:DWORD
	s_mov_b32 s13, 0
	s_and_saveexec_b32 s28, s27
	s_xor_b32 s27, exec_lo, s28
	s_cbranch_execz .LBB6_1584
; %bb.1011:                             ;   in Loop: Header=BB6_130 Depth=2
	v_cmp_eq_u16_sdwa s29, v25, v59 src0_sel:BYTE_0 src1_sel:DWORD
	s_mov_b32 s13, -1
	s_and_saveexec_b32 s28, s29
; %bb.1012:                             ;   in Loop: Header=BB6_130 Depth=2
	s_xor_b32 s13, exec_lo, -1
; %bb.1013:                             ;   in Loop: Header=BB6_130 Depth=2
	s_or_b32 exec_lo, exec_lo, s28
	s_and_b32 s13, s13, exec_lo
	s_or_saveexec_b32 s27, s27
	v_mov_b32_e32 v2, 0x7f800001
	s_xor_b32 exec_lo, exec_lo, s27
	s_cbranch_execnz .LBB6_1585
.LBB6_1014:                             ;   in Loop: Header=BB6_130 Depth=2
	s_or_b32 exec_lo, exec_lo, s27
	s_and_saveexec_b32 s27, s13
	s_cbranch_execz .LBB6_1016
.LBB6_1015:                             ;   in Loop: Header=BB6_130 Depth=2
	v_and_b32_e32 v2, 7, v25
	v_bfe_u32 v30, v25, 3, 4
	v_lshlrev_b32_e32 v116, 24, v25
	v_ffbh_u32_e32 v3, v2
	v_cmp_eq_u32_e32 vcc_lo, 0, v30
	v_min_u32_e32 v3, 32, v3
	v_subrev_nc_u32_e32 v24, 28, v3
	v_sub_nc_u32_e32 v3, 29, v3
	v_lshlrev_b32_e32 v24, v24, v25
	v_cndmask_b32_e32 v3, v30, v3, vcc_lo
	v_and_b32_e32 v24, 7, v24
	v_lshl_add_u32 v3, v3, 23, 0x3b800000
	v_cndmask_b32_e32 v2, v2, v24, vcc_lo
	v_and_b32_e32 v24, 0x80000000, v116
	v_lshlrev_b32_e32 v2, 20, v2
	v_or3_b32 v2, v24, v3, v2
.LBB6_1016:                             ;   in Loop: Header=BB6_130 Depth=2
	s_or_b32 exec_lo, exec_lo, s27
	v_cmp_gt_i16_sdwa s27, v21, v58 src0_sel:BYTE_0 src1_sel:DWORD
	s_mov_b32 s13, 0
	s_and_saveexec_b32 s28, s27
	s_xor_b32 s27, exec_lo, s28
	s_cbranch_execz .LBB6_1586
; %bb.1017:                             ;   in Loop: Header=BB6_130 Depth=2
	v_cmp_eq_u16_sdwa s29, v21, v59 src0_sel:BYTE_0 src1_sel:DWORD
	s_mov_b32 s13, -1
	s_and_saveexec_b32 s28, s29
; %bb.1018:                             ;   in Loop: Header=BB6_130 Depth=2
	s_xor_b32 s13, exec_lo, -1
; %bb.1019:                             ;   in Loop: Header=BB6_130 Depth=2
	s_or_b32 exec_lo, exec_lo, s28
	s_and_b32 s13, s13, exec_lo
	s_or_saveexec_b32 s27, s27
	v_mov_b32_e32 v3, 0x7f800001
	s_xor_b32 exec_lo, exec_lo, s27
	s_cbranch_execnz .LBB6_1587
.LBB6_1020:                             ;   in Loop: Header=BB6_130 Depth=2
	s_or_b32 exec_lo, exec_lo, s27
	s_and_saveexec_b32 s27, s13
	s_cbranch_execz .LBB6_1022
.LBB6_1021:                             ;   in Loop: Header=BB6_130 Depth=2
	v_and_b32_e32 v3, 7, v21
	v_bfe_u32 v116, v21, 3, 4
	v_lshlrev_b32_e32 v43, 24, v21
	v_ffbh_u32_e32 v24, v3
	v_cmp_eq_u32_e32 vcc_lo, 0, v116
	v_min_u32_e32 v24, 32, v24
	v_subrev_nc_u32_e32 v30, 28, v24
	v_sub_nc_u32_e32 v24, 29, v24
	v_lshlrev_b32_e32 v30, v30, v21
	v_cndmask_b32_e32 v24, v116, v24, vcc_lo
	v_and_b32_e32 v30, 7, v30
	v_lshl_add_u32 v24, v24, 23, 0x3b800000
	v_cndmask_b32_e32 v3, v3, v30, vcc_lo
	v_and_b32_e32 v30, 0x80000000, v43
	v_lshlrev_b32_e32 v3, 20, v3
	v_or3_b32 v3, v30, v24, v3
.LBB6_1022:                             ;   in Loop: Header=BB6_130 Depth=2
	s_or_b32 exec_lo, exec_lo, s27
	v_add_f32_e32 v2, v2, v3
	v_mov_b32_e32 v24, 0x80
	s_mov_b32 s27, exec_lo
	v_and_b32_e32 v3, 0x7f800000, v2
	v_cmpx_ne_u32_e32 0x7f800000, v3
	s_cbranch_execz .LBB6_1030
; %bb.1023:                             ;   in Loop: Header=BB6_130 Depth=2
	v_mov_b32_e32 v24, 0
	s_mov_b32 s28, exec_lo
	v_cmpx_ne_u32_e32 0, v2
	s_cbranch_execz .LBB6_1029
; %bb.1024:                             ;   in Loop: Header=BB6_130 Depth=2
	v_bfe_u32 v3, v2, 23, 8
	v_and_b32_e32 v24, 0x7fffff, v2
	v_sub_nc_u32_e32 v30, 0x78, v3
	v_cmp_gt_u32_e32 vcc_lo, 0x79, v3
	v_or_b32_e32 v116, 0x800000, v24
	v_cndmask_b32_e32 v30, 0, v30, vcc_lo
	v_cmp_eq_u32_e32 vcc_lo, 0, v3
	v_add_nc_u32_e32 v3, 0xffffff89, v3
	v_cndmask_b32_e64 v30, v30, 0x77, vcc_lo
	v_cndmask_b32_e32 v24, v116, v24, vcc_lo
	v_cndmask_b32_e64 v3, v3, 0xffffff8a, vcc_lo
	v_lshl_add_u32 v116, 0x100000, v30, -1
	v_lshrrev_b32_e32 v43, v30, v24
	v_lshlrev_b32_e64 v57, v30, 0x80000
	v_add_nc_u32_e32 v30, v30, v3
	v_and_b32_e32 v24, v116, v24
	v_bfe_u32 v46, v43, 20, 1
	v_cmp_eq_u32_e64 s13, v24, v57
	v_add_nc_u32_e32 v116, -1, v46
	v_cndmask_b32_e64 v24, 0, v116, s13
	v_lshrrev_b32_e32 v116, 23, v43
	s_mov_b32 s13, exec_lo
	v_add_nc_u32_e32 v24, v24, v43
	v_xor_b32_e32 v116, 1, v116
	v_and_b32_e32 v3, 0xfffff, v24
	v_add_nc_u32_e32 v24, v3, v43
                                        ; implicit-def: $vgpr3
	v_cmpx_ne_u32_e64 v30, v116
	s_xor_b32 s13, exec_lo, s13
; %bb.1025:                             ;   in Loop: Header=BB6_130 Depth=2
	v_cmp_lt_u32_e32 vcc_lo, 0xffffff, v24
	v_sub_nc_u32_e32 v3, v30, v116
	v_cndmask_b32_e64 v30, 0, 1, vcc_lo
	v_add_co_ci_u32_e64 v3, null, 0, v3, vcc_lo
	v_lshrrev_b32_e32 v24, v30, v24
; %bb.1026:                             ;   in Loop: Header=BB6_130 Depth=2
	s_andn2_saveexec_b32 s13, s13
; %bb.1027:                             ;   in Loop: Header=BB6_130 Depth=2
	v_bfe_u32 v3, v24, 23, 1
; %bb.1028:                             ;   in Loop: Header=BB6_130 Depth=2
	s_or_b32 exec_lo, exec_lo, s13
	v_lshrrev_b32_e32 v24, 20, v24
	v_min_i32_e32 v30, 15, v3
	v_cmp_gt_i32_e32 vcc_lo, 16, v3
	v_and_b32_sdwa v2, v2, v59 dst_sel:DWORD dst_unused:UNUSED_PAD src0_sel:BYTE_3 src1_sel:DWORD
	v_lshlrev_b32_e32 v30, 3, v30
	v_cndmask_b32_e32 v24, 7, v24, vcc_lo
	v_and_b32_e32 v30, 0xf8, v30
	v_and_b32_e32 v116, 7, v24
	v_or_b32_e32 v3, v3, v24
	v_or3_b32 v2, v30, v2, v116
	v_cmp_ne_u32_e32 vcc_lo, 0, v3
	v_cndmask_b32_e32 v24, 0, v2, vcc_lo
.LBB6_1029:                             ;   in Loop: Header=BB6_130 Depth=2
	s_or_b32 exec_lo, exec_lo, s28
.LBB6_1030:                             ;   in Loop: Header=BB6_130 Depth=2
	s_or_b32 exec_lo, exec_lo, s27
	v_cmp_gt_i16_sdwa s27, v25, v58 src0_sel:BYTE_1 src1_sel:DWORD
	s_mov_b32 s13, 0
	s_and_saveexec_b32 s28, s27
	s_xor_b32 s27, exec_lo, s28
	s_cbranch_execz .LBB6_1588
; %bb.1031:                             ;   in Loop: Header=BB6_130 Depth=2
	v_cmp_eq_u16_sdwa s29, v25, v59 src0_sel:BYTE_1 src1_sel:DWORD
	s_mov_b32 s13, -1
	s_and_saveexec_b32 s28, s29
; %bb.1032:                             ;   in Loop: Header=BB6_130 Depth=2
	s_xor_b32 s13, exec_lo, -1
; %bb.1033:                             ;   in Loop: Header=BB6_130 Depth=2
	s_or_b32 exec_lo, exec_lo, s28
	s_and_b32 s13, s13, exec_lo
	s_or_saveexec_b32 s27, s27
	v_mov_b32_e32 v2, 0x7f800001
	s_xor_b32 exec_lo, exec_lo, s27
	s_cbranch_execnz .LBB6_1589
.LBB6_1034:                             ;   in Loop: Header=BB6_130 Depth=2
	s_or_b32 exec_lo, exec_lo, s27
	s_and_saveexec_b32 s27, s13
	s_cbranch_execz .LBB6_1036
.LBB6_1035:                             ;   in Loop: Header=BB6_130 Depth=2
	v_and_b32_sdwa v2, v60, v25 dst_sel:DWORD dst_unused:UNUSED_PAD src0_sel:DWORD src1_sel:BYTE_1
	v_and_b32_e32 v3, 7, v2
	v_bfe_u32 v43, v2, 3, 4
	v_ffbh_u32_e32 v30, v3
	v_cmp_eq_u32_e32 vcc_lo, 0, v43
	v_min_u32_e32 v30, 32, v30
	v_subrev_nc_u32_e32 v116, 28, v30
	v_sub_nc_u32_e32 v30, 29, v30
	v_lshlrev_b32_e32 v2, v116, v2
	v_lshlrev_b32_sdwa v116, v61, v25 dst_sel:DWORD dst_unused:UNUSED_PAD src0_sel:DWORD src1_sel:BYTE_1
	v_cndmask_b32_e32 v30, v43, v30, vcc_lo
	v_and_b32_e32 v2, 7, v2
	v_lshl_add_u32 v30, v30, 23, 0x3b800000
	v_cndmask_b32_e32 v2, v3, v2, vcc_lo
	v_and_b32_e32 v3, 0x80000000, v116
	v_lshlrev_b32_e32 v2, 20, v2
	v_or3_b32 v2, v3, v30, v2
.LBB6_1036:                             ;   in Loop: Header=BB6_130 Depth=2
	s_or_b32 exec_lo, exec_lo, s27
	v_cmp_gt_i16_sdwa s27, v21, v58 src0_sel:BYTE_1 src1_sel:DWORD
	s_mov_b32 s13, 0
	s_and_saveexec_b32 s28, s27
	s_xor_b32 s27, exec_lo, s28
	s_cbranch_execz .LBB6_1590
; %bb.1037:                             ;   in Loop: Header=BB6_130 Depth=2
	v_cmp_eq_u16_sdwa s29, v21, v59 src0_sel:BYTE_1 src1_sel:DWORD
	s_mov_b32 s13, -1
	s_and_saveexec_b32 s28, s29
; %bb.1038:                             ;   in Loop: Header=BB6_130 Depth=2
	s_xor_b32 s13, exec_lo, -1
; %bb.1039:                             ;   in Loop: Header=BB6_130 Depth=2
	s_or_b32 exec_lo, exec_lo, s28
	s_and_b32 s13, s13, exec_lo
	s_or_saveexec_b32 s27, s27
	v_mov_b32_e32 v3, 0x7f800001
	s_xor_b32 exec_lo, exec_lo, s27
	s_cbranch_execnz .LBB6_1591
.LBB6_1040:                             ;   in Loop: Header=BB6_130 Depth=2
	s_or_b32 exec_lo, exec_lo, s27
	s_and_saveexec_b32 s27, s13
	s_cbranch_execz .LBB6_1042
.LBB6_1041:                             ;   in Loop: Header=BB6_130 Depth=2
	v_and_b32_sdwa v3, v60, v21 dst_sel:DWORD dst_unused:UNUSED_PAD src0_sel:DWORD src1_sel:BYTE_1
	v_and_b32_e32 v30, 7, v3
	v_bfe_u32 v46, v3, 3, 4
	v_ffbh_u32_e32 v116, v30
	v_cmp_eq_u32_e32 vcc_lo, 0, v46
	v_min_u32_e32 v116, 32, v116
	v_subrev_nc_u32_e32 v43, 28, v116
	v_sub_nc_u32_e32 v116, 29, v116
	v_lshlrev_b32_e32 v3, v43, v3
	v_lshlrev_b32_sdwa v43, v61, v21 dst_sel:DWORD dst_unused:UNUSED_PAD src0_sel:DWORD src1_sel:BYTE_1
	v_cndmask_b32_e32 v116, v46, v116, vcc_lo
	v_and_b32_e32 v3, 7, v3
	v_lshl_add_u32 v116, v116, 23, 0x3b800000
	v_cndmask_b32_e32 v3, v30, v3, vcc_lo
	v_and_b32_e32 v30, 0x80000000, v43
	v_lshlrev_b32_e32 v3, 20, v3
	v_or3_b32 v3, v30, v116, v3
.LBB6_1042:                             ;   in Loop: Header=BB6_130 Depth=2
	s_or_b32 exec_lo, exec_lo, s27
	v_add_f32_e32 v2, v2, v3
	v_mov_b32_e32 v120, 0x8000
	s_mov_b32 s27, exec_lo
	v_and_b32_e32 v3, 0x7f800000, v2
	v_cmpx_ne_u32_e32 0x7f800000, v3
	s_cbranch_execz .LBB6_1050
; %bb.1043:                             ;   in Loop: Header=BB6_130 Depth=2
	v_mov_b32_e32 v120, 0
	s_mov_b32 s28, exec_lo
	v_cmpx_ne_u32_e32 0, v2
	s_cbranch_execz .LBB6_1049
; %bb.1044:                             ;   in Loop: Header=BB6_130 Depth=2
	v_bfe_u32 v30, v2, 23, 8
	v_and_b32_e32 v3, 0x7fffff, v2
	v_cmp_gt_u32_e64 s13, 0x79, v30
	v_sub_nc_u32_e32 v116, 0x78, v30
	v_cmp_eq_u32_e32 vcc_lo, 0, v30
	v_or_b32_e32 v43, 0x800000, v3
	v_cndmask_b32_e64 v116, 0, v116, s13
	v_cndmask_b32_e32 v3, v43, v3, vcc_lo
	v_cndmask_b32_e64 v116, v116, 0x77, vcc_lo
	v_lshl_add_u32 v43, 0x100000, v116, -1
	v_lshlrev_b32_e64 v46, v116, 0x80000
	v_and_b32_e32 v43, v43, v3
	v_cmp_eq_u32_e64 s13, v43, v46
	v_lshrrev_b32_e32 v43, v116, v3
	v_add_nc_u32_e32 v3, 0xffffff89, v30
	v_lshrrev_b32_e32 v30, 23, v43
	v_cndmask_b32_e64 v3, v3, 0xffffff8a, vcc_lo
	v_xor_b32_e32 v30, 1, v30
	v_add_nc_u32_e32 v3, v116, v3
	v_bfe_u32 v116, v43, 20, 1
	v_add_nc_u32_e32 v116, -1, v116
	v_cndmask_b32_e64 v116, 0, v116, s13
	s_mov_b32 s13, exec_lo
	v_add_nc_u32_e32 v116, v116, v43
	v_and_b32_e32 v116, 0xfffff, v116
	v_add_nc_u32_e32 v116, v116, v43
                                        ; implicit-def: $vgpr43
	v_cmpx_ne_u32_e64 v3, v30
	s_xor_b32 s13, exec_lo, s13
; %bb.1045:                             ;   in Loop: Header=BB6_130 Depth=2
	v_cmp_lt_u32_e32 vcc_lo, 0xffffff, v116
	v_sub_nc_u32_e32 v3, v3, v30
	v_cndmask_b32_e64 v30, 0, 1, vcc_lo
	v_add_co_ci_u32_e64 v43, null, 0, v3, vcc_lo
	v_lshrrev_b32_e32 v116, v30, v116
; %bb.1046:                             ;   in Loop: Header=BB6_130 Depth=2
	s_andn2_saveexec_b32 s13, s13
; %bb.1047:                             ;   in Loop: Header=BB6_130 Depth=2
	v_bfe_u32 v43, v116, 23, 1
; %bb.1048:                             ;   in Loop: Header=BB6_130 Depth=2
	s_or_b32 exec_lo, exec_lo, s13
	v_lshrrev_b32_e32 v3, 20, v116
	v_min_i32_e32 v30, 15, v43
	v_cmp_gt_i32_e32 vcc_lo, 16, v43
	v_and_b32_sdwa v2, v2, v59 dst_sel:DWORD dst_unused:UNUSED_PAD src0_sel:BYTE_3 src1_sel:DWORD
	v_lshlrev_b32_e32 v30, 3, v30
	v_cndmask_b32_e32 v3, 7, v3, vcc_lo
	v_and_b32_e32 v30, 0xf8, v30
	v_and_b32_e32 v116, 7, v3
	v_or_b32_e32 v3, v43, v3
	v_or3_b32 v2, v2, v30, v116
	v_cmp_ne_u32_e32 vcc_lo, 0, v3
	v_lshlrev_b32_e32 v2, 8, v2
	v_cndmask_b32_e32 v120, 0, v2, vcc_lo
.LBB6_1049:                             ;   in Loop: Header=BB6_130 Depth=2
	s_or_b32 exec_lo, exec_lo, s28
.LBB6_1050:                             ;   in Loop: Header=BB6_130 Depth=2
	s_or_b32 exec_lo, exec_lo, s27
	v_and_b32_sdwa v3, v25, v62 dst_sel:DWORD dst_unused:UNUSED_PAD src0_sel:WORD_1 src1_sel:DWORD
	s_mov_b32 s13, 0
	s_mov_b32 s27, exec_lo
	v_cmpx_lt_i16_e32 0x7f, v3
	s_xor_b32 s27, exec_lo, s27
	s_cbranch_execz .LBB6_1592
; %bb.1051:                             ;   in Loop: Header=BB6_130 Depth=2
	s_mov_b32 s13, -1
	s_mov_b32 s28, exec_lo
	v_cmpx_eq_u16_e32 0x80, v3
; %bb.1052:                             ;   in Loop: Header=BB6_130 Depth=2
	s_xor_b32 s13, exec_lo, -1
; %bb.1053:                             ;   in Loop: Header=BB6_130 Depth=2
	s_or_b32 exec_lo, exec_lo, s28
	s_and_b32 s13, s13, exec_lo
                                        ; implicit-def: $vgpr3
	s_or_saveexec_b32 s27, s27
	v_mov_b32_e32 v2, 0x7f800001
	s_xor_b32 exec_lo, exec_lo, s27
	s_cbranch_execnz .LBB6_1593
.LBB6_1054:                             ;   in Loop: Header=BB6_130 Depth=2
	s_or_b32 exec_lo, exec_lo, s27
	s_and_saveexec_b32 s27, s13
	s_cbranch_execz .LBB6_1056
.LBB6_1055:                             ;   in Loop: Header=BB6_130 Depth=2
	v_bfe_u32 v2, v25, 16, 3
	v_bfe_u32 v116, v25, 19, 4
	v_lshlrev_b32_e32 v43, 8, v25
	v_ffbh_u32_e32 v3, v2
	v_cmp_eq_u32_e32 vcc_lo, 0, v116
	v_min_u32_e32 v3, 32, v3
	v_subrev_nc_u32_e32 v30, 28, v3
	v_sub_nc_u32_e32 v3, 29, v3
	v_lshlrev_b32_sdwa v30, v30, v25 dst_sel:DWORD dst_unused:UNUSED_PAD src0_sel:DWORD src1_sel:WORD_1
	v_cndmask_b32_e32 v3, v116, v3, vcc_lo
	v_and_b32_e32 v30, 7, v30
	v_lshl_add_u32 v3, v3, 23, 0x3b800000
	v_cndmask_b32_e32 v2, v2, v30, vcc_lo
	v_and_b32_e32 v30, 0x80000000, v43
	v_lshlrev_b32_e32 v2, 20, v2
	v_or3_b32 v2, v30, v3, v2
.LBB6_1056:                             ;   in Loop: Header=BB6_130 Depth=2
	s_or_b32 exec_lo, exec_lo, s27
	v_and_b32_sdwa v30, v21, v62 dst_sel:DWORD dst_unused:UNUSED_PAD src0_sel:WORD_1 src1_sel:DWORD
	s_mov_b32 s13, 0
	s_mov_b32 s27, exec_lo
	v_cmpx_lt_i16_e32 0x7f, v30
	s_xor_b32 s27, exec_lo, s27
	s_cbranch_execz .LBB6_1594
; %bb.1057:                             ;   in Loop: Header=BB6_130 Depth=2
	s_mov_b32 s13, -1
	s_mov_b32 s28, exec_lo
	v_cmpx_eq_u16_e32 0x80, v30
; %bb.1058:                             ;   in Loop: Header=BB6_130 Depth=2
	s_xor_b32 s13, exec_lo, -1
; %bb.1059:                             ;   in Loop: Header=BB6_130 Depth=2
	s_or_b32 exec_lo, exec_lo, s28
	s_and_b32 s13, s13, exec_lo
                                        ; implicit-def: $vgpr30
	s_or_saveexec_b32 s27, s27
	v_mov_b32_e32 v3, 0x7f800001
	s_xor_b32 exec_lo, exec_lo, s27
	s_cbranch_execnz .LBB6_1595
.LBB6_1060:                             ;   in Loop: Header=BB6_130 Depth=2
	s_or_b32 exec_lo, exec_lo, s27
	s_and_saveexec_b32 s27, s13
	s_cbranch_execz .LBB6_1062
.LBB6_1061:                             ;   in Loop: Header=BB6_130 Depth=2
	v_bfe_u32 v3, v21, 16, 3
	v_bfe_u32 v43, v21, 19, 4
	v_lshlrev_b32_e32 v46, 8, v21
	v_ffbh_u32_e32 v30, v3
	v_cmp_eq_u32_e32 vcc_lo, 0, v43
	v_min_u32_e32 v30, 32, v30
	v_subrev_nc_u32_e32 v116, 28, v30
	v_sub_nc_u32_e32 v30, 29, v30
	v_lshlrev_b32_sdwa v116, v116, v21 dst_sel:DWORD dst_unused:UNUSED_PAD src0_sel:DWORD src1_sel:WORD_1
	v_cndmask_b32_e32 v30, v43, v30, vcc_lo
	v_and_b32_e32 v116, 7, v116
	v_lshl_add_u32 v30, v30, 23, 0x3b800000
	v_cndmask_b32_e32 v3, v3, v116, vcc_lo
	v_and_b32_e32 v116, 0x80000000, v46
	v_lshlrev_b32_e32 v3, 20, v3
	v_or3_b32 v3, v116, v30, v3
.LBB6_1062:                             ;   in Loop: Header=BB6_130 Depth=2
	s_or_b32 exec_lo, exec_lo, s27
	v_add_f32_e32 v2, v2, v3
	v_mov_b32_e32 v121, 0x80
	s_mov_b32 s27, exec_lo
	v_and_b32_e32 v3, 0x7f800000, v2
	v_cmpx_ne_u32_e32 0x7f800000, v3
	s_cbranch_execz .LBB6_1070
; %bb.1063:                             ;   in Loop: Header=BB6_130 Depth=2
	v_mov_b32_e32 v121, 0
	s_mov_b32 s28, exec_lo
	v_cmpx_ne_u32_e32 0, v2
	s_cbranch_execz .LBB6_1069
; %bb.1064:                             ;   in Loop: Header=BB6_130 Depth=2
	v_bfe_u32 v30, v2, 23, 8
	v_and_b32_e32 v3, 0x7fffff, v2
	v_cmp_gt_u32_e64 s13, 0x79, v30
	v_sub_nc_u32_e32 v116, 0x78, v30
	v_cmp_eq_u32_e32 vcc_lo, 0, v30
	v_or_b32_e32 v43, 0x800000, v3
	v_cndmask_b32_e64 v116, 0, v116, s13
	v_cndmask_b32_e32 v3, v43, v3, vcc_lo
	v_cndmask_b32_e64 v116, v116, 0x77, vcc_lo
	v_lshl_add_u32 v43, 0x100000, v116, -1
	v_lshlrev_b32_e64 v46, v116, 0x80000
	v_and_b32_e32 v43, v43, v3
	v_cmp_eq_u32_e64 s13, v43, v46
	v_lshrrev_b32_e32 v43, v116, v3
	v_add_nc_u32_e32 v3, 0xffffff89, v30
	v_lshrrev_b32_e32 v30, 23, v43
	v_cndmask_b32_e64 v3, v3, 0xffffff8a, vcc_lo
	v_xor_b32_e32 v30, 1, v30
	v_add_nc_u32_e32 v3, v116, v3
	v_bfe_u32 v116, v43, 20, 1
	v_add_nc_u32_e32 v116, -1, v116
	v_cndmask_b32_e64 v116, 0, v116, s13
	s_mov_b32 s13, exec_lo
	v_add_nc_u32_e32 v116, v116, v43
	v_and_b32_e32 v116, 0xfffff, v116
	v_add_nc_u32_e32 v116, v116, v43
                                        ; implicit-def: $vgpr43
	v_cmpx_ne_u32_e64 v3, v30
	s_xor_b32 s13, exec_lo, s13
; %bb.1065:                             ;   in Loop: Header=BB6_130 Depth=2
	v_cmp_lt_u32_e32 vcc_lo, 0xffffff, v116
	v_sub_nc_u32_e32 v3, v3, v30
	v_cndmask_b32_e64 v30, 0, 1, vcc_lo
	v_add_co_ci_u32_e64 v43, null, 0, v3, vcc_lo
	v_lshrrev_b32_e32 v116, v30, v116
; %bb.1066:                             ;   in Loop: Header=BB6_130 Depth=2
	s_andn2_saveexec_b32 s13, s13
; %bb.1067:                             ;   in Loop: Header=BB6_130 Depth=2
	v_bfe_u32 v43, v116, 23, 1
; %bb.1068:                             ;   in Loop: Header=BB6_130 Depth=2
	s_or_b32 exec_lo, exec_lo, s13
	v_lshrrev_b32_e32 v3, 20, v116
	v_min_i32_e32 v30, 15, v43
	v_cmp_gt_i32_e32 vcc_lo, 16, v43
	v_and_b32_sdwa v2, v2, v59 dst_sel:DWORD dst_unused:UNUSED_PAD src0_sel:BYTE_3 src1_sel:DWORD
	v_lshlrev_b32_e32 v30, 3, v30
	v_cndmask_b32_e32 v3, 7, v3, vcc_lo
	v_and_b32_e32 v30, 0xf8, v30
	v_and_b32_e32 v116, 7, v3
	v_or_b32_e32 v3, v43, v3
	v_or3_b32 v2, v30, v2, v116
	v_cmp_ne_u32_e32 vcc_lo, 0, v3
	v_cndmask_b32_e32 v121, 0, v2, vcc_lo
.LBB6_1069:                             ;   in Loop: Header=BB6_130 Depth=2
	s_or_b32 exec_lo, exec_lo, s28
.LBB6_1070:                             ;   in Loop: Header=BB6_130 Depth=2
	s_or_b32 exec_lo, exec_lo, s27
	v_cmp_gt_i16_sdwa s27, v25, v58 src0_sel:BYTE_3 src1_sel:DWORD
	s_mov_b32 s13, 0
	s_and_saveexec_b32 s28, s27
	s_xor_b32 s27, exec_lo, s28
	s_cbranch_execz .LBB6_1596
; %bb.1071:                             ;   in Loop: Header=BB6_130 Depth=2
	v_cmp_eq_u16_sdwa s29, v25, v59 src0_sel:BYTE_3 src1_sel:DWORD
	s_mov_b32 s13, -1
	s_and_saveexec_b32 s28, s29
; %bb.1072:                             ;   in Loop: Header=BB6_130 Depth=2
	s_xor_b32 s13, exec_lo, -1
; %bb.1073:                             ;   in Loop: Header=BB6_130 Depth=2
	s_or_b32 exec_lo, exec_lo, s28
	s_and_b32 s13, s13, exec_lo
	s_or_saveexec_b32 s27, s27
	v_mov_b32_e32 v2, 0x7f800001
	s_xor_b32 exec_lo, exec_lo, s27
	s_cbranch_execnz .LBB6_1597
.LBB6_1074:                             ;   in Loop: Header=BB6_130 Depth=2
	s_or_b32 exec_lo, exec_lo, s27
	s_and_saveexec_b32 s27, s13
	s_cbranch_execz .LBB6_1076
.LBB6_1075:                             ;   in Loop: Header=BB6_130 Depth=2
	v_bfe_u32 v2, v25, 24, 3
	v_bfe_u32 v116, v25, 27, 4
	v_ffbh_u32_e32 v3, v2
	v_cmp_eq_u32_e32 vcc_lo, 0, v116
	v_min_u32_e32 v3, 32, v3
	v_subrev_nc_u32_e32 v30, 28, v3
	v_sub_nc_u32_e32 v3, 29, v3
	v_lshlrev_b32_sdwa v30, v30, v25 dst_sel:DWORD dst_unused:UNUSED_PAD src0_sel:DWORD src1_sel:BYTE_3
	v_cndmask_b32_e32 v3, v116, v3, vcc_lo
	v_and_b32_e32 v25, 0x80000000, v25
	v_and_b32_e32 v30, 7, v30
	v_lshl_add_u32 v3, v3, 23, 0x3b800000
	v_cndmask_b32_e32 v2, v2, v30, vcc_lo
	v_lshlrev_b32_e32 v2, 20, v2
	v_or3_b32 v2, v25, v3, v2
.LBB6_1076:                             ;   in Loop: Header=BB6_130 Depth=2
	s_or_b32 exec_lo, exec_lo, s27
	v_cmp_gt_i16_sdwa s27, v21, v58 src0_sel:BYTE_3 src1_sel:DWORD
	s_mov_b32 s13, 0
	s_and_saveexec_b32 s28, s27
	s_xor_b32 s27, exec_lo, s28
	s_cbranch_execz .LBB6_1598
; %bb.1077:                             ;   in Loop: Header=BB6_130 Depth=2
	v_cmp_eq_u16_sdwa s29, v21, v59 src0_sel:BYTE_3 src1_sel:DWORD
	s_mov_b32 s13, -1
	s_and_saveexec_b32 s28, s29
; %bb.1078:                             ;   in Loop: Header=BB6_130 Depth=2
	s_xor_b32 s13, exec_lo, -1
; %bb.1079:                             ;   in Loop: Header=BB6_130 Depth=2
	s_or_b32 exec_lo, exec_lo, s28
	s_and_b32 s13, s13, exec_lo
	s_or_saveexec_b32 s27, s27
	v_mov_b32_e32 v3, 0x7f800001
	s_xor_b32 exec_lo, exec_lo, s27
	s_cbranch_execnz .LBB6_1599
.LBB6_1080:                             ;   in Loop: Header=BB6_130 Depth=2
	s_or_b32 exec_lo, exec_lo, s27
	s_and_saveexec_b32 s27, s13
	s_cbranch_execz .LBB6_1082
.LBB6_1081:                             ;   in Loop: Header=BB6_130 Depth=2
	v_bfe_u32 v3, v21, 24, 3
	v_bfe_u32 v116, v21, 27, 4
	v_ffbh_u32_e32 v25, v3
	v_cmp_eq_u32_e32 vcc_lo, 0, v116
	v_min_u32_e32 v25, 32, v25
	v_subrev_nc_u32_e32 v30, 28, v25
	v_sub_nc_u32_e32 v25, 29, v25
	v_lshlrev_b32_sdwa v30, v30, v21 dst_sel:DWORD dst_unused:UNUSED_PAD src0_sel:DWORD src1_sel:BYTE_3
	v_cndmask_b32_e32 v25, v116, v25, vcc_lo
	v_and_b32_e32 v21, 0x80000000, v21
	v_and_b32_e32 v30, 7, v30
	v_lshl_add_u32 v25, v25, 23, 0x3b800000
	v_cndmask_b32_e32 v3, v3, v30, vcc_lo
	v_lshlrev_b32_e32 v3, 20, v3
	v_or3_b32 v3, v21, v25, v3
.LBB6_1082:                             ;   in Loop: Header=BB6_130 Depth=2
	s_or_b32 exec_lo, exec_lo, s27
	v_add_f32_e32 v2, v2, v3
	v_mov_b32_e32 v21, 0x8000
	s_mov_b32 s27, exec_lo
	v_and_b32_e32 v3, 0x7f800000, v2
	v_cmpx_ne_u32_e32 0x7f800000, v3
	s_cbranch_execz .LBB6_1090
; %bb.1083:                             ;   in Loop: Header=BB6_130 Depth=2
	v_mov_b32_e32 v21, 0
	s_mov_b32 s28, exec_lo
	v_cmpx_ne_u32_e32 0, v2
	s_cbranch_execz .LBB6_1089
; %bb.1084:                             ;   in Loop: Header=BB6_130 Depth=2
	v_bfe_u32 v21, v2, 23, 8
	v_and_b32_e32 v3, 0x7fffff, v2
	v_cmp_gt_u32_e64 s13, 0x79, v21
	v_sub_nc_u32_e32 v25, 0x78, v21
	v_cmp_eq_u32_e32 vcc_lo, 0, v21
	v_or_b32_e32 v30, 0x800000, v3
	v_cndmask_b32_e64 v25, 0, v25, s13
	v_cndmask_b32_e32 v3, v30, v3, vcc_lo
	v_cndmask_b32_e64 v25, v25, 0x77, vcc_lo
	v_lshl_add_u32 v30, 0x100000, v25, -1
	v_lshlrev_b32_e64 v116, v25, 0x80000
	v_and_b32_e32 v30, v30, v3
	v_cmp_eq_u32_e64 s13, v30, v116
	v_lshrrev_b32_e32 v30, v25, v3
	v_add_nc_u32_e32 v3, 0xffffff89, v21
	v_lshrrev_b32_e32 v21, 23, v30
	v_cndmask_b32_e64 v3, v3, 0xffffff8a, vcc_lo
	v_xor_b32_e32 v21, 1, v21
	v_add_nc_u32_e32 v3, v25, v3
	v_bfe_u32 v25, v30, 20, 1
	v_add_nc_u32_e32 v25, -1, v25
	v_cndmask_b32_e64 v25, 0, v25, s13
	s_mov_b32 s13, exec_lo
	v_add_nc_u32_e32 v25, v25, v30
	v_and_b32_e32 v25, 0xfffff, v25
	v_add_nc_u32_e32 v30, v25, v30
                                        ; implicit-def: $vgpr25
	v_cmpx_ne_u32_e64 v3, v21
	s_xor_b32 s13, exec_lo, s13
; %bb.1085:                             ;   in Loop: Header=BB6_130 Depth=2
	v_cmp_lt_u32_e32 vcc_lo, 0xffffff, v30
	v_sub_nc_u32_e32 v3, v3, v21
	v_cndmask_b32_e64 v21, 0, 1, vcc_lo
	v_add_co_ci_u32_e64 v25, null, 0, v3, vcc_lo
	v_lshrrev_b32_e32 v30, v21, v30
; %bb.1086:                             ;   in Loop: Header=BB6_130 Depth=2
	s_andn2_saveexec_b32 s13, s13
; %bb.1087:                             ;   in Loop: Header=BB6_130 Depth=2
	v_bfe_u32 v25, v30, 23, 1
; %bb.1088:                             ;   in Loop: Header=BB6_130 Depth=2
	s_or_b32 exec_lo, exec_lo, s13
	v_lshrrev_b32_e32 v3, 20, v30
	v_min_i32_e32 v21, 15, v25
	v_cmp_gt_i32_e32 vcc_lo, 16, v25
	v_and_b32_sdwa v2, v2, v59 dst_sel:DWORD dst_unused:UNUSED_PAD src0_sel:BYTE_3 src1_sel:DWORD
	v_lshlrev_b32_e32 v21, 3, v21
	v_cndmask_b32_e32 v3, 7, v3, vcc_lo
	v_and_b32_e32 v21, 0xf8, v21
	v_and_b32_e32 v30, 7, v3
	v_or_b32_e32 v3, v25, v3
	v_or3_b32 v2, v2, v21, v30
	v_cmp_ne_u32_e32 vcc_lo, 0, v3
	v_lshlrev_b32_e32 v2, 8, v2
	v_cndmask_b32_e32 v21, 0, v2, vcc_lo
.LBB6_1089:                             ;   in Loop: Header=BB6_130 Depth=2
	s_or_b32 exec_lo, exec_lo, s28
.LBB6_1090:                             ;   in Loop: Header=BB6_130 Depth=2
	s_or_b32 exec_lo, exec_lo, s27
	v_cmp_gt_i16_sdwa s27, v14, v58 src0_sel:BYTE_0 src1_sel:DWORD
	s_mov_b32 s13, 0
	s_and_saveexec_b32 s28, s27
	s_xor_b32 s27, exec_lo, s28
	s_cbranch_execz .LBB6_1600
; %bb.1091:                             ;   in Loop: Header=BB6_130 Depth=2
	v_cmp_eq_u16_sdwa s29, v14, v59 src0_sel:BYTE_0 src1_sel:DWORD
	s_mov_b32 s13, -1
	s_and_saveexec_b32 s28, s29
; %bb.1092:                             ;   in Loop: Header=BB6_130 Depth=2
	s_xor_b32 s13, exec_lo, -1
; %bb.1093:                             ;   in Loop: Header=BB6_130 Depth=2
	s_or_b32 exec_lo, exec_lo, s28
	s_and_b32 s13, s13, exec_lo
	s_or_saveexec_b32 s27, s27
	v_mov_b32_e32 v2, 0x7f800001
	s_xor_b32 exec_lo, exec_lo, s27
	s_cbranch_execnz .LBB6_1601
.LBB6_1094:                             ;   in Loop: Header=BB6_130 Depth=2
	s_or_b32 exec_lo, exec_lo, s27
	s_and_saveexec_b32 s27, s13
	s_cbranch_execz .LBB6_1096
.LBB6_1095:                             ;   in Loop: Header=BB6_130 Depth=2
	v_and_b32_e32 v2, 7, v14
	v_bfe_u32 v30, v14, 3, 4
	v_lshlrev_b32_e32 v116, 24, v14
	v_ffbh_u32_e32 v3, v2
	v_cmp_eq_u32_e32 vcc_lo, 0, v30
	v_min_u32_e32 v3, 32, v3
	v_subrev_nc_u32_e32 v25, 28, v3
	v_sub_nc_u32_e32 v3, 29, v3
	v_lshlrev_b32_e32 v25, v25, v14
	v_cndmask_b32_e32 v3, v30, v3, vcc_lo
	v_and_b32_e32 v25, 7, v25
	v_lshl_add_u32 v3, v3, 23, 0x3b800000
	v_cndmask_b32_e32 v2, v2, v25, vcc_lo
	v_and_b32_e32 v25, 0x80000000, v116
	v_lshlrev_b32_e32 v2, 20, v2
	v_or3_b32 v2, v25, v3, v2
.LBB6_1096:                             ;   in Loop: Header=BB6_130 Depth=2
	s_or_b32 exec_lo, exec_lo, s27
	s_waitcnt vmcnt(0)
	v_cmp_gt_i16_sdwa s27, v10, v58 src0_sel:BYTE_0 src1_sel:DWORD
	s_mov_b32 s13, 0
	s_and_saveexec_b32 s28, s27
	s_xor_b32 s27, exec_lo, s28
	s_cbranch_execz .LBB6_1602
; %bb.1097:                             ;   in Loop: Header=BB6_130 Depth=2
	v_cmp_eq_u16_sdwa s29, v10, v59 src0_sel:BYTE_0 src1_sel:DWORD
	s_mov_b32 s13, -1
	s_and_saveexec_b32 s28, s29
; %bb.1098:                             ;   in Loop: Header=BB6_130 Depth=2
	s_xor_b32 s13, exec_lo, -1
; %bb.1099:                             ;   in Loop: Header=BB6_130 Depth=2
	s_or_b32 exec_lo, exec_lo, s28
	s_and_b32 s13, s13, exec_lo
	s_or_saveexec_b32 s27, s27
	v_mov_b32_e32 v3, 0x7f800001
	s_xor_b32 exec_lo, exec_lo, s27
	s_cbranch_execnz .LBB6_1603
.LBB6_1100:                             ;   in Loop: Header=BB6_130 Depth=2
	s_or_b32 exec_lo, exec_lo, s27
	s_and_saveexec_b32 s27, s13
	s_cbranch_execz .LBB6_1102
.LBB6_1101:                             ;   in Loop: Header=BB6_130 Depth=2
	v_and_b32_e32 v3, 7, v10
	v_bfe_u32 v116, v10, 3, 4
	v_lshlrev_b32_e32 v43, 24, v10
	v_ffbh_u32_e32 v25, v3
	v_cmp_eq_u32_e32 vcc_lo, 0, v116
	v_min_u32_e32 v25, 32, v25
	v_subrev_nc_u32_e32 v30, 28, v25
	v_sub_nc_u32_e32 v25, 29, v25
	v_lshlrev_b32_e32 v30, v30, v10
	v_cndmask_b32_e32 v25, v116, v25, vcc_lo
	v_and_b32_e32 v30, 7, v30
	v_lshl_add_u32 v25, v25, 23, 0x3b800000
	v_cndmask_b32_e32 v3, v3, v30, vcc_lo
	v_and_b32_e32 v30, 0x80000000, v43
	v_lshlrev_b32_e32 v3, 20, v3
	v_or3_b32 v3, v30, v25, v3
.LBB6_1102:                             ;   in Loop: Header=BB6_130 Depth=2
	s_or_b32 exec_lo, exec_lo, s27
	v_add_f32_e32 v2, v2, v3
	v_mov_b32_e32 v25, 0x80
	s_mov_b32 s27, exec_lo
	v_and_b32_e32 v3, 0x7f800000, v2
	v_cmpx_ne_u32_e32 0x7f800000, v3
	s_cbranch_execz .LBB6_1110
; %bb.1103:                             ;   in Loop: Header=BB6_130 Depth=2
	v_mov_b32_e32 v25, 0
	s_mov_b32 s28, exec_lo
	v_cmpx_ne_u32_e32 0, v2
	s_cbranch_execz .LBB6_1109
; %bb.1104:                             ;   in Loop: Header=BB6_130 Depth=2
	v_bfe_u32 v25, v2, 23, 8
	v_and_b32_e32 v3, 0x7fffff, v2
	v_cmp_gt_u32_e64 s13, 0x79, v25
	v_sub_nc_u32_e32 v30, 0x78, v25
	v_cmp_eq_u32_e32 vcc_lo, 0, v25
	v_or_b32_e32 v116, 0x800000, v3
	v_cndmask_b32_e64 v30, 0, v30, s13
	v_cndmask_b32_e32 v3, v116, v3, vcc_lo
	v_cndmask_b32_e64 v30, v30, 0x77, vcc_lo
	v_lshl_add_u32 v116, 0x100000, v30, -1
	v_lshlrev_b32_e64 v43, v30, 0x80000
	v_and_b32_e32 v116, v116, v3
	v_cmp_eq_u32_e64 s13, v116, v43
	v_lshrrev_b32_e32 v116, v30, v3
	v_add_nc_u32_e32 v3, 0xffffff89, v25
	v_lshrrev_b32_e32 v25, 23, v116
	v_cndmask_b32_e64 v3, v3, 0xffffff8a, vcc_lo
	v_xor_b32_e32 v25, 1, v25
	v_add_nc_u32_e32 v3, v30, v3
	v_bfe_u32 v30, v116, 20, 1
	v_add_nc_u32_e32 v30, -1, v30
	v_cndmask_b32_e64 v30, 0, v30, s13
	s_mov_b32 s13, exec_lo
	v_add_nc_u32_e32 v30, v30, v116
	v_and_b32_e32 v30, 0xfffff, v30
	v_add_nc_u32_e32 v116, v30, v116
                                        ; implicit-def: $vgpr30
	v_cmpx_ne_u32_e64 v3, v25
	s_xor_b32 s13, exec_lo, s13
; %bb.1105:                             ;   in Loop: Header=BB6_130 Depth=2
	v_cmp_lt_u32_e32 vcc_lo, 0xffffff, v116
	v_sub_nc_u32_e32 v3, v3, v25
	v_cndmask_b32_e64 v25, 0, 1, vcc_lo
	v_add_co_ci_u32_e64 v30, null, 0, v3, vcc_lo
	v_lshrrev_b32_e32 v116, v25, v116
; %bb.1106:                             ;   in Loop: Header=BB6_130 Depth=2
	s_andn2_saveexec_b32 s13, s13
; %bb.1107:                             ;   in Loop: Header=BB6_130 Depth=2
	v_bfe_u32 v30, v116, 23, 1
; %bb.1108:                             ;   in Loop: Header=BB6_130 Depth=2
	s_or_b32 exec_lo, exec_lo, s13
	v_lshrrev_b32_e32 v3, 20, v116
	v_min_i32_e32 v25, 15, v30
	v_cmp_gt_i32_e32 vcc_lo, 16, v30
	v_and_b32_sdwa v2, v2, v59 dst_sel:DWORD dst_unused:UNUSED_PAD src0_sel:BYTE_3 src1_sel:DWORD
	v_lshlrev_b32_e32 v25, 3, v25
	v_cndmask_b32_e32 v3, 7, v3, vcc_lo
	v_and_b32_e32 v25, 0xf8, v25
	v_and_b32_e32 v116, 7, v3
	v_or_b32_e32 v3, v30, v3
	v_or3_b32 v2, v25, v2, v116
	v_cmp_ne_u32_e32 vcc_lo, 0, v3
	v_cndmask_b32_e32 v25, 0, v2, vcc_lo
.LBB6_1109:                             ;   in Loop: Header=BB6_130 Depth=2
	s_or_b32 exec_lo, exec_lo, s28
.LBB6_1110:                             ;   in Loop: Header=BB6_130 Depth=2
	s_or_b32 exec_lo, exec_lo, s27
	v_cmp_gt_i16_sdwa s27, v14, v58 src0_sel:BYTE_1 src1_sel:DWORD
	s_mov_b32 s13, 0
	s_and_saveexec_b32 s28, s27
	s_xor_b32 s27, exec_lo, s28
	s_cbranch_execz .LBB6_1604
; %bb.1111:                             ;   in Loop: Header=BB6_130 Depth=2
	v_cmp_eq_u16_sdwa s29, v14, v59 src0_sel:BYTE_1 src1_sel:DWORD
	s_mov_b32 s13, -1
	s_and_saveexec_b32 s28, s29
; %bb.1112:                             ;   in Loop: Header=BB6_130 Depth=2
	s_xor_b32 s13, exec_lo, -1
; %bb.1113:                             ;   in Loop: Header=BB6_130 Depth=2
	s_or_b32 exec_lo, exec_lo, s28
	s_and_b32 s13, s13, exec_lo
	s_or_saveexec_b32 s27, s27
	v_mov_b32_e32 v2, 0x7f800001
	s_xor_b32 exec_lo, exec_lo, s27
	s_cbranch_execnz .LBB6_1605
.LBB6_1114:                             ;   in Loop: Header=BB6_130 Depth=2
	s_or_b32 exec_lo, exec_lo, s27
	s_and_saveexec_b32 s27, s13
	s_cbranch_execz .LBB6_1116
.LBB6_1115:                             ;   in Loop: Header=BB6_130 Depth=2
	v_and_b32_sdwa v2, v60, v14 dst_sel:DWORD dst_unused:UNUSED_PAD src0_sel:DWORD src1_sel:BYTE_1
	v_and_b32_e32 v3, 7, v2
	v_bfe_u32 v43, v2, 3, 4
	v_ffbh_u32_e32 v30, v3
	v_cmp_eq_u32_e32 vcc_lo, 0, v43
	v_min_u32_e32 v30, 32, v30
	v_subrev_nc_u32_e32 v116, 28, v30
	v_sub_nc_u32_e32 v30, 29, v30
	v_lshlrev_b32_e32 v2, v116, v2
	v_lshlrev_b32_sdwa v116, v61, v14 dst_sel:DWORD dst_unused:UNUSED_PAD src0_sel:DWORD src1_sel:BYTE_1
	v_cndmask_b32_e32 v30, v43, v30, vcc_lo
	v_and_b32_e32 v2, 7, v2
	v_lshl_add_u32 v30, v30, 23, 0x3b800000
	v_cndmask_b32_e32 v2, v3, v2, vcc_lo
	v_and_b32_e32 v3, 0x80000000, v116
	v_lshlrev_b32_e32 v2, 20, v2
	v_or3_b32 v2, v3, v30, v2
.LBB6_1116:                             ;   in Loop: Header=BB6_130 Depth=2
	s_or_b32 exec_lo, exec_lo, s27
	v_cmp_gt_i16_sdwa s27, v10, v58 src0_sel:BYTE_1 src1_sel:DWORD
	s_mov_b32 s13, 0
	s_and_saveexec_b32 s28, s27
	s_xor_b32 s27, exec_lo, s28
	s_cbranch_execz .LBB6_1606
; %bb.1117:                             ;   in Loop: Header=BB6_130 Depth=2
	v_cmp_eq_u16_sdwa s29, v10, v59 src0_sel:BYTE_1 src1_sel:DWORD
	s_mov_b32 s13, -1
	s_and_saveexec_b32 s28, s29
; %bb.1118:                             ;   in Loop: Header=BB6_130 Depth=2
	s_xor_b32 s13, exec_lo, -1
; %bb.1119:                             ;   in Loop: Header=BB6_130 Depth=2
	s_or_b32 exec_lo, exec_lo, s28
	s_and_b32 s13, s13, exec_lo
	s_or_saveexec_b32 s27, s27
	v_mov_b32_e32 v3, 0x7f800001
	s_xor_b32 exec_lo, exec_lo, s27
	s_cbranch_execnz .LBB6_1607
.LBB6_1120:                             ;   in Loop: Header=BB6_130 Depth=2
	s_or_b32 exec_lo, exec_lo, s27
	s_and_saveexec_b32 s27, s13
	s_cbranch_execz .LBB6_1122
.LBB6_1121:                             ;   in Loop: Header=BB6_130 Depth=2
	v_and_b32_sdwa v3, v60, v10 dst_sel:DWORD dst_unused:UNUSED_PAD src0_sel:DWORD src1_sel:BYTE_1
	v_and_b32_e32 v30, 7, v3
	v_bfe_u32 v46, v3, 3, 4
	v_ffbh_u32_e32 v116, v30
	v_cmp_eq_u32_e32 vcc_lo, 0, v46
	v_min_u32_e32 v116, 32, v116
	v_subrev_nc_u32_e32 v43, 28, v116
	v_sub_nc_u32_e32 v116, 29, v116
	v_lshlrev_b32_e32 v3, v43, v3
	v_lshlrev_b32_sdwa v43, v61, v10 dst_sel:DWORD dst_unused:UNUSED_PAD src0_sel:DWORD src1_sel:BYTE_1
	v_cndmask_b32_e32 v116, v46, v116, vcc_lo
	v_and_b32_e32 v3, 7, v3
	v_lshl_add_u32 v116, v116, 23, 0x3b800000
	v_cndmask_b32_e32 v3, v30, v3, vcc_lo
	v_and_b32_e32 v30, 0x80000000, v43
	v_lshlrev_b32_e32 v3, 20, v3
	v_or3_b32 v3, v30, v116, v3
.LBB6_1122:                             ;   in Loop: Header=BB6_130 Depth=2
	s_or_b32 exec_lo, exec_lo, s27
	v_add_f32_e32 v2, v2, v3
	v_mov_b32_e32 v122, 0x8000
	s_mov_b32 s27, exec_lo
	v_and_b32_e32 v3, 0x7f800000, v2
	v_cmpx_ne_u32_e32 0x7f800000, v3
	s_cbranch_execz .LBB6_1130
; %bb.1123:                             ;   in Loop: Header=BB6_130 Depth=2
	v_mov_b32_e32 v122, 0
	s_mov_b32 s28, exec_lo
	v_cmpx_ne_u32_e32 0, v2
	s_cbranch_execz .LBB6_1129
; %bb.1124:                             ;   in Loop: Header=BB6_130 Depth=2
	v_bfe_u32 v30, v2, 23, 8
	v_and_b32_e32 v3, 0x7fffff, v2
	v_cmp_gt_u32_e64 s13, 0x79, v30
	v_sub_nc_u32_e32 v116, 0x78, v30
	v_cmp_eq_u32_e32 vcc_lo, 0, v30
	v_or_b32_e32 v43, 0x800000, v3
	v_cndmask_b32_e64 v116, 0, v116, s13
	v_cndmask_b32_e32 v3, v43, v3, vcc_lo
	v_cndmask_b32_e64 v116, v116, 0x77, vcc_lo
	v_lshl_add_u32 v43, 0x100000, v116, -1
	v_lshlrev_b32_e64 v46, v116, 0x80000
	v_and_b32_e32 v43, v43, v3
	v_cmp_eq_u32_e64 s13, v43, v46
	v_lshrrev_b32_e32 v43, v116, v3
	v_add_nc_u32_e32 v3, 0xffffff89, v30
	v_lshrrev_b32_e32 v30, 23, v43
	v_cndmask_b32_e64 v3, v3, 0xffffff8a, vcc_lo
	v_xor_b32_e32 v30, 1, v30
	v_add_nc_u32_e32 v3, v116, v3
	v_bfe_u32 v116, v43, 20, 1
	v_add_nc_u32_e32 v116, -1, v116
	v_cndmask_b32_e64 v116, 0, v116, s13
	s_mov_b32 s13, exec_lo
	v_add_nc_u32_e32 v116, v116, v43
	v_and_b32_e32 v116, 0xfffff, v116
	v_add_nc_u32_e32 v116, v116, v43
                                        ; implicit-def: $vgpr43
	v_cmpx_ne_u32_e64 v3, v30
	s_xor_b32 s13, exec_lo, s13
; %bb.1125:                             ;   in Loop: Header=BB6_130 Depth=2
	v_cmp_lt_u32_e32 vcc_lo, 0xffffff, v116
	v_sub_nc_u32_e32 v3, v3, v30
	v_cndmask_b32_e64 v30, 0, 1, vcc_lo
	v_add_co_ci_u32_e64 v43, null, 0, v3, vcc_lo
	v_lshrrev_b32_e32 v116, v30, v116
; %bb.1126:                             ;   in Loop: Header=BB6_130 Depth=2
	s_andn2_saveexec_b32 s13, s13
; %bb.1127:                             ;   in Loop: Header=BB6_130 Depth=2
	v_bfe_u32 v43, v116, 23, 1
; %bb.1128:                             ;   in Loop: Header=BB6_130 Depth=2
	s_or_b32 exec_lo, exec_lo, s13
	v_lshrrev_b32_e32 v3, 20, v116
	v_min_i32_e32 v30, 15, v43
	v_cmp_gt_i32_e32 vcc_lo, 16, v43
	v_and_b32_sdwa v2, v2, v59 dst_sel:DWORD dst_unused:UNUSED_PAD src0_sel:BYTE_3 src1_sel:DWORD
	v_lshlrev_b32_e32 v30, 3, v30
	v_cndmask_b32_e32 v3, 7, v3, vcc_lo
	v_and_b32_e32 v30, 0xf8, v30
	v_and_b32_e32 v116, 7, v3
	v_or_b32_e32 v3, v43, v3
	v_or3_b32 v2, v2, v30, v116
	v_cmp_ne_u32_e32 vcc_lo, 0, v3
	v_lshlrev_b32_e32 v2, 8, v2
	v_cndmask_b32_e32 v122, 0, v2, vcc_lo
.LBB6_1129:                             ;   in Loop: Header=BB6_130 Depth=2
	s_or_b32 exec_lo, exec_lo, s28
.LBB6_1130:                             ;   in Loop: Header=BB6_130 Depth=2
	s_or_b32 exec_lo, exec_lo, s27
	v_and_b32_sdwa v3, v14, v62 dst_sel:DWORD dst_unused:UNUSED_PAD src0_sel:WORD_1 src1_sel:DWORD
	s_mov_b32 s27, 0
	s_mov_b32 s13, exec_lo
	v_cmpx_lt_i16_e32 0x7f, v3
	s_xor_b32 s13, exec_lo, s13
	s_cbranch_execz .LBB6_1608
; %bb.1131:                             ;   in Loop: Header=BB6_130 Depth=2
	s_mov_b32 s27, -1
	s_mov_b32 s28, exec_lo
	v_cmpx_eq_u16_e32 0x80, v3
; %bb.1132:                             ;   in Loop: Header=BB6_130 Depth=2
	s_xor_b32 s27, exec_lo, -1
; %bb.1133:                             ;   in Loop: Header=BB6_130 Depth=2
	s_or_b32 exec_lo, exec_lo, s28
	s_and_b32 s27, s27, exec_lo
                                        ; implicit-def: $vgpr3
	s_or_saveexec_b32 s13, s13
	v_mov_b32_e32 v2, 0x7f800001
	s_xor_b32 exec_lo, exec_lo, s13
	s_cbranch_execnz .LBB6_1609
.LBB6_1134:                             ;   in Loop: Header=BB6_130 Depth=2
	s_or_b32 exec_lo, exec_lo, s13
	s_and_saveexec_b32 s13, s27
	s_cbranch_execz .LBB6_1136
.LBB6_1135:                             ;   in Loop: Header=BB6_130 Depth=2
	v_bfe_u32 v2, v14, 16, 3
	v_bfe_u32 v3, v14, 19, 4
	v_ffbh_u32_e32 v30, v2
	v_cmp_eq_u32_e32 vcc_lo, 0, v3
	v_min_u32_e32 v30, 32, v30
	v_subrev_nc_u32_e32 v116, 28, v30
	v_sub_nc_u32_e32 v30, 29, v30
	v_lshlrev_b32_sdwa v116, v116, v14 dst_sel:DWORD dst_unused:UNUSED_PAD src0_sel:DWORD src1_sel:WORD_1
	v_cndmask_b32_e32 v3, v3, v30, vcc_lo
	v_lshlrev_b32_e32 v30, 8, v14
	v_and_b32_e32 v116, 7, v116
	v_lshl_add_u32 v3, v3, 23, 0x3b800000
	v_and_b32_e32 v30, 0x80000000, v30
	v_cndmask_b32_e32 v2, v2, v116, vcc_lo
	v_lshlrev_b32_e32 v2, 20, v2
	v_or3_b32 v2, v30, v3, v2
.LBB6_1136:                             ;   in Loop: Header=BB6_130 Depth=2
	s_or_b32 exec_lo, exec_lo, s13
	v_and_b32_sdwa v30, v10, v62 dst_sel:DWORD dst_unused:UNUSED_PAD src0_sel:WORD_1 src1_sel:DWORD
	s_mov_b32 s27, 0
	s_mov_b32 s13, exec_lo
	v_cmpx_lt_i16_e32 0x7f, v30
	s_xor_b32 s13, exec_lo, s13
	s_cbranch_execz .LBB6_1610
; %bb.1137:                             ;   in Loop: Header=BB6_130 Depth=2
	s_mov_b32 s27, -1
	s_mov_b32 s28, exec_lo
	v_cmpx_eq_u16_e32 0x80, v30
; %bb.1138:                             ;   in Loop: Header=BB6_130 Depth=2
	s_xor_b32 s27, exec_lo, -1
; %bb.1139:                             ;   in Loop: Header=BB6_130 Depth=2
	s_or_b32 exec_lo, exec_lo, s28
	s_and_b32 s27, s27, exec_lo
                                        ; implicit-def: $vgpr30
	s_or_saveexec_b32 s13, s13
	v_mov_b32_e32 v3, 0x7f800001
	s_xor_b32 exec_lo, exec_lo, s13
	s_cbranch_execnz .LBB6_1611
.LBB6_1140:                             ;   in Loop: Header=BB6_130 Depth=2
	s_or_b32 exec_lo, exec_lo, s13
	s_and_saveexec_b32 s13, s27
	s_cbranch_execz .LBB6_1142
.LBB6_1141:                             ;   in Loop: Header=BB6_130 Depth=2
	v_bfe_u32 v3, v10, 16, 3
	v_bfe_u32 v30, v10, 19, 4
	v_ffbh_u32_e32 v116, v3
	v_cmp_eq_u32_e32 vcc_lo, 0, v30
	v_min_u32_e32 v116, 32, v116
	v_subrev_nc_u32_e32 v43, 28, v116
	v_sub_nc_u32_e32 v116, 29, v116
	v_lshlrev_b32_sdwa v43, v43, v10 dst_sel:DWORD dst_unused:UNUSED_PAD src0_sel:DWORD src1_sel:WORD_1
	v_cndmask_b32_e32 v30, v30, v116, vcc_lo
	v_lshlrev_b32_e32 v116, 8, v10
	v_and_b32_e32 v43, 7, v43
	v_lshl_add_u32 v30, v30, 23, 0x3b800000
	v_and_b32_e32 v116, 0x80000000, v116
	v_cndmask_b32_e32 v3, v3, v43, vcc_lo
	v_lshlrev_b32_e32 v3, 20, v3
	v_or3_b32 v3, v116, v30, v3
.LBB6_1142:                             ;   in Loop: Header=BB6_130 Depth=2
	s_or_b32 exec_lo, exec_lo, s13
	v_add_f32_e32 v2, v2, v3
	v_mov_b32_e32 v123, 0x80
	s_mov_b32 s27, exec_lo
	v_and_b32_e32 v3, 0x7f800000, v2
	v_cmpx_ne_u32_e32 0x7f800000, v3
	s_cbranch_execz .LBB6_1150
; %bb.1143:                             ;   in Loop: Header=BB6_130 Depth=2
	v_mov_b32_e32 v123, 0
	s_mov_b32 s28, exec_lo
	v_cmpx_ne_u32_e32 0, v2
	s_cbranch_execz .LBB6_1149
; %bb.1144:                             ;   in Loop: Header=BB6_130 Depth=2
	v_bfe_u32 v30, v2, 23, 8
	v_and_b32_e32 v3, 0x7fffff, v2
	v_cmp_gt_u32_e64 s13, 0x79, v30
	v_sub_nc_u32_e32 v116, 0x78, v30
	v_cmp_eq_u32_e32 vcc_lo, 0, v30
	v_or_b32_e32 v43, 0x800000, v3
	v_cndmask_b32_e64 v116, 0, v116, s13
	v_cndmask_b32_e32 v3, v43, v3, vcc_lo
	v_cndmask_b32_e64 v116, v116, 0x77, vcc_lo
	v_lshl_add_u32 v43, 0x100000, v116, -1
	v_lshlrev_b32_e64 v46, v116, 0x80000
	v_and_b32_e32 v43, v43, v3
	v_cmp_eq_u32_e64 s13, v43, v46
	v_lshrrev_b32_e32 v43, v116, v3
	v_add_nc_u32_e32 v3, 0xffffff89, v30
                                        ; implicit-def: $vgpr46
	v_lshrrev_b32_e32 v30, 23, v43
	v_cndmask_b32_e64 v3, v3, 0xffffff8a, vcc_lo
	v_xor_b32_e32 v30, 1, v30
	v_add_nc_u32_e32 v3, v116, v3
	v_bfe_u32 v116, v43, 20, 1
	v_add_nc_u32_e32 v116, -1, v116
	v_cndmask_b32_e64 v116, 0, v116, s13
	s_mov_b32 s13, exec_lo
	v_add_nc_u32_e32 v116, v116, v43
	v_and_b32_e32 v116, 0xfffff, v116
	v_add_nc_u32_e32 v43, v116, v43
	v_cmpx_ne_u32_e64 v3, v30
	s_xor_b32 s13, exec_lo, s13
; %bb.1145:                             ;   in Loop: Header=BB6_130 Depth=2
	v_cmp_lt_u32_e32 vcc_lo, 0xffffff, v43
	v_sub_nc_u32_e32 v3, v3, v30
	v_cndmask_b32_e64 v30, 0, 1, vcc_lo
	v_add_co_ci_u32_e64 v46, null, 0, v3, vcc_lo
	v_lshrrev_b32_e32 v43, v30, v43
; %bb.1146:                             ;   in Loop: Header=BB6_130 Depth=2
	s_andn2_saveexec_b32 s13, s13
; %bb.1147:                             ;   in Loop: Header=BB6_130 Depth=2
	v_bfe_u32 v46, v43, 23, 1
; %bb.1148:                             ;   in Loop: Header=BB6_130 Depth=2
	s_or_b32 exec_lo, exec_lo, s13
	v_lshrrev_b32_e32 v3, 20, v43
	v_min_i32_e32 v30, 15, v46
	v_cmp_gt_i32_e32 vcc_lo, 16, v46
	v_and_b32_sdwa v2, v2, v59 dst_sel:DWORD dst_unused:UNUSED_PAD src0_sel:BYTE_3 src1_sel:DWORD
	v_lshlrev_b32_e32 v30, 3, v30
	v_cndmask_b32_e32 v3, 7, v3, vcc_lo
	v_and_b32_e32 v30, 0xf8, v30
	v_or_b32_e32 v116, v46, v3
	v_and_b32_e32 v3, 7, v3
	v_cmp_ne_u32_e32 vcc_lo, 0, v116
	v_or3_b32 v2, v30, v2, v3
	v_cndmask_b32_e32 v123, 0, v2, vcc_lo
.LBB6_1149:                             ;   in Loop: Header=BB6_130 Depth=2
	s_or_b32 exec_lo, exec_lo, s28
.LBB6_1150:                             ;   in Loop: Header=BB6_130 Depth=2
	s_or_b32 exec_lo, exec_lo, s27
	v_cmp_gt_i16_sdwa s27, v14, v58 src0_sel:BYTE_3 src1_sel:DWORD
	s_mov_b32 s13, 0
	s_and_saveexec_b32 s28, s27
	s_xor_b32 s27, exec_lo, s28
	s_cbranch_execz .LBB6_1612
; %bb.1151:                             ;   in Loop: Header=BB6_130 Depth=2
	v_cmp_eq_u16_sdwa s29, v14, v59 src0_sel:BYTE_3 src1_sel:DWORD
	s_mov_b32 s13, -1
	s_and_saveexec_b32 s28, s29
; %bb.1152:                             ;   in Loop: Header=BB6_130 Depth=2
	s_xor_b32 s13, exec_lo, -1
; %bb.1153:                             ;   in Loop: Header=BB6_130 Depth=2
	s_or_b32 exec_lo, exec_lo, s28
	s_and_b32 s13, s13, exec_lo
	s_or_saveexec_b32 s27, s27
	v_mov_b32_e32 v2, 0x7f800001
	s_xor_b32 exec_lo, exec_lo, s27
	s_cbranch_execnz .LBB6_1613
.LBB6_1154:                             ;   in Loop: Header=BB6_130 Depth=2
	s_or_b32 exec_lo, exec_lo, s27
	s_and_saveexec_b32 s27, s13
	s_cbranch_execz .LBB6_1156
.LBB6_1155:                             ;   in Loop: Header=BB6_130 Depth=2
	v_bfe_u32 v2, v14, 24, 3
	v_bfe_u32 v116, v14, 27, 4
	v_ffbh_u32_e32 v3, v2
	v_cmp_eq_u32_e32 vcc_lo, 0, v116
	v_min_u32_e32 v3, 32, v3
	v_subrev_nc_u32_e32 v30, 28, v3
	v_sub_nc_u32_e32 v3, 29, v3
	v_lshlrev_b32_sdwa v30, v30, v14 dst_sel:DWORD dst_unused:UNUSED_PAD src0_sel:DWORD src1_sel:BYTE_3
	v_cndmask_b32_e32 v3, v116, v3, vcc_lo
	v_and_b32_e32 v14, 0x80000000, v14
	v_and_b32_e32 v30, 7, v30
	v_lshl_add_u32 v3, v3, 23, 0x3b800000
	v_cndmask_b32_e32 v2, v2, v30, vcc_lo
	v_lshlrev_b32_e32 v2, 20, v2
	v_or3_b32 v2, v14, v3, v2
.LBB6_1156:                             ;   in Loop: Header=BB6_130 Depth=2
	s_or_b32 exec_lo, exec_lo, s27
	v_cmp_gt_i16_sdwa s27, v10, v58 src0_sel:BYTE_3 src1_sel:DWORD
	s_mov_b32 s13, 0
	s_and_saveexec_b32 s28, s27
	s_xor_b32 s27, exec_lo, s28
	s_cbranch_execz .LBB6_1614
; %bb.1157:                             ;   in Loop: Header=BB6_130 Depth=2
	v_cmp_eq_u16_sdwa s29, v10, v59 src0_sel:BYTE_3 src1_sel:DWORD
	s_mov_b32 s13, -1
	s_and_saveexec_b32 s28, s29
; %bb.1158:                             ;   in Loop: Header=BB6_130 Depth=2
	s_xor_b32 s13, exec_lo, -1
; %bb.1159:                             ;   in Loop: Header=BB6_130 Depth=2
	s_or_b32 exec_lo, exec_lo, s28
	s_and_b32 s13, s13, exec_lo
	s_or_saveexec_b32 s27, s27
	v_mov_b32_e32 v3, 0x7f800001
	s_xor_b32 exec_lo, exec_lo, s27
	s_cbranch_execnz .LBB6_1615
.LBB6_1160:                             ;   in Loop: Header=BB6_130 Depth=2
	s_or_b32 exec_lo, exec_lo, s27
	s_and_saveexec_b32 s27, s13
	s_cbranch_execz .LBB6_1162
.LBB6_1161:                             ;   in Loop: Header=BB6_130 Depth=2
	v_bfe_u32 v3, v10, 24, 3
	v_bfe_u32 v116, v10, 27, 4
	v_ffbh_u32_e32 v14, v3
	v_cmp_eq_u32_e32 vcc_lo, 0, v116
	v_min_u32_e32 v14, 32, v14
	v_subrev_nc_u32_e32 v30, 28, v14
	v_sub_nc_u32_e32 v14, 29, v14
	v_lshlrev_b32_sdwa v30, v30, v10 dst_sel:DWORD dst_unused:UNUSED_PAD src0_sel:DWORD src1_sel:BYTE_3
	v_cndmask_b32_e32 v14, v116, v14, vcc_lo
	v_and_b32_e32 v10, 0x80000000, v10
	v_and_b32_e32 v30, 7, v30
	v_lshl_add_u32 v14, v14, 23, 0x3b800000
	v_cndmask_b32_e32 v3, v3, v30, vcc_lo
	v_lshlrev_b32_e32 v3, 20, v3
	v_or3_b32 v3, v10, v14, v3
.LBB6_1162:                             ;   in Loop: Header=BB6_130 Depth=2
	s_or_b32 exec_lo, exec_lo, s27
	v_add_f32_e32 v2, v2, v3
	v_mov_b32_e32 v10, 0x8000
	s_mov_b32 s27, exec_lo
	v_and_b32_e32 v3, 0x7f800000, v2
	v_cmpx_ne_u32_e32 0x7f800000, v3
	s_cbranch_execz .LBB6_1170
; %bb.1163:                             ;   in Loop: Header=BB6_130 Depth=2
	v_mov_b32_e32 v10, 0
	s_mov_b32 s28, exec_lo
	v_cmpx_ne_u32_e32 0, v2
	s_cbranch_execz .LBB6_1169
; %bb.1164:                             ;   in Loop: Header=BB6_130 Depth=2
	v_bfe_u32 v10, v2, 23, 8
	v_and_b32_e32 v3, 0x7fffff, v2
	v_cmp_gt_u32_e64 s13, 0x79, v10
	v_sub_nc_u32_e32 v14, 0x78, v10
	v_cmp_eq_u32_e32 vcc_lo, 0, v10
	v_or_b32_e32 v30, 0x800000, v3
	v_cndmask_b32_e64 v14, 0, v14, s13
	v_cndmask_b32_e32 v3, v30, v3, vcc_lo
	v_cndmask_b32_e64 v14, v14, 0x77, vcc_lo
	v_lshl_add_u32 v30, 0x100000, v14, -1
	v_lshlrev_b32_e64 v116, v14, 0x80000
	v_and_b32_e32 v30, v30, v3
	v_cmp_eq_u32_e64 s13, v30, v116
	v_lshrrev_b32_e32 v30, v14, v3
	v_add_nc_u32_e32 v3, 0xffffff89, v10
	v_lshrrev_b32_e32 v10, 23, v30
	v_cndmask_b32_e64 v3, v3, 0xffffff8a, vcc_lo
	v_xor_b32_e32 v10, 1, v10
	v_add_nc_u32_e32 v3, v14, v3
	v_bfe_u32 v14, v30, 20, 1
	v_add_nc_u32_e32 v14, -1, v14
	v_cndmask_b32_e64 v14, 0, v14, s13
	s_mov_b32 s13, exec_lo
	v_add_nc_u32_e32 v14, v14, v30
	v_and_b32_e32 v14, 0xfffff, v14
	v_add_nc_u32_e32 v30, v14, v30
                                        ; implicit-def: $vgpr14
	v_cmpx_ne_u32_e64 v3, v10
	s_xor_b32 s13, exec_lo, s13
; %bb.1165:                             ;   in Loop: Header=BB6_130 Depth=2
	v_cmp_lt_u32_e32 vcc_lo, 0xffffff, v30
	v_sub_nc_u32_e32 v3, v3, v10
	v_cndmask_b32_e64 v10, 0, 1, vcc_lo
	v_add_co_ci_u32_e64 v14, null, 0, v3, vcc_lo
	v_lshrrev_b32_e32 v30, v10, v30
; %bb.1166:                             ;   in Loop: Header=BB6_130 Depth=2
	s_andn2_saveexec_b32 s13, s13
; %bb.1167:                             ;   in Loop: Header=BB6_130 Depth=2
	v_bfe_u32 v14, v30, 23, 1
; %bb.1168:                             ;   in Loop: Header=BB6_130 Depth=2
	s_or_b32 exec_lo, exec_lo, s13
	v_lshrrev_b32_e32 v3, 20, v30
	v_min_i32_e32 v10, 15, v14
	v_cmp_gt_i32_e32 vcc_lo, 16, v14
	v_and_b32_sdwa v2, v2, v59 dst_sel:DWORD dst_unused:UNUSED_PAD src0_sel:BYTE_3 src1_sel:DWORD
	v_lshlrev_b32_e32 v10, 3, v10
	v_cndmask_b32_e32 v3, 7, v3, vcc_lo
	v_and_b32_e32 v10, 0xf8, v10
	v_and_b32_e32 v30, 7, v3
	v_or_b32_e32 v3, v14, v3
	v_or3_b32 v2, v2, v10, v30
	v_cmp_ne_u32_e32 vcc_lo, 0, v3
	v_lshlrev_b32_e32 v2, 8, v2
	v_cndmask_b32_e32 v10, 0, v2, vcc_lo
.LBB6_1169:                             ;   in Loop: Header=BB6_130 Depth=2
	s_or_b32 exec_lo, exec_lo, s28
.LBB6_1170:                             ;   in Loop: Header=BB6_130 Depth=2
	s_or_b32 exec_lo, exec_lo, s27
	v_cmp_gt_i16_sdwa s13, v15, v58 src0_sel:BYTE_0 src1_sel:DWORD
	s_mov_b32 s27, 0
	s_and_saveexec_b32 s28, s13
	s_xor_b32 s13, exec_lo, s28
	s_cbranch_execz .LBB6_1616
; %bb.1171:                             ;   in Loop: Header=BB6_130 Depth=2
	v_cmp_eq_u16_sdwa s29, v15, v59 src0_sel:BYTE_0 src1_sel:DWORD
	s_mov_b32 s27, -1
	s_and_saveexec_b32 s28, s29
; %bb.1172:                             ;   in Loop: Header=BB6_130 Depth=2
	s_xor_b32 s27, exec_lo, -1
; %bb.1173:                             ;   in Loop: Header=BB6_130 Depth=2
	s_or_b32 exec_lo, exec_lo, s28
	s_and_b32 s27, s27, exec_lo
	s_or_saveexec_b32 s13, s13
	v_mov_b32_e32 v2, 0x7f800001
	s_xor_b32 exec_lo, exec_lo, s13
	s_cbranch_execnz .LBB6_1617
.LBB6_1174:                             ;   in Loop: Header=BB6_130 Depth=2
	s_or_b32 exec_lo, exec_lo, s13
	s_and_saveexec_b32 s13, s27
	s_cbranch_execz .LBB6_1176
.LBB6_1175:                             ;   in Loop: Header=BB6_130 Depth=2
	v_and_b32_e32 v2, 7, v15
	v_bfe_u32 v3, v15, 3, 4
	v_ffbh_u32_e32 v14, v2
	v_cmp_eq_u32_e32 vcc_lo, 0, v3
	v_min_u32_e32 v14, 32, v14
	v_subrev_nc_u32_e32 v30, 28, v14
	v_sub_nc_u32_e32 v14, 29, v14
	v_lshlrev_b32_e32 v30, v30, v15
	v_cndmask_b32_e32 v3, v3, v14, vcc_lo
	v_lshlrev_b32_e32 v14, 24, v15
	v_and_b32_e32 v30, 7, v30
	v_lshl_add_u32 v3, v3, 23, 0x3b800000
	v_and_b32_e32 v14, 0x80000000, v14
	v_cndmask_b32_e32 v2, v2, v30, vcc_lo
	v_lshlrev_b32_e32 v2, 20, v2
	v_or3_b32 v2, v14, v3, v2
.LBB6_1176:                             ;   in Loop: Header=BB6_130 Depth=2
	s_or_b32 exec_lo, exec_lo, s13
	v_cmp_gt_i16_sdwa s13, v11, v58 src0_sel:BYTE_0 src1_sel:DWORD
	s_mov_b32 s27, 0
	s_and_saveexec_b32 s28, s13
	s_xor_b32 s13, exec_lo, s28
	s_cbranch_execz .LBB6_1618
; %bb.1177:                             ;   in Loop: Header=BB6_130 Depth=2
	v_cmp_eq_u16_sdwa s29, v11, v59 src0_sel:BYTE_0 src1_sel:DWORD
	s_mov_b32 s27, -1
	s_and_saveexec_b32 s28, s29
; %bb.1178:                             ;   in Loop: Header=BB6_130 Depth=2
	s_xor_b32 s27, exec_lo, -1
; %bb.1179:                             ;   in Loop: Header=BB6_130 Depth=2
	s_or_b32 exec_lo, exec_lo, s28
	s_and_b32 s27, s27, exec_lo
	s_or_saveexec_b32 s13, s13
	v_mov_b32_e32 v3, 0x7f800001
	s_xor_b32 exec_lo, exec_lo, s13
	s_cbranch_execnz .LBB6_1619
.LBB6_1180:                             ;   in Loop: Header=BB6_130 Depth=2
	s_or_b32 exec_lo, exec_lo, s13
	s_and_saveexec_b32 s13, s27
	s_cbranch_execz .LBB6_1182
.LBB6_1181:                             ;   in Loop: Header=BB6_130 Depth=2
	v_and_b32_e32 v3, 7, v11
	v_bfe_u32 v14, v11, 3, 4
	v_ffbh_u32_e32 v30, v3
	v_cmp_eq_u32_e32 vcc_lo, 0, v14
	v_min_u32_e32 v30, 32, v30
	v_subrev_nc_u32_e32 v116, 28, v30
	v_sub_nc_u32_e32 v30, 29, v30
	v_lshlrev_b32_e32 v116, v116, v11
	v_cndmask_b32_e32 v14, v14, v30, vcc_lo
	v_lshlrev_b32_e32 v30, 24, v11
	v_and_b32_e32 v116, 7, v116
	v_lshl_add_u32 v14, v14, 23, 0x3b800000
	v_and_b32_e32 v30, 0x80000000, v30
	v_cndmask_b32_e32 v3, v3, v116, vcc_lo
	v_lshlrev_b32_e32 v3, 20, v3
	v_or3_b32 v3, v30, v14, v3
.LBB6_1182:                             ;   in Loop: Header=BB6_130 Depth=2
	s_or_b32 exec_lo, exec_lo, s13
	v_add_f32_e32 v2, v2, v3
	v_mov_b32_e32 v14, 0x80
	s_mov_b32 s27, exec_lo
	v_and_b32_e32 v3, 0x7f800000, v2
	v_cmpx_ne_u32_e32 0x7f800000, v3
	s_cbranch_execz .LBB6_1190
; %bb.1183:                             ;   in Loop: Header=BB6_130 Depth=2
	v_mov_b32_e32 v14, 0
	s_mov_b32 s28, exec_lo
	v_cmpx_ne_u32_e32 0, v2
	s_cbranch_execz .LBB6_1189
; %bb.1184:                             ;   in Loop: Header=BB6_130 Depth=2
	v_bfe_u32 v14, v2, 23, 8
	v_and_b32_e32 v3, 0x7fffff, v2
	v_cmp_gt_u32_e64 s13, 0x79, v14
	v_sub_nc_u32_e32 v30, 0x78, v14
	v_cmp_eq_u32_e32 vcc_lo, 0, v14
	v_or_b32_e32 v116, 0x800000, v3
	v_cndmask_b32_e64 v30, 0, v30, s13
	v_cndmask_b32_e32 v3, v116, v3, vcc_lo
	v_cndmask_b32_e64 v30, v30, 0x77, vcc_lo
	v_lshl_add_u32 v116, 0x100000, v30, -1
	v_lshlrev_b32_e64 v43, v30, 0x80000
	v_and_b32_e32 v116, v116, v3
	v_cmp_eq_u32_e64 s13, v116, v43
	v_lshrrev_b32_e32 v116, v30, v3
	v_add_nc_u32_e32 v3, 0xffffff89, v14
                                        ; implicit-def: $vgpr43
	v_lshrrev_b32_e32 v14, 23, v116
	v_cndmask_b32_e64 v3, v3, 0xffffff8a, vcc_lo
	v_xor_b32_e32 v14, 1, v14
	v_add_nc_u32_e32 v3, v30, v3
	v_bfe_u32 v30, v116, 20, 1
	v_add_nc_u32_e32 v30, -1, v30
	v_cndmask_b32_e64 v30, 0, v30, s13
	s_mov_b32 s13, exec_lo
	v_add_nc_u32_e32 v30, v30, v116
	v_and_b32_e32 v30, 0xfffff, v30
	v_add_nc_u32_e32 v30, v30, v116
	v_cmpx_ne_u32_e64 v3, v14
	s_xor_b32 s13, exec_lo, s13
; %bb.1185:                             ;   in Loop: Header=BB6_130 Depth=2
	v_cmp_lt_u32_e32 vcc_lo, 0xffffff, v30
	v_sub_nc_u32_e32 v3, v3, v14
	v_cndmask_b32_e64 v14, 0, 1, vcc_lo
	v_add_co_ci_u32_e64 v43, null, 0, v3, vcc_lo
	v_lshrrev_b32_e32 v30, v14, v30
; %bb.1186:                             ;   in Loop: Header=BB6_130 Depth=2
	s_andn2_saveexec_b32 s13, s13
; %bb.1187:                             ;   in Loop: Header=BB6_130 Depth=2
	v_bfe_u32 v43, v30, 23, 1
; %bb.1188:                             ;   in Loop: Header=BB6_130 Depth=2
	s_or_b32 exec_lo, exec_lo, s13
	v_lshrrev_b32_e32 v3, 20, v30
	v_min_i32_e32 v14, 15, v43
	v_cmp_gt_i32_e32 vcc_lo, 16, v43
	v_and_b32_sdwa v2, v2, v59 dst_sel:DWORD dst_unused:UNUSED_PAD src0_sel:BYTE_3 src1_sel:DWORD
	v_lshlrev_b32_e32 v14, 3, v14
	v_cndmask_b32_e32 v3, 7, v3, vcc_lo
	v_and_b32_e32 v14, 0xf8, v14
	v_or_b32_e32 v30, v43, v3
	v_and_b32_e32 v3, 7, v3
	v_cmp_ne_u32_e32 vcc_lo, 0, v30
	v_or3_b32 v2, v14, v2, v3
	v_cndmask_b32_e32 v14, 0, v2, vcc_lo
.LBB6_1189:                             ;   in Loop: Header=BB6_130 Depth=2
	s_or_b32 exec_lo, exec_lo, s28
.LBB6_1190:                             ;   in Loop: Header=BB6_130 Depth=2
	s_or_b32 exec_lo, exec_lo, s27
	v_cmp_gt_i16_sdwa s27, v15, v58 src0_sel:BYTE_1 src1_sel:DWORD
	s_mov_b32 s13, 0
	s_and_saveexec_b32 s28, s27
	s_xor_b32 s27, exec_lo, s28
	s_cbranch_execz .LBB6_1620
; %bb.1191:                             ;   in Loop: Header=BB6_130 Depth=2
	v_cmp_eq_u16_sdwa s29, v15, v59 src0_sel:BYTE_1 src1_sel:DWORD
	s_mov_b32 s13, -1
	s_and_saveexec_b32 s28, s29
; %bb.1192:                             ;   in Loop: Header=BB6_130 Depth=2
	s_xor_b32 s13, exec_lo, -1
; %bb.1193:                             ;   in Loop: Header=BB6_130 Depth=2
	s_or_b32 exec_lo, exec_lo, s28
	s_and_b32 s13, s13, exec_lo
	s_or_saveexec_b32 s27, s27
	v_mov_b32_e32 v2, 0x7f800001
	s_xor_b32 exec_lo, exec_lo, s27
	s_cbranch_execnz .LBB6_1621
.LBB6_1194:                             ;   in Loop: Header=BB6_130 Depth=2
	s_or_b32 exec_lo, exec_lo, s27
	s_and_saveexec_b32 s27, s13
	s_cbranch_execz .LBB6_1196
.LBB6_1195:                             ;   in Loop: Header=BB6_130 Depth=2
	v_and_b32_sdwa v2, v60, v15 dst_sel:DWORD dst_unused:UNUSED_PAD src0_sel:DWORD src1_sel:BYTE_1
	v_and_b32_e32 v3, 7, v2
	v_bfe_u32 v43, v2, 3, 4
	v_ffbh_u32_e32 v30, v3
	v_cmp_eq_u32_e32 vcc_lo, 0, v43
	v_min_u32_e32 v30, 32, v30
	v_subrev_nc_u32_e32 v116, 28, v30
	v_sub_nc_u32_e32 v30, 29, v30
	v_lshlrev_b32_e32 v2, v116, v2
	v_lshlrev_b32_sdwa v116, v61, v15 dst_sel:DWORD dst_unused:UNUSED_PAD src0_sel:DWORD src1_sel:BYTE_1
	v_cndmask_b32_e32 v30, v43, v30, vcc_lo
	v_and_b32_e32 v2, 7, v2
	v_lshl_add_u32 v30, v30, 23, 0x3b800000
	v_cndmask_b32_e32 v2, v3, v2, vcc_lo
	v_and_b32_e32 v3, 0x80000000, v116
	v_lshlrev_b32_e32 v2, 20, v2
	v_or3_b32 v2, v3, v30, v2
.LBB6_1196:                             ;   in Loop: Header=BB6_130 Depth=2
	s_or_b32 exec_lo, exec_lo, s27
	v_cmp_gt_i16_sdwa s27, v11, v58 src0_sel:BYTE_1 src1_sel:DWORD
	s_mov_b32 s13, 0
	s_and_saveexec_b32 s28, s27
	s_xor_b32 s27, exec_lo, s28
	s_cbranch_execz .LBB6_1622
; %bb.1197:                             ;   in Loop: Header=BB6_130 Depth=2
	v_cmp_eq_u16_sdwa s29, v11, v59 src0_sel:BYTE_1 src1_sel:DWORD
	s_mov_b32 s13, -1
	s_and_saveexec_b32 s28, s29
; %bb.1198:                             ;   in Loop: Header=BB6_130 Depth=2
	s_xor_b32 s13, exec_lo, -1
; %bb.1199:                             ;   in Loop: Header=BB6_130 Depth=2
	s_or_b32 exec_lo, exec_lo, s28
	s_and_b32 s13, s13, exec_lo
	s_or_saveexec_b32 s27, s27
	v_mov_b32_e32 v3, 0x7f800001
	s_xor_b32 exec_lo, exec_lo, s27
	s_cbranch_execnz .LBB6_1623
.LBB6_1200:                             ;   in Loop: Header=BB6_130 Depth=2
	s_or_b32 exec_lo, exec_lo, s27
	s_and_saveexec_b32 s27, s13
	s_cbranch_execz .LBB6_1202
.LBB6_1201:                             ;   in Loop: Header=BB6_130 Depth=2
	v_and_b32_sdwa v3, v60, v11 dst_sel:DWORD dst_unused:UNUSED_PAD src0_sel:DWORD src1_sel:BYTE_1
	v_and_b32_e32 v30, 7, v3
	v_bfe_u32 v46, v3, 3, 4
	v_ffbh_u32_e32 v116, v30
	v_cmp_eq_u32_e32 vcc_lo, 0, v46
	v_min_u32_e32 v116, 32, v116
	v_subrev_nc_u32_e32 v43, 28, v116
	v_sub_nc_u32_e32 v116, 29, v116
	v_lshlrev_b32_e32 v3, v43, v3
	v_lshlrev_b32_sdwa v43, v61, v11 dst_sel:DWORD dst_unused:UNUSED_PAD src0_sel:DWORD src1_sel:BYTE_1
	v_cndmask_b32_e32 v116, v46, v116, vcc_lo
	v_and_b32_e32 v3, 7, v3
	v_lshl_add_u32 v116, v116, 23, 0x3b800000
	v_cndmask_b32_e32 v3, v30, v3, vcc_lo
	v_and_b32_e32 v30, 0x80000000, v43
	v_lshlrev_b32_e32 v3, 20, v3
	v_or3_b32 v3, v30, v116, v3
.LBB6_1202:                             ;   in Loop: Header=BB6_130 Depth=2
	s_or_b32 exec_lo, exec_lo, s27
	v_add_f32_e32 v2, v2, v3
	v_mov_b32_e32 v124, 0x8000
	s_mov_b32 s27, exec_lo
	v_and_b32_e32 v3, 0x7f800000, v2
	v_cmpx_ne_u32_e32 0x7f800000, v3
	s_cbranch_execz .LBB6_1210
; %bb.1203:                             ;   in Loop: Header=BB6_130 Depth=2
	v_mov_b32_e32 v124, 0
	s_mov_b32 s28, exec_lo
	v_cmpx_ne_u32_e32 0, v2
	s_cbranch_execz .LBB6_1209
; %bb.1204:                             ;   in Loop: Header=BB6_130 Depth=2
	v_bfe_u32 v30, v2, 23, 8
	v_and_b32_e32 v3, 0x7fffff, v2
	v_cmp_gt_u32_e64 s13, 0x79, v30
	v_sub_nc_u32_e32 v116, 0x78, v30
	v_cmp_eq_u32_e32 vcc_lo, 0, v30
	v_or_b32_e32 v43, 0x800000, v3
	v_cndmask_b32_e64 v116, 0, v116, s13
	v_cndmask_b32_e32 v3, v43, v3, vcc_lo
	v_cndmask_b32_e64 v116, v116, 0x77, vcc_lo
	v_lshl_add_u32 v43, 0x100000, v116, -1
	v_lshlrev_b32_e64 v46, v116, 0x80000
	v_and_b32_e32 v43, v43, v3
	v_cmp_eq_u32_e64 s13, v43, v46
	v_lshrrev_b32_e32 v43, v116, v3
	v_add_nc_u32_e32 v3, 0xffffff89, v30
                                        ; implicit-def: $vgpr46
	v_lshrrev_b32_e32 v30, 23, v43
	v_cndmask_b32_e64 v3, v3, 0xffffff8a, vcc_lo
	v_xor_b32_e32 v30, 1, v30
	v_add_nc_u32_e32 v3, v116, v3
	v_bfe_u32 v116, v43, 20, 1
	v_add_nc_u32_e32 v116, -1, v116
	v_cndmask_b32_e64 v116, 0, v116, s13
	s_mov_b32 s13, exec_lo
	v_add_nc_u32_e32 v116, v116, v43
	v_and_b32_e32 v116, 0xfffff, v116
	v_add_nc_u32_e32 v43, v116, v43
	v_cmpx_ne_u32_e64 v3, v30
	s_xor_b32 s13, exec_lo, s13
; %bb.1205:                             ;   in Loop: Header=BB6_130 Depth=2
	v_cmp_lt_u32_e32 vcc_lo, 0xffffff, v43
	v_sub_nc_u32_e32 v3, v3, v30
	v_cndmask_b32_e64 v30, 0, 1, vcc_lo
	v_add_co_ci_u32_e64 v46, null, 0, v3, vcc_lo
	v_lshrrev_b32_e32 v43, v30, v43
; %bb.1206:                             ;   in Loop: Header=BB6_130 Depth=2
	s_andn2_saveexec_b32 s13, s13
; %bb.1207:                             ;   in Loop: Header=BB6_130 Depth=2
	v_bfe_u32 v46, v43, 23, 1
; %bb.1208:                             ;   in Loop: Header=BB6_130 Depth=2
	s_or_b32 exec_lo, exec_lo, s13
	v_lshrrev_b32_e32 v3, 20, v43
	v_min_i32_e32 v30, 15, v46
	v_cmp_gt_i32_e32 vcc_lo, 16, v46
	v_and_b32_sdwa v2, v2, v59 dst_sel:DWORD dst_unused:UNUSED_PAD src0_sel:BYTE_3 src1_sel:DWORD
	v_lshlrev_b32_e32 v30, 3, v30
	v_cndmask_b32_e32 v3, 7, v3, vcc_lo
	v_and_b32_e32 v30, 0xf8, v30
	v_or_b32_e32 v116, v46, v3
	v_and_b32_e32 v3, 7, v3
	v_cmp_ne_u32_e32 vcc_lo, 0, v116
	v_or3_b32 v2, v2, v30, v3
	v_lshlrev_b32_e32 v2, 8, v2
	v_cndmask_b32_e32 v124, 0, v2, vcc_lo
.LBB6_1209:                             ;   in Loop: Header=BB6_130 Depth=2
	s_or_b32 exec_lo, exec_lo, s28
.LBB6_1210:                             ;   in Loop: Header=BB6_130 Depth=2
	s_or_b32 exec_lo, exec_lo, s27
	v_and_b32_sdwa v3, v15, v62 dst_sel:DWORD dst_unused:UNUSED_PAD src0_sel:WORD_1 src1_sel:DWORD
	s_mov_b32 s27, 0
	s_mov_b32 s13, exec_lo
	v_cmpx_lt_i16_e32 0x7f, v3
	s_xor_b32 s13, exec_lo, s13
	s_cbranch_execz .LBB6_1624
; %bb.1211:                             ;   in Loop: Header=BB6_130 Depth=2
	s_mov_b32 s27, -1
	s_mov_b32 s28, exec_lo
	v_cmpx_eq_u16_e32 0x80, v3
; %bb.1212:                             ;   in Loop: Header=BB6_130 Depth=2
	s_xor_b32 s27, exec_lo, -1
; %bb.1213:                             ;   in Loop: Header=BB6_130 Depth=2
	s_or_b32 exec_lo, exec_lo, s28
	s_and_b32 s27, s27, exec_lo
                                        ; implicit-def: $vgpr3
	s_or_saveexec_b32 s13, s13
	v_mov_b32_e32 v2, 0x7f800001
	s_xor_b32 exec_lo, exec_lo, s13
	s_cbranch_execnz .LBB6_1625
.LBB6_1214:                             ;   in Loop: Header=BB6_130 Depth=2
	s_or_b32 exec_lo, exec_lo, s13
	s_and_saveexec_b32 s13, s27
	s_cbranch_execz .LBB6_1216
.LBB6_1215:                             ;   in Loop: Header=BB6_130 Depth=2
	v_bfe_u32 v2, v15, 16, 3
	v_bfe_u32 v3, v15, 19, 4
	v_ffbh_u32_e32 v30, v2
	v_cmp_eq_u32_e32 vcc_lo, 0, v3
	v_min_u32_e32 v30, 32, v30
	v_subrev_nc_u32_e32 v116, 28, v30
	v_sub_nc_u32_e32 v30, 29, v30
	v_lshlrev_b32_sdwa v116, v116, v15 dst_sel:DWORD dst_unused:UNUSED_PAD src0_sel:DWORD src1_sel:WORD_1
	v_cndmask_b32_e32 v3, v3, v30, vcc_lo
	v_lshlrev_b32_e32 v30, 8, v15
	v_and_b32_e32 v116, 7, v116
	v_lshl_add_u32 v3, v3, 23, 0x3b800000
	v_and_b32_e32 v30, 0x80000000, v30
	v_cndmask_b32_e32 v2, v2, v116, vcc_lo
	v_lshlrev_b32_e32 v2, 20, v2
	v_or3_b32 v2, v30, v3, v2
.LBB6_1216:                             ;   in Loop: Header=BB6_130 Depth=2
	s_or_b32 exec_lo, exec_lo, s13
	v_and_b32_sdwa v30, v11, v62 dst_sel:DWORD dst_unused:UNUSED_PAD src0_sel:WORD_1 src1_sel:DWORD
	s_mov_b32 s27, 0
	s_mov_b32 s13, exec_lo
	v_cmpx_lt_i16_e32 0x7f, v30
	s_xor_b32 s13, exec_lo, s13
	s_cbranch_execz .LBB6_1626
; %bb.1217:                             ;   in Loop: Header=BB6_130 Depth=2
	s_mov_b32 s27, -1
	s_mov_b32 s28, exec_lo
	v_cmpx_eq_u16_e32 0x80, v30
; %bb.1218:                             ;   in Loop: Header=BB6_130 Depth=2
	s_xor_b32 s27, exec_lo, -1
; %bb.1219:                             ;   in Loop: Header=BB6_130 Depth=2
	s_or_b32 exec_lo, exec_lo, s28
	s_and_b32 s27, s27, exec_lo
                                        ; implicit-def: $vgpr30
	s_or_saveexec_b32 s13, s13
	v_mov_b32_e32 v3, 0x7f800001
	s_xor_b32 exec_lo, exec_lo, s13
	s_cbranch_execnz .LBB6_1627
.LBB6_1220:                             ;   in Loop: Header=BB6_130 Depth=2
	s_or_b32 exec_lo, exec_lo, s13
	s_and_saveexec_b32 s13, s27
	s_cbranch_execz .LBB6_1222
.LBB6_1221:                             ;   in Loop: Header=BB6_130 Depth=2
	v_bfe_u32 v3, v11, 16, 3
	v_bfe_u32 v30, v11, 19, 4
	v_ffbh_u32_e32 v116, v3
	v_cmp_eq_u32_e32 vcc_lo, 0, v30
	v_min_u32_e32 v116, 32, v116
	v_subrev_nc_u32_e32 v43, 28, v116
	v_sub_nc_u32_e32 v116, 29, v116
	v_lshlrev_b32_sdwa v43, v43, v11 dst_sel:DWORD dst_unused:UNUSED_PAD src0_sel:DWORD src1_sel:WORD_1
	v_cndmask_b32_e32 v30, v30, v116, vcc_lo
	v_lshlrev_b32_e32 v116, 8, v11
	v_and_b32_e32 v43, 7, v43
	v_lshl_add_u32 v30, v30, 23, 0x3b800000
	v_and_b32_e32 v116, 0x80000000, v116
	v_cndmask_b32_e32 v3, v3, v43, vcc_lo
	v_lshlrev_b32_e32 v3, 20, v3
	v_or3_b32 v3, v116, v30, v3
.LBB6_1222:                             ;   in Loop: Header=BB6_130 Depth=2
	s_or_b32 exec_lo, exec_lo, s13
	v_add_f32_e32 v2, v2, v3
	v_mov_b32_e32 v125, 0x80
	s_mov_b32 s27, exec_lo
	v_and_b32_e32 v3, 0x7f800000, v2
	v_cmpx_ne_u32_e32 0x7f800000, v3
	s_cbranch_execz .LBB6_1230
; %bb.1223:                             ;   in Loop: Header=BB6_130 Depth=2
	v_mov_b32_e32 v125, 0
	s_mov_b32 s28, exec_lo
	v_cmpx_ne_u32_e32 0, v2
	s_cbranch_execz .LBB6_1229
; %bb.1224:                             ;   in Loop: Header=BB6_130 Depth=2
	v_bfe_u32 v30, v2, 23, 8
	v_and_b32_e32 v3, 0x7fffff, v2
	v_cmp_gt_u32_e64 s13, 0x79, v30
	v_sub_nc_u32_e32 v116, 0x78, v30
	v_cmp_eq_u32_e32 vcc_lo, 0, v30
	v_or_b32_e32 v43, 0x800000, v3
	v_cndmask_b32_e64 v116, 0, v116, s13
	v_cndmask_b32_e32 v3, v43, v3, vcc_lo
	v_cndmask_b32_e64 v116, v116, 0x77, vcc_lo
	v_lshl_add_u32 v43, 0x100000, v116, -1
	v_lshlrev_b32_e64 v46, v116, 0x80000
	v_and_b32_e32 v43, v43, v3
	v_cmp_eq_u32_e64 s13, v43, v46
	v_lshrrev_b32_e32 v43, v116, v3
	v_add_nc_u32_e32 v3, 0xffffff89, v30
                                        ; implicit-def: $vgpr46
	v_lshrrev_b32_e32 v30, 23, v43
	v_cndmask_b32_e64 v3, v3, 0xffffff8a, vcc_lo
	v_xor_b32_e32 v30, 1, v30
	v_add_nc_u32_e32 v3, v116, v3
	v_bfe_u32 v116, v43, 20, 1
	v_add_nc_u32_e32 v116, -1, v116
	v_cndmask_b32_e64 v116, 0, v116, s13
	s_mov_b32 s13, exec_lo
	v_add_nc_u32_e32 v116, v116, v43
	v_and_b32_e32 v116, 0xfffff, v116
	v_add_nc_u32_e32 v43, v116, v43
	v_cmpx_ne_u32_e64 v3, v30
	s_xor_b32 s13, exec_lo, s13
; %bb.1225:                             ;   in Loop: Header=BB6_130 Depth=2
	v_cmp_lt_u32_e32 vcc_lo, 0xffffff, v43
	v_sub_nc_u32_e32 v3, v3, v30
	v_cndmask_b32_e64 v30, 0, 1, vcc_lo
	v_add_co_ci_u32_e64 v46, null, 0, v3, vcc_lo
	v_lshrrev_b32_e32 v43, v30, v43
; %bb.1226:                             ;   in Loop: Header=BB6_130 Depth=2
	s_andn2_saveexec_b32 s13, s13
; %bb.1227:                             ;   in Loop: Header=BB6_130 Depth=2
	v_bfe_u32 v46, v43, 23, 1
; %bb.1228:                             ;   in Loop: Header=BB6_130 Depth=2
	s_or_b32 exec_lo, exec_lo, s13
	v_lshrrev_b32_e32 v3, 20, v43
	v_min_i32_e32 v30, 15, v46
	v_cmp_gt_i32_e32 vcc_lo, 16, v46
	v_and_b32_sdwa v2, v2, v59 dst_sel:DWORD dst_unused:UNUSED_PAD src0_sel:BYTE_3 src1_sel:DWORD
	v_lshlrev_b32_e32 v30, 3, v30
	v_cndmask_b32_e32 v3, 7, v3, vcc_lo
	v_and_b32_e32 v30, 0xf8, v30
	v_or_b32_e32 v116, v46, v3
	v_and_b32_e32 v3, 7, v3
	v_cmp_ne_u32_e32 vcc_lo, 0, v116
	v_or3_b32 v2, v30, v2, v3
	v_cndmask_b32_e32 v125, 0, v2, vcc_lo
.LBB6_1229:                             ;   in Loop: Header=BB6_130 Depth=2
	s_or_b32 exec_lo, exec_lo, s28
.LBB6_1230:                             ;   in Loop: Header=BB6_130 Depth=2
	s_or_b32 exec_lo, exec_lo, s27
	v_cmp_gt_i16_sdwa s27, v15, v58 src0_sel:BYTE_3 src1_sel:DWORD
	s_mov_b32 s13, 0
	s_and_saveexec_b32 s28, s27
	s_xor_b32 s27, exec_lo, s28
	s_cbranch_execz .LBB6_1628
; %bb.1231:                             ;   in Loop: Header=BB6_130 Depth=2
	v_cmp_eq_u16_sdwa s29, v15, v59 src0_sel:BYTE_3 src1_sel:DWORD
	s_mov_b32 s13, -1
	s_and_saveexec_b32 s28, s29
; %bb.1232:                             ;   in Loop: Header=BB6_130 Depth=2
	s_xor_b32 s13, exec_lo, -1
; %bb.1233:                             ;   in Loop: Header=BB6_130 Depth=2
	s_or_b32 exec_lo, exec_lo, s28
	s_and_b32 s13, s13, exec_lo
	s_or_saveexec_b32 s27, s27
	v_mov_b32_e32 v2, 0x7f800001
	s_xor_b32 exec_lo, exec_lo, s27
	s_cbranch_execnz .LBB6_1629
.LBB6_1234:                             ;   in Loop: Header=BB6_130 Depth=2
	s_or_b32 exec_lo, exec_lo, s27
	s_and_saveexec_b32 s27, s13
	s_cbranch_execz .LBB6_1236
.LBB6_1235:                             ;   in Loop: Header=BB6_130 Depth=2
	v_bfe_u32 v2, v15, 24, 3
	v_bfe_u32 v116, v15, 27, 4
	v_ffbh_u32_e32 v3, v2
	v_cmp_eq_u32_e32 vcc_lo, 0, v116
	v_min_u32_e32 v3, 32, v3
	v_subrev_nc_u32_e32 v30, 28, v3
	v_sub_nc_u32_e32 v3, 29, v3
	v_lshlrev_b32_sdwa v30, v30, v15 dst_sel:DWORD dst_unused:UNUSED_PAD src0_sel:DWORD src1_sel:BYTE_3
	v_cndmask_b32_e32 v3, v116, v3, vcc_lo
	v_and_b32_e32 v15, 0x80000000, v15
	v_and_b32_e32 v30, 7, v30
	v_lshl_add_u32 v3, v3, 23, 0x3b800000
	v_cndmask_b32_e32 v2, v2, v30, vcc_lo
	v_lshlrev_b32_e32 v2, 20, v2
	v_or3_b32 v2, v15, v3, v2
.LBB6_1236:                             ;   in Loop: Header=BB6_130 Depth=2
	s_or_b32 exec_lo, exec_lo, s27
	v_cmp_gt_i16_sdwa s27, v11, v58 src0_sel:BYTE_3 src1_sel:DWORD
	s_mov_b32 s13, 0
	s_and_saveexec_b32 s28, s27
	s_xor_b32 s27, exec_lo, s28
	s_cbranch_execz .LBB6_1630
; %bb.1237:                             ;   in Loop: Header=BB6_130 Depth=2
	v_cmp_eq_u16_sdwa s29, v11, v59 src0_sel:BYTE_3 src1_sel:DWORD
	s_mov_b32 s13, -1
	s_and_saveexec_b32 s28, s29
; %bb.1238:                             ;   in Loop: Header=BB6_130 Depth=2
	s_xor_b32 s13, exec_lo, -1
; %bb.1239:                             ;   in Loop: Header=BB6_130 Depth=2
	s_or_b32 exec_lo, exec_lo, s28
	s_and_b32 s13, s13, exec_lo
	s_or_saveexec_b32 s27, s27
	v_mov_b32_e32 v3, 0x7f800001
	s_xor_b32 exec_lo, exec_lo, s27
	s_cbranch_execnz .LBB6_1631
.LBB6_1240:                             ;   in Loop: Header=BB6_130 Depth=2
	s_or_b32 exec_lo, exec_lo, s27
	s_and_saveexec_b32 s27, s13
	s_cbranch_execz .LBB6_1242
.LBB6_1241:                             ;   in Loop: Header=BB6_130 Depth=2
	v_bfe_u32 v3, v11, 24, 3
	v_bfe_u32 v116, v11, 27, 4
	v_ffbh_u32_e32 v15, v3
	v_cmp_eq_u32_e32 vcc_lo, 0, v116
	v_min_u32_e32 v15, 32, v15
	v_subrev_nc_u32_e32 v30, 28, v15
	v_sub_nc_u32_e32 v15, 29, v15
	v_lshlrev_b32_sdwa v30, v30, v11 dst_sel:DWORD dst_unused:UNUSED_PAD src0_sel:DWORD src1_sel:BYTE_3
	v_cndmask_b32_e32 v15, v116, v15, vcc_lo
	v_and_b32_e32 v11, 0x80000000, v11
	v_and_b32_e32 v30, 7, v30
	v_lshl_add_u32 v15, v15, 23, 0x3b800000
	v_cndmask_b32_e32 v3, v3, v30, vcc_lo
	v_lshlrev_b32_e32 v3, 20, v3
	v_or3_b32 v3, v11, v15, v3
.LBB6_1242:                             ;   in Loop: Header=BB6_130 Depth=2
	s_or_b32 exec_lo, exec_lo, s27
	v_add_f32_e32 v2, v2, v3
	v_mov_b32_e32 v11, 0x8000
	s_mov_b32 s27, exec_lo
	v_and_b32_e32 v3, 0x7f800000, v2
	v_cmpx_ne_u32_e32 0x7f800000, v3
	s_cbranch_execz .LBB6_1250
; %bb.1243:                             ;   in Loop: Header=BB6_130 Depth=2
	v_mov_b32_e32 v11, 0
	s_mov_b32 s28, exec_lo
	v_cmpx_ne_u32_e32 0, v2
	s_cbranch_execz .LBB6_1249
; %bb.1244:                             ;   in Loop: Header=BB6_130 Depth=2
	v_bfe_u32 v11, v2, 23, 8
	v_and_b32_e32 v3, 0x7fffff, v2
	v_cmp_gt_u32_e64 s13, 0x79, v11
	v_sub_nc_u32_e32 v15, 0x78, v11
	v_cmp_eq_u32_e32 vcc_lo, 0, v11
	v_or_b32_e32 v30, 0x800000, v3
	v_cndmask_b32_e64 v15, 0, v15, s13
	v_cndmask_b32_e32 v3, v30, v3, vcc_lo
	v_cndmask_b32_e64 v15, v15, 0x77, vcc_lo
	v_lshl_add_u32 v30, 0x100000, v15, -1
	v_lshlrev_b32_e64 v116, v15, 0x80000
	v_and_b32_e32 v30, v30, v3
	v_cmp_eq_u32_e64 s13, v30, v116
	v_lshrrev_b32_e32 v30, v15, v3
	v_add_nc_u32_e32 v3, 0xffffff89, v11
	v_lshrrev_b32_e32 v11, 23, v30
	v_cndmask_b32_e64 v3, v3, 0xffffff8a, vcc_lo
	v_xor_b32_e32 v11, 1, v11
	v_add_nc_u32_e32 v3, v15, v3
	v_bfe_u32 v15, v30, 20, 1
	v_add_nc_u32_e32 v15, -1, v15
	v_cndmask_b32_e64 v15, 0, v15, s13
	s_mov_b32 s13, exec_lo
	v_add_nc_u32_e32 v15, v15, v30
	v_and_b32_e32 v15, 0xfffff, v15
	v_add_nc_u32_e32 v15, v15, v30
                                        ; implicit-def: $vgpr30
	v_cmpx_ne_u32_e64 v3, v11
	s_xor_b32 s13, exec_lo, s13
; %bb.1245:                             ;   in Loop: Header=BB6_130 Depth=2
	v_cmp_lt_u32_e32 vcc_lo, 0xffffff, v15
	v_sub_nc_u32_e32 v3, v3, v11
	v_cndmask_b32_e64 v11, 0, 1, vcc_lo
	v_add_co_ci_u32_e64 v30, null, 0, v3, vcc_lo
	v_lshrrev_b32_e32 v15, v11, v15
; %bb.1246:                             ;   in Loop: Header=BB6_130 Depth=2
	s_andn2_saveexec_b32 s13, s13
; %bb.1247:                             ;   in Loop: Header=BB6_130 Depth=2
	v_bfe_u32 v30, v15, 23, 1
; %bb.1248:                             ;   in Loop: Header=BB6_130 Depth=2
	s_or_b32 exec_lo, exec_lo, s13
	v_lshrrev_b32_e32 v3, 20, v15
	v_min_i32_e32 v11, 15, v30
	v_cmp_gt_i32_e32 vcc_lo, 16, v30
	v_and_b32_sdwa v2, v2, v59 dst_sel:DWORD dst_unused:UNUSED_PAD src0_sel:BYTE_3 src1_sel:DWORD
	v_lshlrev_b32_e32 v11, 3, v11
	v_cndmask_b32_e32 v3, 7, v3, vcc_lo
	v_and_b32_e32 v11, 0xf8, v11
	v_or_b32_e32 v15, v30, v3
	v_and_b32_e32 v3, 7, v3
	v_cmp_ne_u32_e32 vcc_lo, 0, v15
	v_or3_b32 v2, v2, v11, v3
	v_lshlrev_b32_e32 v2, 8, v2
	v_cndmask_b32_e32 v11, 0, v2, vcc_lo
.LBB6_1249:                             ;   in Loop: Header=BB6_130 Depth=2
	s_or_b32 exec_lo, exec_lo, s28
.LBB6_1250:                             ;   in Loop: Header=BB6_130 Depth=2
	s_or_b32 exec_lo, exec_lo, s27
	v_cmp_gt_i16_sdwa s13, v16, v58 src0_sel:BYTE_0 src1_sel:DWORD
	s_mov_b32 s27, 0
	s_and_saveexec_b32 s28, s13
	s_xor_b32 s13, exec_lo, s28
	s_cbranch_execz .LBB6_1632
; %bb.1251:                             ;   in Loop: Header=BB6_130 Depth=2
	v_cmp_eq_u16_sdwa s29, v16, v59 src0_sel:BYTE_0 src1_sel:DWORD
	s_mov_b32 s27, -1
	s_and_saveexec_b32 s28, s29
; %bb.1252:                             ;   in Loop: Header=BB6_130 Depth=2
	s_xor_b32 s27, exec_lo, -1
; %bb.1253:                             ;   in Loop: Header=BB6_130 Depth=2
	s_or_b32 exec_lo, exec_lo, s28
	s_and_b32 s27, s27, exec_lo
	s_or_saveexec_b32 s13, s13
	v_mov_b32_e32 v2, 0x7f800001
	s_xor_b32 exec_lo, exec_lo, s13
	s_cbranch_execnz .LBB6_1633
.LBB6_1254:                             ;   in Loop: Header=BB6_130 Depth=2
	s_or_b32 exec_lo, exec_lo, s13
	s_and_saveexec_b32 s13, s27
	s_cbranch_execz .LBB6_1256
.LBB6_1255:                             ;   in Loop: Header=BB6_130 Depth=2
	v_and_b32_e32 v2, 7, v16
	v_bfe_u32 v3, v16, 3, 4
	v_ffbh_u32_e32 v15, v2
	v_cmp_eq_u32_e32 vcc_lo, 0, v3
	v_min_u32_e32 v15, 32, v15
	v_subrev_nc_u32_e32 v30, 28, v15
	v_sub_nc_u32_e32 v15, 29, v15
	v_lshlrev_b32_e32 v30, v30, v16
	v_cndmask_b32_e32 v3, v3, v15, vcc_lo
	v_lshlrev_b32_e32 v15, 24, v16
	v_and_b32_e32 v30, 7, v30
	v_lshl_add_u32 v3, v3, 23, 0x3b800000
	v_and_b32_e32 v15, 0x80000000, v15
	v_cndmask_b32_e32 v2, v2, v30, vcc_lo
	v_lshlrev_b32_e32 v2, 20, v2
	v_or3_b32 v2, v15, v3, v2
.LBB6_1256:                             ;   in Loop: Header=BB6_130 Depth=2
	s_or_b32 exec_lo, exec_lo, s13
	v_cmp_gt_i16_sdwa s13, v12, v58 src0_sel:BYTE_0 src1_sel:DWORD
	s_mov_b32 s27, 0
	s_and_saveexec_b32 s28, s13
	s_xor_b32 s13, exec_lo, s28
	s_cbranch_execz .LBB6_1634
; %bb.1257:                             ;   in Loop: Header=BB6_130 Depth=2
	v_cmp_eq_u16_sdwa s29, v12, v59 src0_sel:BYTE_0 src1_sel:DWORD
	s_mov_b32 s27, -1
	s_and_saveexec_b32 s28, s29
; %bb.1258:                             ;   in Loop: Header=BB6_130 Depth=2
	s_xor_b32 s27, exec_lo, -1
; %bb.1259:                             ;   in Loop: Header=BB6_130 Depth=2
	s_or_b32 exec_lo, exec_lo, s28
	s_and_b32 s27, s27, exec_lo
	s_or_saveexec_b32 s13, s13
	v_mov_b32_e32 v3, 0x7f800001
	s_xor_b32 exec_lo, exec_lo, s13
	s_cbranch_execnz .LBB6_1635
.LBB6_1260:                             ;   in Loop: Header=BB6_130 Depth=2
	s_or_b32 exec_lo, exec_lo, s13
	s_and_saveexec_b32 s13, s27
	s_cbranch_execz .LBB6_1262
.LBB6_1261:                             ;   in Loop: Header=BB6_130 Depth=2
	v_and_b32_e32 v3, 7, v12
	v_bfe_u32 v15, v12, 3, 4
	v_ffbh_u32_e32 v30, v3
	v_cmp_eq_u32_e32 vcc_lo, 0, v15
	v_min_u32_e32 v30, 32, v30
	v_subrev_nc_u32_e32 v116, 28, v30
	v_sub_nc_u32_e32 v30, 29, v30
	v_lshlrev_b32_e32 v116, v116, v12
	v_cndmask_b32_e32 v15, v15, v30, vcc_lo
	v_lshlrev_b32_e32 v30, 24, v12
	v_and_b32_e32 v116, 7, v116
	v_lshl_add_u32 v15, v15, 23, 0x3b800000
	v_and_b32_e32 v30, 0x80000000, v30
	v_cndmask_b32_e32 v3, v3, v116, vcc_lo
	v_lshlrev_b32_e32 v3, 20, v3
	v_or3_b32 v3, v30, v15, v3
.LBB6_1262:                             ;   in Loop: Header=BB6_130 Depth=2
	s_or_b32 exec_lo, exec_lo, s13
	v_add_f32_e32 v2, v2, v3
	v_mov_b32_e32 v15, 0x80
	s_mov_b32 s27, exec_lo
	v_and_b32_e32 v3, 0x7f800000, v2
	v_cmpx_ne_u32_e32 0x7f800000, v3
	s_cbranch_execz .LBB6_1270
; %bb.1263:                             ;   in Loop: Header=BB6_130 Depth=2
	v_mov_b32_e32 v15, 0
	s_mov_b32 s28, exec_lo
	v_cmpx_ne_u32_e32 0, v2
	s_cbranch_execz .LBB6_1269
; %bb.1264:                             ;   in Loop: Header=BB6_130 Depth=2
	v_bfe_u32 v15, v2, 23, 8
	v_and_b32_e32 v3, 0x7fffff, v2
	v_cmp_gt_u32_e64 s13, 0x79, v15
	v_sub_nc_u32_e32 v30, 0x78, v15
	v_cmp_eq_u32_e32 vcc_lo, 0, v15
	v_or_b32_e32 v116, 0x800000, v3
	v_cndmask_b32_e64 v30, 0, v30, s13
	v_cndmask_b32_e32 v3, v116, v3, vcc_lo
	v_cndmask_b32_e64 v30, v30, 0x77, vcc_lo
	v_lshl_add_u32 v116, 0x100000, v30, -1
	v_lshlrev_b32_e64 v43, v30, 0x80000
	v_and_b32_e32 v116, v116, v3
	v_cmp_eq_u32_e64 s13, v116, v43
	v_lshrrev_b32_e32 v116, v30, v3
	v_add_nc_u32_e32 v3, 0xffffff89, v15
                                        ; implicit-def: $vgpr43
	v_lshrrev_b32_e32 v15, 23, v116
	v_cndmask_b32_e64 v3, v3, 0xffffff8a, vcc_lo
	v_xor_b32_e32 v15, 1, v15
	v_add_nc_u32_e32 v3, v30, v3
	v_bfe_u32 v30, v116, 20, 1
	v_add_nc_u32_e32 v30, -1, v30
	v_cndmask_b32_e64 v30, 0, v30, s13
	s_mov_b32 s13, exec_lo
	v_add_nc_u32_e32 v30, v30, v116
	v_and_b32_e32 v30, 0xfffff, v30
	v_add_nc_u32_e32 v30, v30, v116
	v_cmpx_ne_u32_e64 v3, v15
	s_xor_b32 s13, exec_lo, s13
; %bb.1265:                             ;   in Loop: Header=BB6_130 Depth=2
	v_cmp_lt_u32_e32 vcc_lo, 0xffffff, v30
	v_sub_nc_u32_e32 v3, v3, v15
	v_cndmask_b32_e64 v15, 0, 1, vcc_lo
	v_add_co_ci_u32_e64 v43, null, 0, v3, vcc_lo
	v_lshrrev_b32_e32 v30, v15, v30
; %bb.1266:                             ;   in Loop: Header=BB6_130 Depth=2
	s_andn2_saveexec_b32 s13, s13
; %bb.1267:                             ;   in Loop: Header=BB6_130 Depth=2
	v_bfe_u32 v43, v30, 23, 1
; %bb.1268:                             ;   in Loop: Header=BB6_130 Depth=2
	s_or_b32 exec_lo, exec_lo, s13
	v_lshrrev_b32_e32 v3, 20, v30
	v_min_i32_e32 v15, 15, v43
	v_cmp_gt_i32_e32 vcc_lo, 16, v43
	v_and_b32_sdwa v2, v2, v59 dst_sel:DWORD dst_unused:UNUSED_PAD src0_sel:BYTE_3 src1_sel:DWORD
	v_lshlrev_b32_e32 v15, 3, v15
	v_cndmask_b32_e32 v3, 7, v3, vcc_lo
	v_and_b32_e32 v15, 0xf8, v15
	v_or_b32_e32 v30, v43, v3
	v_and_b32_e32 v3, 7, v3
	v_cmp_ne_u32_e32 vcc_lo, 0, v30
	v_or3_b32 v2, v15, v2, v3
	v_cndmask_b32_e32 v15, 0, v2, vcc_lo
.LBB6_1269:                             ;   in Loop: Header=BB6_130 Depth=2
	s_or_b32 exec_lo, exec_lo, s28
.LBB6_1270:                             ;   in Loop: Header=BB6_130 Depth=2
	s_or_b32 exec_lo, exec_lo, s27
	v_cmp_gt_i16_sdwa s27, v16, v58 src0_sel:BYTE_1 src1_sel:DWORD
	s_mov_b32 s13, 0
	s_and_saveexec_b32 s28, s27
	s_xor_b32 s27, exec_lo, s28
	s_cbranch_execz .LBB6_1636
; %bb.1271:                             ;   in Loop: Header=BB6_130 Depth=2
	v_cmp_eq_u16_sdwa s29, v16, v59 src0_sel:BYTE_1 src1_sel:DWORD
	s_mov_b32 s13, -1
	s_and_saveexec_b32 s28, s29
; %bb.1272:                             ;   in Loop: Header=BB6_130 Depth=2
	s_xor_b32 s13, exec_lo, -1
; %bb.1273:                             ;   in Loop: Header=BB6_130 Depth=2
	s_or_b32 exec_lo, exec_lo, s28
	s_and_b32 s13, s13, exec_lo
	s_or_saveexec_b32 s27, s27
	v_mov_b32_e32 v2, 0x7f800001
	s_xor_b32 exec_lo, exec_lo, s27
	s_cbranch_execnz .LBB6_1637
.LBB6_1274:                             ;   in Loop: Header=BB6_130 Depth=2
	s_or_b32 exec_lo, exec_lo, s27
	s_and_saveexec_b32 s27, s13
	s_cbranch_execz .LBB6_1276
.LBB6_1275:                             ;   in Loop: Header=BB6_130 Depth=2
	v_and_b32_sdwa v2, v60, v16 dst_sel:DWORD dst_unused:UNUSED_PAD src0_sel:DWORD src1_sel:BYTE_1
	v_and_b32_e32 v3, 7, v2
	v_bfe_u32 v43, v2, 3, 4
	v_ffbh_u32_e32 v30, v3
	v_cmp_eq_u32_e32 vcc_lo, 0, v43
	v_min_u32_e32 v30, 32, v30
	v_subrev_nc_u32_e32 v116, 28, v30
	v_sub_nc_u32_e32 v30, 29, v30
	v_lshlrev_b32_e32 v2, v116, v2
	v_lshlrev_b32_sdwa v116, v61, v16 dst_sel:DWORD dst_unused:UNUSED_PAD src0_sel:DWORD src1_sel:BYTE_1
	v_cndmask_b32_e32 v30, v43, v30, vcc_lo
	v_and_b32_e32 v2, 7, v2
	v_lshl_add_u32 v30, v30, 23, 0x3b800000
	v_cndmask_b32_e32 v2, v3, v2, vcc_lo
	v_and_b32_e32 v3, 0x80000000, v116
	v_lshlrev_b32_e32 v2, 20, v2
	v_or3_b32 v2, v3, v30, v2
.LBB6_1276:                             ;   in Loop: Header=BB6_130 Depth=2
	s_or_b32 exec_lo, exec_lo, s27
	v_cmp_gt_i16_sdwa s27, v12, v58 src0_sel:BYTE_1 src1_sel:DWORD
	s_mov_b32 s13, 0
	s_and_saveexec_b32 s28, s27
	s_xor_b32 s27, exec_lo, s28
	s_cbranch_execz .LBB6_1638
; %bb.1277:                             ;   in Loop: Header=BB6_130 Depth=2
	v_cmp_eq_u16_sdwa s29, v12, v59 src0_sel:BYTE_1 src1_sel:DWORD
	s_mov_b32 s13, -1
	s_and_saveexec_b32 s28, s29
; %bb.1278:                             ;   in Loop: Header=BB6_130 Depth=2
	s_xor_b32 s13, exec_lo, -1
; %bb.1279:                             ;   in Loop: Header=BB6_130 Depth=2
	s_or_b32 exec_lo, exec_lo, s28
	s_and_b32 s13, s13, exec_lo
	s_or_saveexec_b32 s27, s27
	v_mov_b32_e32 v3, 0x7f800001
	s_xor_b32 exec_lo, exec_lo, s27
	s_cbranch_execnz .LBB6_1639
.LBB6_1280:                             ;   in Loop: Header=BB6_130 Depth=2
	s_or_b32 exec_lo, exec_lo, s27
	s_and_saveexec_b32 s27, s13
	s_cbranch_execz .LBB6_1282
.LBB6_1281:                             ;   in Loop: Header=BB6_130 Depth=2
	v_and_b32_sdwa v3, v60, v12 dst_sel:DWORD dst_unused:UNUSED_PAD src0_sel:DWORD src1_sel:BYTE_1
	v_and_b32_e32 v30, 7, v3
	v_bfe_u32 v46, v3, 3, 4
	v_ffbh_u32_e32 v116, v30
	v_cmp_eq_u32_e32 vcc_lo, 0, v46
	v_min_u32_e32 v116, 32, v116
	v_subrev_nc_u32_e32 v43, 28, v116
	v_sub_nc_u32_e32 v116, 29, v116
	v_lshlrev_b32_e32 v3, v43, v3
	v_lshlrev_b32_sdwa v43, v61, v12 dst_sel:DWORD dst_unused:UNUSED_PAD src0_sel:DWORD src1_sel:BYTE_1
	v_cndmask_b32_e32 v116, v46, v116, vcc_lo
	v_and_b32_e32 v3, 7, v3
	v_lshl_add_u32 v116, v116, 23, 0x3b800000
	v_cndmask_b32_e32 v3, v30, v3, vcc_lo
	v_and_b32_e32 v30, 0x80000000, v43
	v_lshlrev_b32_e32 v3, 20, v3
	v_or3_b32 v3, v30, v116, v3
.LBB6_1282:                             ;   in Loop: Header=BB6_130 Depth=2
	s_or_b32 exec_lo, exec_lo, s27
	v_add_f32_e32 v2, v2, v3
	v_mov_b32_e32 v126, 0x8000
	s_mov_b32 s27, exec_lo
	v_and_b32_e32 v3, 0x7f800000, v2
	v_cmpx_ne_u32_e32 0x7f800000, v3
	s_cbranch_execz .LBB6_1290
; %bb.1283:                             ;   in Loop: Header=BB6_130 Depth=2
	v_mov_b32_e32 v126, 0
	s_mov_b32 s28, exec_lo
	v_cmpx_ne_u32_e32 0, v2
	s_cbranch_execz .LBB6_1289
; %bb.1284:                             ;   in Loop: Header=BB6_130 Depth=2
	v_bfe_u32 v30, v2, 23, 8
	v_and_b32_e32 v3, 0x7fffff, v2
	v_cmp_gt_u32_e64 s13, 0x79, v30
	v_sub_nc_u32_e32 v116, 0x78, v30
	v_cmp_eq_u32_e32 vcc_lo, 0, v30
	v_or_b32_e32 v43, 0x800000, v3
	v_cndmask_b32_e64 v116, 0, v116, s13
	v_cndmask_b32_e32 v3, v43, v3, vcc_lo
	v_cndmask_b32_e64 v116, v116, 0x77, vcc_lo
	v_lshl_add_u32 v43, 0x100000, v116, -1
	v_lshlrev_b32_e64 v46, v116, 0x80000
	v_and_b32_e32 v43, v43, v3
	v_cmp_eq_u32_e64 s13, v43, v46
	v_lshrrev_b32_e32 v43, v116, v3
	v_add_nc_u32_e32 v3, 0xffffff89, v30
                                        ; implicit-def: $vgpr46
	v_lshrrev_b32_e32 v30, 23, v43
	v_cndmask_b32_e64 v3, v3, 0xffffff8a, vcc_lo
	v_xor_b32_e32 v30, 1, v30
	v_add_nc_u32_e32 v3, v116, v3
	v_bfe_u32 v116, v43, 20, 1
	v_add_nc_u32_e32 v116, -1, v116
	v_cndmask_b32_e64 v116, 0, v116, s13
	s_mov_b32 s13, exec_lo
	v_add_nc_u32_e32 v116, v116, v43
	v_and_b32_e32 v116, 0xfffff, v116
	v_add_nc_u32_e32 v43, v116, v43
	v_cmpx_ne_u32_e64 v3, v30
	s_xor_b32 s13, exec_lo, s13
; %bb.1285:                             ;   in Loop: Header=BB6_130 Depth=2
	v_cmp_lt_u32_e32 vcc_lo, 0xffffff, v43
	v_sub_nc_u32_e32 v3, v3, v30
	v_cndmask_b32_e64 v30, 0, 1, vcc_lo
	v_add_co_ci_u32_e64 v46, null, 0, v3, vcc_lo
	v_lshrrev_b32_e32 v43, v30, v43
; %bb.1286:                             ;   in Loop: Header=BB6_130 Depth=2
	s_andn2_saveexec_b32 s13, s13
; %bb.1287:                             ;   in Loop: Header=BB6_130 Depth=2
	v_bfe_u32 v46, v43, 23, 1
; %bb.1288:                             ;   in Loop: Header=BB6_130 Depth=2
	s_or_b32 exec_lo, exec_lo, s13
	v_lshrrev_b32_e32 v3, 20, v43
	v_min_i32_e32 v30, 15, v46
	v_cmp_gt_i32_e32 vcc_lo, 16, v46
	v_and_b32_sdwa v2, v2, v59 dst_sel:DWORD dst_unused:UNUSED_PAD src0_sel:BYTE_3 src1_sel:DWORD
	v_lshlrev_b32_e32 v30, 3, v30
	v_cndmask_b32_e32 v3, 7, v3, vcc_lo
	v_and_b32_e32 v30, 0xf8, v30
	v_or_b32_e32 v116, v46, v3
	v_and_b32_e32 v3, 7, v3
	v_cmp_ne_u32_e32 vcc_lo, 0, v116
	v_or3_b32 v2, v2, v30, v3
	v_lshlrev_b32_e32 v2, 8, v2
	v_cndmask_b32_e32 v126, 0, v2, vcc_lo
.LBB6_1289:                             ;   in Loop: Header=BB6_130 Depth=2
	s_or_b32 exec_lo, exec_lo, s28
.LBB6_1290:                             ;   in Loop: Header=BB6_130 Depth=2
	s_or_b32 exec_lo, exec_lo, s27
	v_and_b32_sdwa v3, v16, v62 dst_sel:DWORD dst_unused:UNUSED_PAD src0_sel:WORD_1 src1_sel:DWORD
	s_mov_b32 s27, 0
	s_mov_b32 s13, exec_lo
	v_cmpx_lt_i16_e32 0x7f, v3
	s_xor_b32 s13, exec_lo, s13
	s_cbranch_execz .LBB6_1640
; %bb.1291:                             ;   in Loop: Header=BB6_130 Depth=2
	s_mov_b32 s27, -1
	s_mov_b32 s28, exec_lo
	v_cmpx_eq_u16_e32 0x80, v3
; %bb.1292:                             ;   in Loop: Header=BB6_130 Depth=2
	s_xor_b32 s27, exec_lo, -1
; %bb.1293:                             ;   in Loop: Header=BB6_130 Depth=2
	s_or_b32 exec_lo, exec_lo, s28
	s_and_b32 s27, s27, exec_lo
                                        ; implicit-def: $vgpr3
	s_or_saveexec_b32 s13, s13
	v_mov_b32_e32 v2, 0x7f800001
	s_xor_b32 exec_lo, exec_lo, s13
	s_cbranch_execnz .LBB6_1641
.LBB6_1294:                             ;   in Loop: Header=BB6_130 Depth=2
	s_or_b32 exec_lo, exec_lo, s13
	s_and_saveexec_b32 s13, s27
	s_cbranch_execz .LBB6_1296
.LBB6_1295:                             ;   in Loop: Header=BB6_130 Depth=2
	v_bfe_u32 v2, v16, 16, 3
	v_bfe_u32 v3, v16, 19, 4
	v_ffbh_u32_e32 v30, v2
	v_cmp_eq_u32_e32 vcc_lo, 0, v3
	v_min_u32_e32 v30, 32, v30
	v_subrev_nc_u32_e32 v116, 28, v30
	v_sub_nc_u32_e32 v30, 29, v30
	v_lshlrev_b32_sdwa v116, v116, v16 dst_sel:DWORD dst_unused:UNUSED_PAD src0_sel:DWORD src1_sel:WORD_1
	v_cndmask_b32_e32 v3, v3, v30, vcc_lo
	v_lshlrev_b32_e32 v30, 8, v16
	v_and_b32_e32 v116, 7, v116
	v_lshl_add_u32 v3, v3, 23, 0x3b800000
	v_and_b32_e32 v30, 0x80000000, v30
	v_cndmask_b32_e32 v2, v2, v116, vcc_lo
	v_lshlrev_b32_e32 v2, 20, v2
	v_or3_b32 v2, v30, v3, v2
.LBB6_1296:                             ;   in Loop: Header=BB6_130 Depth=2
	s_or_b32 exec_lo, exec_lo, s13
	v_and_b32_sdwa v30, v12, v62 dst_sel:DWORD dst_unused:UNUSED_PAD src0_sel:WORD_1 src1_sel:DWORD
	s_mov_b32 s27, 0
	s_mov_b32 s13, exec_lo
	v_cmpx_lt_i16_e32 0x7f, v30
	s_xor_b32 s13, exec_lo, s13
	s_cbranch_execz .LBB6_1642
; %bb.1297:                             ;   in Loop: Header=BB6_130 Depth=2
	s_mov_b32 s27, -1
	s_mov_b32 s28, exec_lo
	v_cmpx_eq_u16_e32 0x80, v30
; %bb.1298:                             ;   in Loop: Header=BB6_130 Depth=2
	s_xor_b32 s27, exec_lo, -1
; %bb.1299:                             ;   in Loop: Header=BB6_130 Depth=2
	s_or_b32 exec_lo, exec_lo, s28
	s_and_b32 s27, s27, exec_lo
                                        ; implicit-def: $vgpr30
	s_or_saveexec_b32 s13, s13
	v_mov_b32_e32 v3, 0x7f800001
	s_xor_b32 exec_lo, exec_lo, s13
	s_cbranch_execnz .LBB6_1643
.LBB6_1300:                             ;   in Loop: Header=BB6_130 Depth=2
	s_or_b32 exec_lo, exec_lo, s13
	s_and_saveexec_b32 s13, s27
	s_cbranch_execz .LBB6_1302
.LBB6_1301:                             ;   in Loop: Header=BB6_130 Depth=2
	v_bfe_u32 v3, v12, 16, 3
	v_bfe_u32 v30, v12, 19, 4
	v_ffbh_u32_e32 v116, v3
	v_cmp_eq_u32_e32 vcc_lo, 0, v30
	v_min_u32_e32 v116, 32, v116
	v_subrev_nc_u32_e32 v43, 28, v116
	v_sub_nc_u32_e32 v116, 29, v116
	v_lshlrev_b32_sdwa v43, v43, v12 dst_sel:DWORD dst_unused:UNUSED_PAD src0_sel:DWORD src1_sel:WORD_1
	v_cndmask_b32_e32 v30, v30, v116, vcc_lo
	v_lshlrev_b32_e32 v116, 8, v12
	v_and_b32_e32 v43, 7, v43
	v_lshl_add_u32 v30, v30, 23, 0x3b800000
	v_and_b32_e32 v116, 0x80000000, v116
	v_cndmask_b32_e32 v3, v3, v43, vcc_lo
	v_lshlrev_b32_e32 v3, 20, v3
	v_or3_b32 v3, v116, v30, v3
.LBB6_1302:                             ;   in Loop: Header=BB6_130 Depth=2
	s_or_b32 exec_lo, exec_lo, s13
	v_add_f32_e32 v2, v2, v3
	v_mov_b32_e32 v57, 0x80
	s_mov_b32 s27, exec_lo
	v_and_b32_e32 v3, 0x7f800000, v2
	v_cmpx_ne_u32_e32 0x7f800000, v3
	s_cbranch_execz .LBB6_1310
; %bb.1303:                             ;   in Loop: Header=BB6_130 Depth=2
	v_mov_b32_e32 v57, 0
	s_mov_b32 s28, exec_lo
	v_cmpx_ne_u32_e32 0, v2
	s_cbranch_execz .LBB6_1309
; %bb.1304:                             ;   in Loop: Header=BB6_130 Depth=2
	v_bfe_u32 v30, v2, 23, 8
	v_and_b32_e32 v3, 0x7fffff, v2
	v_cmp_gt_u32_e64 s13, 0x79, v30
	v_sub_nc_u32_e32 v116, 0x78, v30
	v_cmp_eq_u32_e32 vcc_lo, 0, v30
	v_or_b32_e32 v43, 0x800000, v3
	v_cndmask_b32_e64 v116, 0, v116, s13
	v_cndmask_b32_e32 v3, v43, v3, vcc_lo
	v_cndmask_b32_e64 v116, v116, 0x77, vcc_lo
	v_lshl_add_u32 v43, 0x100000, v116, -1
	v_lshlrev_b32_e64 v46, v116, 0x80000
	v_and_b32_e32 v43, v43, v3
	v_cmp_eq_u32_e64 s13, v43, v46
	v_lshrrev_b32_e32 v43, v116, v3
	v_add_nc_u32_e32 v3, 0xffffff89, v30
                                        ; implicit-def: $vgpr46
	v_lshrrev_b32_e32 v30, 23, v43
	v_cndmask_b32_e64 v3, v3, 0xffffff8a, vcc_lo
	v_xor_b32_e32 v30, 1, v30
	v_add_nc_u32_e32 v3, v116, v3
	v_bfe_u32 v116, v43, 20, 1
	v_add_nc_u32_e32 v116, -1, v116
	v_cndmask_b32_e64 v116, 0, v116, s13
	s_mov_b32 s13, exec_lo
	v_add_nc_u32_e32 v116, v116, v43
	v_and_b32_e32 v116, 0xfffff, v116
	v_add_nc_u32_e32 v43, v116, v43
	v_cmpx_ne_u32_e64 v3, v30
	s_xor_b32 s13, exec_lo, s13
; %bb.1305:                             ;   in Loop: Header=BB6_130 Depth=2
	v_cmp_lt_u32_e32 vcc_lo, 0xffffff, v43
	v_sub_nc_u32_e32 v3, v3, v30
	v_cndmask_b32_e64 v30, 0, 1, vcc_lo
	v_add_co_ci_u32_e64 v46, null, 0, v3, vcc_lo
	v_lshrrev_b32_e32 v43, v30, v43
; %bb.1306:                             ;   in Loop: Header=BB6_130 Depth=2
	s_andn2_saveexec_b32 s13, s13
; %bb.1307:                             ;   in Loop: Header=BB6_130 Depth=2
	v_bfe_u32 v46, v43, 23, 1
; %bb.1308:                             ;   in Loop: Header=BB6_130 Depth=2
	s_or_b32 exec_lo, exec_lo, s13
	v_lshrrev_b32_e32 v3, 20, v43
	v_min_i32_e32 v30, 15, v46
	v_cmp_gt_i32_e32 vcc_lo, 16, v46
	v_and_b32_sdwa v2, v2, v59 dst_sel:DWORD dst_unused:UNUSED_PAD src0_sel:BYTE_3 src1_sel:DWORD
	v_lshlrev_b32_e32 v30, 3, v30
	v_cndmask_b32_e32 v3, 7, v3, vcc_lo
	v_and_b32_e32 v30, 0xf8, v30
	v_or_b32_e32 v116, v46, v3
	v_and_b32_e32 v3, 7, v3
	v_cmp_ne_u32_e32 vcc_lo, 0, v116
	v_or3_b32 v2, v30, v2, v3
	v_cndmask_b32_e32 v57, 0, v2, vcc_lo
.LBB6_1309:                             ;   in Loop: Header=BB6_130 Depth=2
	s_or_b32 exec_lo, exec_lo, s28
.LBB6_1310:                             ;   in Loop: Header=BB6_130 Depth=2
	s_or_b32 exec_lo, exec_lo, s27
	v_cmp_gt_i16_sdwa s27, v16, v58 src0_sel:BYTE_3 src1_sel:DWORD
	s_mov_b32 s13, 0
	s_and_saveexec_b32 s28, s27
	s_xor_b32 s27, exec_lo, s28
	s_cbranch_execz .LBB6_1644
; %bb.1311:                             ;   in Loop: Header=BB6_130 Depth=2
	v_cmp_eq_u16_sdwa s29, v16, v59 src0_sel:BYTE_3 src1_sel:DWORD
	s_mov_b32 s13, -1
	s_and_saveexec_b32 s28, s29
; %bb.1312:                             ;   in Loop: Header=BB6_130 Depth=2
	s_xor_b32 s13, exec_lo, -1
; %bb.1313:                             ;   in Loop: Header=BB6_130 Depth=2
	s_or_b32 exec_lo, exec_lo, s28
	s_and_b32 s13, s13, exec_lo
	s_or_saveexec_b32 s27, s27
	v_mov_b32_e32 v2, 0x7f800001
	s_xor_b32 exec_lo, exec_lo, s27
	s_cbranch_execnz .LBB6_1645
.LBB6_1314:                             ;   in Loop: Header=BB6_130 Depth=2
	s_or_b32 exec_lo, exec_lo, s27
	s_and_saveexec_b32 s27, s13
	s_cbranch_execz .LBB6_1316
.LBB6_1315:                             ;   in Loop: Header=BB6_130 Depth=2
	v_bfe_u32 v2, v16, 24, 3
	v_bfe_u32 v116, v16, 27, 4
	v_ffbh_u32_e32 v3, v2
	v_cmp_eq_u32_e32 vcc_lo, 0, v116
	v_min_u32_e32 v3, 32, v3
	v_subrev_nc_u32_e32 v30, 28, v3
	v_sub_nc_u32_e32 v3, 29, v3
	v_lshlrev_b32_sdwa v30, v30, v16 dst_sel:DWORD dst_unused:UNUSED_PAD src0_sel:DWORD src1_sel:BYTE_3
	v_cndmask_b32_e32 v3, v116, v3, vcc_lo
	v_and_b32_e32 v16, 0x80000000, v16
	v_and_b32_e32 v30, 7, v30
	v_lshl_add_u32 v3, v3, 23, 0x3b800000
	v_cndmask_b32_e32 v2, v2, v30, vcc_lo
	v_lshlrev_b32_e32 v2, 20, v2
	v_or3_b32 v2, v16, v3, v2
.LBB6_1316:                             ;   in Loop: Header=BB6_130 Depth=2
	s_or_b32 exec_lo, exec_lo, s27
	v_cmp_gt_i16_sdwa s27, v12, v58 src0_sel:BYTE_3 src1_sel:DWORD
	s_mov_b32 s13, 0
	s_and_saveexec_b32 s28, s27
	s_xor_b32 s27, exec_lo, s28
	s_cbranch_execz .LBB6_1646
; %bb.1317:                             ;   in Loop: Header=BB6_130 Depth=2
	v_cmp_eq_u16_sdwa s29, v12, v59 src0_sel:BYTE_3 src1_sel:DWORD
	s_mov_b32 s13, -1
	s_and_saveexec_b32 s28, s29
; %bb.1318:                             ;   in Loop: Header=BB6_130 Depth=2
	s_xor_b32 s13, exec_lo, -1
; %bb.1319:                             ;   in Loop: Header=BB6_130 Depth=2
	s_or_b32 exec_lo, exec_lo, s28
	s_and_b32 s13, s13, exec_lo
	s_or_saveexec_b32 s27, s27
	v_mov_b32_e32 v3, 0x7f800001
	s_xor_b32 exec_lo, exec_lo, s27
	s_cbranch_execnz .LBB6_1647
.LBB6_1320:                             ;   in Loop: Header=BB6_130 Depth=2
	s_or_b32 exec_lo, exec_lo, s27
	s_and_saveexec_b32 s27, s13
	s_cbranch_execz .LBB6_1322
.LBB6_1321:                             ;   in Loop: Header=BB6_130 Depth=2
	v_bfe_u32 v3, v12, 24, 3
	v_bfe_u32 v116, v12, 27, 4
	v_ffbh_u32_e32 v16, v3
	v_cmp_eq_u32_e32 vcc_lo, 0, v116
	v_min_u32_e32 v16, 32, v16
	v_subrev_nc_u32_e32 v30, 28, v16
	v_sub_nc_u32_e32 v16, 29, v16
	v_lshlrev_b32_sdwa v30, v30, v12 dst_sel:DWORD dst_unused:UNUSED_PAD src0_sel:DWORD src1_sel:BYTE_3
	v_cndmask_b32_e32 v16, v116, v16, vcc_lo
	v_and_b32_e32 v12, 0x80000000, v12
	v_and_b32_e32 v30, 7, v30
	v_lshl_add_u32 v16, v16, 23, 0x3b800000
	v_cndmask_b32_e32 v3, v3, v30, vcc_lo
	v_lshlrev_b32_e32 v3, 20, v3
	v_or3_b32 v3, v12, v16, v3
.LBB6_1322:                             ;   in Loop: Header=BB6_130 Depth=2
	s_or_b32 exec_lo, exec_lo, s27
	v_add_f32_e32 v2, v2, v3
	v_mov_b32_e32 v12, 0x8000
	s_mov_b32 s27, exec_lo
	v_and_b32_e32 v3, 0x7f800000, v2
	v_cmpx_ne_u32_e32 0x7f800000, v3
	s_cbranch_execz .LBB6_1330
; %bb.1323:                             ;   in Loop: Header=BB6_130 Depth=2
	v_mov_b32_e32 v12, 0
	s_mov_b32 s28, exec_lo
	v_cmpx_ne_u32_e32 0, v2
	s_cbranch_execz .LBB6_1329
; %bb.1324:                             ;   in Loop: Header=BB6_130 Depth=2
	v_bfe_u32 v12, v2, 23, 8
	v_and_b32_e32 v3, 0x7fffff, v2
	v_cmp_gt_u32_e64 s13, 0x79, v12
	v_sub_nc_u32_e32 v16, 0x78, v12
	v_cmp_eq_u32_e32 vcc_lo, 0, v12
	v_or_b32_e32 v30, 0x800000, v3
	v_cndmask_b32_e64 v16, 0, v16, s13
	v_cndmask_b32_e32 v3, v30, v3, vcc_lo
	v_cndmask_b32_e64 v16, v16, 0x77, vcc_lo
	v_lshl_add_u32 v30, 0x100000, v16, -1
	v_lshlrev_b32_e64 v116, v16, 0x80000
	v_and_b32_e32 v30, v30, v3
	v_cmp_eq_u32_e64 s13, v30, v116
	v_lshrrev_b32_e32 v30, v16, v3
	v_add_nc_u32_e32 v3, 0xffffff89, v12
	v_lshrrev_b32_e32 v12, 23, v30
	v_cndmask_b32_e64 v3, v3, 0xffffff8a, vcc_lo
	v_xor_b32_e32 v12, 1, v12
	v_add_nc_u32_e32 v3, v16, v3
	v_bfe_u32 v16, v30, 20, 1
	v_add_nc_u32_e32 v16, -1, v16
	v_cndmask_b32_e64 v16, 0, v16, s13
	s_mov_b32 s13, exec_lo
	v_add_nc_u32_e32 v16, v16, v30
	v_and_b32_e32 v16, 0xfffff, v16
	v_add_nc_u32_e32 v16, v16, v30
                                        ; implicit-def: $vgpr30
	v_cmpx_ne_u32_e64 v3, v12
	s_xor_b32 s13, exec_lo, s13
; %bb.1325:                             ;   in Loop: Header=BB6_130 Depth=2
	v_cmp_lt_u32_e32 vcc_lo, 0xffffff, v16
	v_sub_nc_u32_e32 v3, v3, v12
	v_cndmask_b32_e64 v12, 0, 1, vcc_lo
	v_add_co_ci_u32_e64 v30, null, 0, v3, vcc_lo
	v_lshrrev_b32_e32 v16, v12, v16
; %bb.1326:                             ;   in Loop: Header=BB6_130 Depth=2
	s_andn2_saveexec_b32 s13, s13
; %bb.1327:                             ;   in Loop: Header=BB6_130 Depth=2
	v_bfe_u32 v30, v16, 23, 1
; %bb.1328:                             ;   in Loop: Header=BB6_130 Depth=2
	s_or_b32 exec_lo, exec_lo, s13
	v_lshrrev_b32_e32 v3, 20, v16
	v_min_i32_e32 v12, 15, v30
	v_cmp_gt_i32_e32 vcc_lo, 16, v30
	v_and_b32_sdwa v2, v2, v59 dst_sel:DWORD dst_unused:UNUSED_PAD src0_sel:BYTE_3 src1_sel:DWORD
	v_lshlrev_b32_e32 v12, 3, v12
	v_cndmask_b32_e32 v3, 7, v3, vcc_lo
	v_and_b32_e32 v12, 0xf8, v12
	v_or_b32_e32 v16, v30, v3
	v_and_b32_e32 v3, 7, v3
	v_cmp_ne_u32_e32 vcc_lo, 0, v16
	v_or3_b32 v2, v2, v12, v3
	v_lshlrev_b32_e32 v2, 8, v2
	v_cndmask_b32_e32 v12, 0, v2, vcc_lo
.LBB6_1329:                             ;   in Loop: Header=BB6_130 Depth=2
	s_or_b32 exec_lo, exec_lo, s28
.LBB6_1330:                             ;   in Loop: Header=BB6_130 Depth=2
	s_or_b32 exec_lo, exec_lo, s27
	v_cmp_gt_i16_sdwa s13, v17, v58 src0_sel:BYTE_0 src1_sel:DWORD
	s_mov_b32 s27, 0
	s_and_saveexec_b32 s28, s13
	s_xor_b32 s13, exec_lo, s28
	s_cbranch_execz .LBB6_1648
; %bb.1331:                             ;   in Loop: Header=BB6_130 Depth=2
	v_cmp_eq_u16_sdwa s29, v17, v59 src0_sel:BYTE_0 src1_sel:DWORD
	s_mov_b32 s27, -1
	s_and_saveexec_b32 s28, s29
; %bb.1332:                             ;   in Loop: Header=BB6_130 Depth=2
	s_xor_b32 s27, exec_lo, -1
; %bb.1333:                             ;   in Loop: Header=BB6_130 Depth=2
	s_or_b32 exec_lo, exec_lo, s28
	s_and_b32 s27, s27, exec_lo
	s_or_saveexec_b32 s13, s13
	v_mov_b32_e32 v2, 0x7f800001
	s_xor_b32 exec_lo, exec_lo, s13
	s_cbranch_execnz .LBB6_1649
.LBB6_1334:                             ;   in Loop: Header=BB6_130 Depth=2
	s_or_b32 exec_lo, exec_lo, s13
	s_and_saveexec_b32 s13, s27
	s_cbranch_execz .LBB6_1336
.LBB6_1335:                             ;   in Loop: Header=BB6_130 Depth=2
	v_and_b32_e32 v2, 7, v17
	v_bfe_u32 v3, v17, 3, 4
	v_ffbh_u32_e32 v16, v2
	v_cmp_eq_u32_e32 vcc_lo, 0, v3
	v_min_u32_e32 v16, 32, v16
	v_subrev_nc_u32_e32 v30, 28, v16
	v_sub_nc_u32_e32 v16, 29, v16
	v_lshlrev_b32_e32 v30, v30, v17
	v_cndmask_b32_e32 v3, v3, v16, vcc_lo
	v_lshlrev_b32_e32 v16, 24, v17
	v_and_b32_e32 v30, 7, v30
	v_lshl_add_u32 v3, v3, 23, 0x3b800000
	v_and_b32_e32 v16, 0x80000000, v16
	v_cndmask_b32_e32 v2, v2, v30, vcc_lo
	v_lshlrev_b32_e32 v2, 20, v2
	v_or3_b32 v2, v16, v3, v2
.LBB6_1336:                             ;   in Loop: Header=BB6_130 Depth=2
	s_or_b32 exec_lo, exec_lo, s13
	v_cmp_gt_i16_sdwa s13, v13, v58 src0_sel:BYTE_0 src1_sel:DWORD
	s_mov_b32 s27, 0
	s_and_saveexec_b32 s28, s13
	s_xor_b32 s13, exec_lo, s28
	s_cbranch_execz .LBB6_1650
; %bb.1337:                             ;   in Loop: Header=BB6_130 Depth=2
	v_cmp_eq_u16_sdwa s29, v13, v59 src0_sel:BYTE_0 src1_sel:DWORD
	s_mov_b32 s27, -1
	s_and_saveexec_b32 s28, s29
; %bb.1338:                             ;   in Loop: Header=BB6_130 Depth=2
	s_xor_b32 s27, exec_lo, -1
; %bb.1339:                             ;   in Loop: Header=BB6_130 Depth=2
	s_or_b32 exec_lo, exec_lo, s28
	s_and_b32 s27, s27, exec_lo
	s_or_saveexec_b32 s13, s13
	v_mov_b32_e32 v3, 0x7f800001
	s_xor_b32 exec_lo, exec_lo, s13
	s_cbranch_execnz .LBB6_1651
.LBB6_1340:                             ;   in Loop: Header=BB6_130 Depth=2
	s_or_b32 exec_lo, exec_lo, s13
	s_and_saveexec_b32 s13, s27
	s_cbranch_execz .LBB6_1342
.LBB6_1341:                             ;   in Loop: Header=BB6_130 Depth=2
	v_and_b32_e32 v3, 7, v13
	v_bfe_u32 v16, v13, 3, 4
	v_ffbh_u32_e32 v30, v3
	v_cmp_eq_u32_e32 vcc_lo, 0, v16
	v_min_u32_e32 v30, 32, v30
	v_subrev_nc_u32_e32 v116, 28, v30
	v_sub_nc_u32_e32 v30, 29, v30
	v_lshlrev_b32_e32 v116, v116, v13
	v_cndmask_b32_e32 v16, v16, v30, vcc_lo
	v_lshlrev_b32_e32 v30, 24, v13
	v_and_b32_e32 v116, 7, v116
	v_lshl_add_u32 v16, v16, 23, 0x3b800000
	v_and_b32_e32 v30, 0x80000000, v30
	v_cndmask_b32_e32 v3, v3, v116, vcc_lo
	v_lshlrev_b32_e32 v3, 20, v3
	v_or3_b32 v3, v30, v16, v3
.LBB6_1342:                             ;   in Loop: Header=BB6_130 Depth=2
	s_or_b32 exec_lo, exec_lo, s13
	v_add_f32_e32 v2, v2, v3
	v_mov_b32_e32 v16, 0x80
	s_mov_b32 s27, exec_lo
	v_and_b32_e32 v3, 0x7f800000, v2
	v_cmpx_ne_u32_e32 0x7f800000, v3
	s_cbranch_execz .LBB6_1350
; %bb.1343:                             ;   in Loop: Header=BB6_130 Depth=2
	v_mov_b32_e32 v16, 0
	s_mov_b32 s28, exec_lo
	v_cmpx_ne_u32_e32 0, v2
	s_cbranch_execz .LBB6_1349
; %bb.1344:                             ;   in Loop: Header=BB6_130 Depth=2
	v_bfe_u32 v16, v2, 23, 8
	v_and_b32_e32 v3, 0x7fffff, v2
	v_cmp_gt_u32_e64 s13, 0x79, v16
	v_sub_nc_u32_e32 v30, 0x78, v16
	v_cmp_eq_u32_e32 vcc_lo, 0, v16
	v_or_b32_e32 v116, 0x800000, v3
	v_cndmask_b32_e64 v30, 0, v30, s13
	v_cndmask_b32_e32 v3, v116, v3, vcc_lo
	v_cndmask_b32_e64 v30, v30, 0x77, vcc_lo
	v_lshl_add_u32 v116, 0x100000, v30, -1
	v_lshlrev_b32_e64 v43, v30, 0x80000
	v_and_b32_e32 v116, v116, v3
	v_cmp_eq_u32_e64 s13, v116, v43
	v_lshrrev_b32_e32 v116, v30, v3
	v_add_nc_u32_e32 v3, 0xffffff89, v16
                                        ; implicit-def: $vgpr43
	v_lshrrev_b32_e32 v16, 23, v116
	v_cndmask_b32_e64 v3, v3, 0xffffff8a, vcc_lo
	v_xor_b32_e32 v16, 1, v16
	v_add_nc_u32_e32 v3, v30, v3
	v_bfe_u32 v30, v116, 20, 1
	v_add_nc_u32_e32 v30, -1, v30
	v_cndmask_b32_e64 v30, 0, v30, s13
	s_mov_b32 s13, exec_lo
	v_add_nc_u32_e32 v30, v30, v116
	v_and_b32_e32 v30, 0xfffff, v30
	v_add_nc_u32_e32 v30, v30, v116
	v_cmpx_ne_u32_e64 v3, v16
	s_xor_b32 s13, exec_lo, s13
; %bb.1345:                             ;   in Loop: Header=BB6_130 Depth=2
	v_cmp_lt_u32_e32 vcc_lo, 0xffffff, v30
	v_sub_nc_u32_e32 v3, v3, v16
	v_cndmask_b32_e64 v16, 0, 1, vcc_lo
	v_add_co_ci_u32_e64 v43, null, 0, v3, vcc_lo
	v_lshrrev_b32_e32 v30, v16, v30
; %bb.1346:                             ;   in Loop: Header=BB6_130 Depth=2
	s_andn2_saveexec_b32 s13, s13
; %bb.1347:                             ;   in Loop: Header=BB6_130 Depth=2
	v_bfe_u32 v43, v30, 23, 1
; %bb.1348:                             ;   in Loop: Header=BB6_130 Depth=2
	s_or_b32 exec_lo, exec_lo, s13
	v_lshrrev_b32_e32 v3, 20, v30
	v_min_i32_e32 v16, 15, v43
	v_cmp_gt_i32_e32 vcc_lo, 16, v43
	v_and_b32_sdwa v2, v2, v59 dst_sel:DWORD dst_unused:UNUSED_PAD src0_sel:BYTE_3 src1_sel:DWORD
	v_lshlrev_b32_e32 v16, 3, v16
	v_cndmask_b32_e32 v3, 7, v3, vcc_lo
	v_and_b32_e32 v16, 0xf8, v16
	v_or_b32_e32 v30, v43, v3
	v_and_b32_e32 v3, 7, v3
	v_cmp_ne_u32_e32 vcc_lo, 0, v30
	v_or3_b32 v2, v16, v2, v3
	v_cndmask_b32_e32 v16, 0, v2, vcc_lo
.LBB6_1349:                             ;   in Loop: Header=BB6_130 Depth=2
	s_or_b32 exec_lo, exec_lo, s28
.LBB6_1350:                             ;   in Loop: Header=BB6_130 Depth=2
	s_or_b32 exec_lo, exec_lo, s27
	v_cmp_gt_i16_sdwa s27, v17, v58 src0_sel:BYTE_1 src1_sel:DWORD
	s_mov_b32 s13, 0
	s_and_saveexec_b32 s28, s27
	s_xor_b32 s27, exec_lo, s28
	s_cbranch_execz .LBB6_1652
; %bb.1351:                             ;   in Loop: Header=BB6_130 Depth=2
	v_cmp_eq_u16_sdwa s29, v17, v59 src0_sel:BYTE_1 src1_sel:DWORD
	s_mov_b32 s13, -1
	s_and_saveexec_b32 s28, s29
; %bb.1352:                             ;   in Loop: Header=BB6_130 Depth=2
	s_xor_b32 s13, exec_lo, -1
; %bb.1353:                             ;   in Loop: Header=BB6_130 Depth=2
	s_or_b32 exec_lo, exec_lo, s28
	s_and_b32 s13, s13, exec_lo
	s_or_saveexec_b32 s27, s27
	v_mov_b32_e32 v2, 0x7f800001
	s_xor_b32 exec_lo, exec_lo, s27
	s_cbranch_execnz .LBB6_1653
.LBB6_1354:                             ;   in Loop: Header=BB6_130 Depth=2
	s_or_b32 exec_lo, exec_lo, s27
	s_and_saveexec_b32 s27, s13
	s_cbranch_execz .LBB6_1356
.LBB6_1355:                             ;   in Loop: Header=BB6_130 Depth=2
	v_and_b32_sdwa v2, v60, v17 dst_sel:DWORD dst_unused:UNUSED_PAD src0_sel:DWORD src1_sel:BYTE_1
	v_and_b32_e32 v3, 7, v2
	v_bfe_u32 v43, v2, 3, 4
	v_ffbh_u32_e32 v30, v3
	v_cmp_eq_u32_e32 vcc_lo, 0, v43
	v_min_u32_e32 v30, 32, v30
	v_subrev_nc_u32_e32 v116, 28, v30
	v_sub_nc_u32_e32 v30, 29, v30
	v_lshlrev_b32_e32 v2, v116, v2
	v_lshlrev_b32_sdwa v116, v61, v17 dst_sel:DWORD dst_unused:UNUSED_PAD src0_sel:DWORD src1_sel:BYTE_1
	v_cndmask_b32_e32 v30, v43, v30, vcc_lo
	v_and_b32_e32 v2, 7, v2
	v_lshl_add_u32 v30, v30, 23, 0x3b800000
	v_cndmask_b32_e32 v2, v3, v2, vcc_lo
	v_and_b32_e32 v3, 0x80000000, v116
	v_lshlrev_b32_e32 v2, 20, v2
	v_or3_b32 v2, v3, v30, v2
.LBB6_1356:                             ;   in Loop: Header=BB6_130 Depth=2
	s_or_b32 exec_lo, exec_lo, s27
	v_cmp_gt_i16_sdwa s27, v13, v58 src0_sel:BYTE_1 src1_sel:DWORD
	s_mov_b32 s13, 0
	s_and_saveexec_b32 s28, s27
	s_xor_b32 s27, exec_lo, s28
	s_cbranch_execz .LBB6_1654
; %bb.1357:                             ;   in Loop: Header=BB6_130 Depth=2
	v_cmp_eq_u16_sdwa s29, v13, v59 src0_sel:BYTE_1 src1_sel:DWORD
	s_mov_b32 s13, -1
	s_and_saveexec_b32 s28, s29
; %bb.1358:                             ;   in Loop: Header=BB6_130 Depth=2
	s_xor_b32 s13, exec_lo, -1
; %bb.1359:                             ;   in Loop: Header=BB6_130 Depth=2
	s_or_b32 exec_lo, exec_lo, s28
	s_and_b32 s13, s13, exec_lo
	s_or_saveexec_b32 s27, s27
	v_mov_b32_e32 v3, 0x7f800001
	s_xor_b32 exec_lo, exec_lo, s27
	s_cbranch_execnz .LBB6_1655
.LBB6_1360:                             ;   in Loop: Header=BB6_130 Depth=2
	s_or_b32 exec_lo, exec_lo, s27
	s_and_saveexec_b32 s27, s13
	s_cbranch_execz .LBB6_1362
.LBB6_1361:                             ;   in Loop: Header=BB6_130 Depth=2
	v_and_b32_sdwa v3, v60, v13 dst_sel:DWORD dst_unused:UNUSED_PAD src0_sel:DWORD src1_sel:BYTE_1
	v_and_b32_e32 v30, 7, v3
	v_bfe_u32 v46, v3, 3, 4
	v_ffbh_u32_e32 v116, v30
	v_cmp_eq_u32_e32 vcc_lo, 0, v46
	v_min_u32_e32 v116, 32, v116
	v_subrev_nc_u32_e32 v43, 28, v116
	v_sub_nc_u32_e32 v116, 29, v116
	v_lshlrev_b32_e32 v3, v43, v3
	v_lshlrev_b32_sdwa v43, v61, v13 dst_sel:DWORD dst_unused:UNUSED_PAD src0_sel:DWORD src1_sel:BYTE_1
	v_cndmask_b32_e32 v116, v46, v116, vcc_lo
	v_and_b32_e32 v3, 7, v3
	v_lshl_add_u32 v116, v116, 23, 0x3b800000
	v_cndmask_b32_e32 v3, v30, v3, vcc_lo
	v_and_b32_e32 v30, 0x80000000, v43
	v_lshlrev_b32_e32 v3, 20, v3
	v_or3_b32 v3, v30, v116, v3
.LBB6_1362:                             ;   in Loop: Header=BB6_130 Depth=2
	s_or_b32 exec_lo, exec_lo, s27
	v_add_f32_e32 v2, v2, v3
	v_mov_b32_e32 v30, 0x8000
	s_mov_b32 s27, exec_lo
	v_and_b32_e32 v3, 0x7f800000, v2
	v_cmpx_ne_u32_e32 0x7f800000, v3
	s_cbranch_execz .LBB6_1370
; %bb.1363:                             ;   in Loop: Header=BB6_130 Depth=2
	v_mov_b32_e32 v30, 0
	s_mov_b32 s28, exec_lo
	v_cmpx_ne_u32_e32 0, v2
	s_cbranch_execz .LBB6_1369
; %bb.1364:                             ;   in Loop: Header=BB6_130 Depth=2
	v_bfe_u32 v30, v2, 23, 8
	v_and_b32_e32 v3, 0x7fffff, v2
	v_cmp_gt_u32_e64 s13, 0x79, v30
	v_sub_nc_u32_e32 v116, 0x78, v30
	v_cmp_eq_u32_e32 vcc_lo, 0, v30
	v_or_b32_e32 v43, 0x800000, v3
	v_cndmask_b32_e64 v116, 0, v116, s13
	v_cndmask_b32_e32 v3, v43, v3, vcc_lo
	v_cndmask_b32_e64 v116, v116, 0x77, vcc_lo
	v_lshl_add_u32 v43, 0x100000, v116, -1
	v_lshlrev_b32_e64 v46, v116, 0x80000
	v_and_b32_e32 v43, v43, v3
	v_cmp_eq_u32_e64 s13, v43, v46
	v_lshrrev_b32_e32 v43, v116, v3
	v_add_nc_u32_e32 v3, 0xffffff89, v30
                                        ; implicit-def: $vgpr46
	v_lshrrev_b32_e32 v30, 23, v43
	v_cndmask_b32_e64 v3, v3, 0xffffff8a, vcc_lo
	v_xor_b32_e32 v30, 1, v30
	v_add_nc_u32_e32 v3, v116, v3
	v_bfe_u32 v116, v43, 20, 1
	v_add_nc_u32_e32 v116, -1, v116
	v_cndmask_b32_e64 v116, 0, v116, s13
	s_mov_b32 s13, exec_lo
	v_add_nc_u32_e32 v116, v116, v43
	v_and_b32_e32 v116, 0xfffff, v116
	v_add_nc_u32_e32 v43, v116, v43
	v_cmpx_ne_u32_e64 v3, v30
	s_xor_b32 s13, exec_lo, s13
; %bb.1365:                             ;   in Loop: Header=BB6_130 Depth=2
	v_cmp_lt_u32_e32 vcc_lo, 0xffffff, v43
	v_sub_nc_u32_e32 v3, v3, v30
	v_cndmask_b32_e64 v30, 0, 1, vcc_lo
	v_add_co_ci_u32_e64 v46, null, 0, v3, vcc_lo
	v_lshrrev_b32_e32 v43, v30, v43
; %bb.1366:                             ;   in Loop: Header=BB6_130 Depth=2
	s_andn2_saveexec_b32 s13, s13
; %bb.1367:                             ;   in Loop: Header=BB6_130 Depth=2
	v_bfe_u32 v46, v43, 23, 1
; %bb.1368:                             ;   in Loop: Header=BB6_130 Depth=2
	s_or_b32 exec_lo, exec_lo, s13
	v_lshrrev_b32_e32 v3, 20, v43
	v_min_i32_e32 v30, 15, v46
	v_cmp_gt_i32_e32 vcc_lo, 16, v46
	v_and_b32_sdwa v2, v2, v59 dst_sel:DWORD dst_unused:UNUSED_PAD src0_sel:BYTE_3 src1_sel:DWORD
	v_lshlrev_b32_e32 v30, 3, v30
	v_cndmask_b32_e32 v3, 7, v3, vcc_lo
	v_and_b32_e32 v30, 0xf8, v30
	v_or_b32_e32 v116, v46, v3
	v_and_b32_e32 v3, 7, v3
	v_cmp_ne_u32_e32 vcc_lo, 0, v116
	v_or3_b32 v2, v2, v30, v3
	v_lshlrev_b32_e32 v2, 8, v2
	v_cndmask_b32_e32 v30, 0, v2, vcc_lo
.LBB6_1369:                             ;   in Loop: Header=BB6_130 Depth=2
	s_or_b32 exec_lo, exec_lo, s28
.LBB6_1370:                             ;   in Loop: Header=BB6_130 Depth=2
	s_or_b32 exec_lo, exec_lo, s27
	v_and_b32_sdwa v3, v17, v62 dst_sel:DWORD dst_unused:UNUSED_PAD src0_sel:WORD_1 src1_sel:DWORD
	s_mov_b32 s27, 0
	s_mov_b32 s13, exec_lo
	v_cmpx_lt_i16_e32 0x7f, v3
	s_xor_b32 s13, exec_lo, s13
	s_cbranch_execz .LBB6_1656
; %bb.1371:                             ;   in Loop: Header=BB6_130 Depth=2
	s_mov_b32 s27, -1
	s_mov_b32 s28, exec_lo
	v_cmpx_eq_u16_e32 0x80, v3
; %bb.1372:                             ;   in Loop: Header=BB6_130 Depth=2
	s_xor_b32 s27, exec_lo, -1
; %bb.1373:                             ;   in Loop: Header=BB6_130 Depth=2
	s_or_b32 exec_lo, exec_lo, s28
	s_and_b32 s27, s27, exec_lo
                                        ; implicit-def: $vgpr3
	s_or_saveexec_b32 s13, s13
	v_mov_b32_e32 v2, 0x7f800001
	s_xor_b32 exec_lo, exec_lo, s13
	s_cbranch_execnz .LBB6_1657
.LBB6_1374:                             ;   in Loop: Header=BB6_130 Depth=2
	s_or_b32 exec_lo, exec_lo, s13
	s_and_saveexec_b32 s13, s27
	s_cbranch_execz .LBB6_1376
.LBB6_1375:                             ;   in Loop: Header=BB6_130 Depth=2
	v_bfe_u32 v2, v17, 16, 3
	v_bfe_u32 v3, v17, 19, 4
	v_ffbh_u32_e32 v116, v2
	v_cmp_eq_u32_e32 vcc_lo, 0, v3
	v_min_u32_e32 v116, 32, v116
	v_subrev_nc_u32_e32 v43, 28, v116
	v_sub_nc_u32_e32 v116, 29, v116
	v_lshlrev_b32_sdwa v43, v43, v17 dst_sel:DWORD dst_unused:UNUSED_PAD src0_sel:DWORD src1_sel:WORD_1
	v_cndmask_b32_e32 v3, v3, v116, vcc_lo
	v_lshlrev_b32_e32 v116, 8, v17
	v_and_b32_e32 v43, 7, v43
	v_lshl_add_u32 v3, v3, 23, 0x3b800000
	v_and_b32_e32 v116, 0x80000000, v116
	v_cndmask_b32_e32 v2, v2, v43, vcc_lo
	v_lshlrev_b32_e32 v2, 20, v2
	v_or3_b32 v2, v116, v3, v2
.LBB6_1376:                             ;   in Loop: Header=BB6_130 Depth=2
	s_or_b32 exec_lo, exec_lo, s13
	v_and_b32_sdwa v116, v13, v62 dst_sel:DWORD dst_unused:UNUSED_PAD src0_sel:WORD_1 src1_sel:DWORD
	s_mov_b32 s27, 0
	s_mov_b32 s13, exec_lo
	v_cmpx_lt_i16_e32 0x7f, v116
	s_xor_b32 s13, exec_lo, s13
	s_cbranch_execz .LBB6_1658
; %bb.1377:                             ;   in Loop: Header=BB6_130 Depth=2
	s_mov_b32 s27, -1
	s_mov_b32 s28, exec_lo
	v_cmpx_eq_u16_e32 0x80, v116
; %bb.1378:                             ;   in Loop: Header=BB6_130 Depth=2
	s_xor_b32 s27, exec_lo, -1
; %bb.1379:                             ;   in Loop: Header=BB6_130 Depth=2
	s_or_b32 exec_lo, exec_lo, s28
	s_and_b32 s27, s27, exec_lo
                                        ; implicit-def: $vgpr116
	s_or_saveexec_b32 s13, s13
	v_mov_b32_e32 v3, 0x7f800001
	s_xor_b32 exec_lo, exec_lo, s13
	s_cbranch_execnz .LBB6_1659
.LBB6_1380:                             ;   in Loop: Header=BB6_130 Depth=2
	s_or_b32 exec_lo, exec_lo, s13
	s_and_saveexec_b32 s13, s27
	s_cbranch_execz .LBB6_1382
.LBB6_1381:                             ;   in Loop: Header=BB6_130 Depth=2
	v_bfe_u32 v3, v13, 16, 3
	v_bfe_u32 v116, v13, 19, 4
	v_ffbh_u32_e32 v43, v3
	v_cmp_eq_u32_e32 vcc_lo, 0, v116
	v_min_u32_e32 v43, 32, v43
	v_subrev_nc_u32_e32 v46, 28, v43
	v_sub_nc_u32_e32 v43, 29, v43
	v_lshlrev_b32_sdwa v46, v46, v13 dst_sel:DWORD dst_unused:UNUSED_PAD src0_sel:DWORD src1_sel:WORD_1
	v_cndmask_b32_e32 v116, v116, v43, vcc_lo
	v_lshlrev_b32_e32 v43, 8, v13
	v_and_b32_e32 v46, 7, v46
	v_lshl_add_u32 v116, v116, 23, 0x3b800000
	v_and_b32_e32 v43, 0x80000000, v43
	v_cndmask_b32_e32 v3, v3, v46, vcc_lo
	v_lshlrev_b32_e32 v3, 20, v3
	v_or3_b32 v3, v43, v116, v3
.LBB6_1382:                             ;   in Loop: Header=BB6_130 Depth=2
	s_or_b32 exec_lo, exec_lo, s13
	v_add_f32_e32 v3, v2, v3
	v_and_b32_e32 v2, 0x7f800000, v3
	v_cmp_ne_u32_e32 vcc_lo, 0x7f800000, v2
	v_mov_b32_e32 v2, 0x80
	s_and_saveexec_b32 s27, vcc_lo
	s_cbranch_execz .LBB6_1390
; %bb.1383:                             ;   in Loop: Header=BB6_130 Depth=2
	v_mov_b32_e32 v2, 0
	s_mov_b32 s28, exec_lo
	v_cmpx_ne_u32_e32 0, v3
	s_cbranch_execz .LBB6_1389
; %bb.1384:                             ;   in Loop: Header=BB6_130 Depth=2
	v_bfe_u32 v116, v3, 23, 8
	v_and_b32_e32 v2, 0x7fffff, v3
	v_cmp_gt_u32_e64 s13, 0x79, v116
	v_sub_nc_u32_e32 v43, 0x78, v116
	v_cmp_eq_u32_e32 vcc_lo, 0, v116
	v_or_b32_e32 v46, 0x800000, v2
	v_cndmask_b32_e64 v43, 0, v43, s13
	v_cndmask_b32_e32 v2, v46, v2, vcc_lo
	v_cndmask_b32_e64 v43, v43, 0x77, vcc_lo
	v_lshl_add_u32 v46, 0x100000, v43, -1
	v_lshlrev_b32_e64 v44, v43, 0x80000
	v_and_b32_e32 v46, v46, v2
	v_cmp_eq_u32_e64 s13, v46, v44
	v_lshrrev_b32_e32 v44, v43, v2
	v_add_nc_u32_e32 v2, 0xffffff89, v116
	v_lshrrev_b32_e32 v116, 23, v44
	v_cndmask_b32_e64 v2, v2, 0xffffff8a, vcc_lo
	v_add_nc_u32_e32 v2, v43, v2
	v_xor_b32_e32 v43, 1, v116
	v_bfe_u32 v116, v44, 20, 1
	v_add_nc_u32_e32 v116, -1, v116
	v_cndmask_b32_e64 v116, 0, v116, s13
	s_mov_b32 s13, exec_lo
	v_add_nc_u32_e32 v116, v116, v44
	v_and_b32_e32 v116, 0xfffff, v116
	v_add_nc_u32_e32 v46, v116, v44
                                        ; implicit-def: $vgpr116
	v_cmpx_ne_u32_e64 v2, v43
	s_xor_b32 s13, exec_lo, s13
; %bb.1385:                             ;   in Loop: Header=BB6_130 Depth=2
	v_cmp_lt_u32_e32 vcc_lo, 0xffffff, v46
	v_sub_nc_u32_e32 v2, v2, v43
	v_cndmask_b32_e64 v43, 0, 1, vcc_lo
	v_add_co_ci_u32_e64 v116, null, 0, v2, vcc_lo
	v_lshrrev_b32_e32 v46, v43, v46
; %bb.1386:                             ;   in Loop: Header=BB6_130 Depth=2
	s_andn2_saveexec_b32 s13, s13
; %bb.1387:                             ;   in Loop: Header=BB6_130 Depth=2
	v_bfe_u32 v116, v46, 23, 1
; %bb.1388:                             ;   in Loop: Header=BB6_130 Depth=2
	s_or_b32 exec_lo, exec_lo, s13
	v_and_b32_sdwa v2, v3, v59 dst_sel:DWORD dst_unused:UNUSED_PAD src0_sel:BYTE_3 src1_sel:DWORD
	v_lshrrev_b32_e32 v3, 20, v46
	v_min_i32_e32 v43, 15, v116
	v_cmp_gt_i32_e32 vcc_lo, 16, v116
	v_lshlrev_b32_e32 v43, 3, v43
	v_cndmask_b32_e32 v3, 7, v3, vcc_lo
	v_and_b32_e32 v43, 0xf8, v43
	v_or_b32_e32 v116, v116, v3
	v_and_b32_e32 v3, 7, v3
	v_cmp_ne_u32_e32 vcc_lo, 0, v116
	v_or3_b32 v2, v43, v2, v3
	v_cndmask_b32_e32 v2, 0, v2, vcc_lo
.LBB6_1389:                             ;   in Loop: Header=BB6_130 Depth=2
	s_or_b32 exec_lo, exec_lo, s28
.LBB6_1390:                             ;   in Loop: Header=BB6_130 Depth=2
	s_or_b32 exec_lo, exec_lo, s27
	v_cmp_gt_i16_sdwa s27, v17, v58 src0_sel:BYTE_3 src1_sel:DWORD
	s_mov_b32 s13, 0
	s_and_saveexec_b32 s28, s27
	s_xor_b32 s27, exec_lo, s28
	s_cbranch_execz .LBB6_1660
; %bb.1391:                             ;   in Loop: Header=BB6_130 Depth=2
	v_cmp_eq_u16_sdwa s29, v17, v59 src0_sel:BYTE_3 src1_sel:DWORD
	s_mov_b32 s13, -1
	s_and_saveexec_b32 s28, s29
; %bb.1392:                             ;   in Loop: Header=BB6_130 Depth=2
	s_xor_b32 s13, exec_lo, -1
; %bb.1393:                             ;   in Loop: Header=BB6_130 Depth=2
	s_or_b32 exec_lo, exec_lo, s28
	s_and_b32 s13, s13, exec_lo
	s_or_saveexec_b32 s27, s27
	v_mov_b32_e32 v3, 0x7f800001
	s_xor_b32 exec_lo, exec_lo, s27
	s_cbranch_execnz .LBB6_1661
.LBB6_1394:                             ;   in Loop: Header=BB6_130 Depth=2
	s_or_b32 exec_lo, exec_lo, s27
	s_and_saveexec_b32 s27, s13
	s_cbranch_execz .LBB6_1396
.LBB6_1395:                             ;   in Loop: Header=BB6_130 Depth=2
	v_bfe_u32 v3, v17, 24, 3
	v_bfe_u32 v44, v17, 27, 4
	v_ffbh_u32_e32 v116, v3
	v_cmp_eq_u32_e32 vcc_lo, 0, v44
	v_min_u32_e32 v116, 32, v116
	v_subrev_nc_u32_e32 v43, 28, v116
	v_sub_nc_u32_e32 v116, 29, v116
	v_lshlrev_b32_sdwa v43, v43, v17 dst_sel:DWORD dst_unused:UNUSED_PAD src0_sel:DWORD src1_sel:BYTE_3
	v_cndmask_b32_e32 v116, v44, v116, vcc_lo
	v_and_b32_e32 v17, 0x80000000, v17
	v_and_b32_e32 v43, 7, v43
	v_lshl_add_u32 v116, v116, 23, 0x3b800000
	v_cndmask_b32_e32 v3, v3, v43, vcc_lo
	v_lshlrev_b32_e32 v3, 20, v3
	v_or3_b32 v3, v17, v116, v3
.LBB6_1396:                             ;   in Loop: Header=BB6_130 Depth=2
	s_or_b32 exec_lo, exec_lo, s27
	v_cmp_gt_i16_sdwa s27, v13, v58 src0_sel:BYTE_3 src1_sel:DWORD
	s_mov_b32 s13, 0
	s_and_saveexec_b32 s28, s27
	s_xor_b32 s27, exec_lo, s28
	s_cbranch_execz .LBB6_1662
; %bb.1397:                             ;   in Loop: Header=BB6_130 Depth=2
	v_cmp_eq_u16_sdwa s29, v13, v59 src0_sel:BYTE_3 src1_sel:DWORD
	s_mov_b32 s13, -1
	s_and_saveexec_b32 s28, s29
; %bb.1398:                             ;   in Loop: Header=BB6_130 Depth=2
	s_xor_b32 s13, exec_lo, -1
; %bb.1399:                             ;   in Loop: Header=BB6_130 Depth=2
	s_or_b32 exec_lo, exec_lo, s28
	s_and_b32 s13, s13, exec_lo
	s_or_saveexec_b32 s27, s27
	v_mov_b32_e32 v17, 0x7f800001
	s_xor_b32 exec_lo, exec_lo, s27
	s_cbranch_execnz .LBB6_1663
.LBB6_1400:                             ;   in Loop: Header=BB6_130 Depth=2
	s_or_b32 exec_lo, exec_lo, s27
	s_and_saveexec_b32 s27, s13
	s_cbranch_execz .LBB6_1402
.LBB6_1401:                             ;   in Loop: Header=BB6_130 Depth=2
	v_bfe_u32 v17, v13, 24, 3
	v_bfe_u32 v44, v13, 27, 4
	v_ffbh_u32_e32 v116, v17
	v_cmp_eq_u32_e32 vcc_lo, 0, v44
	v_min_u32_e32 v116, 32, v116
	v_subrev_nc_u32_e32 v43, 28, v116
	v_sub_nc_u32_e32 v116, 29, v116
	v_lshlrev_b32_sdwa v43, v43, v13 dst_sel:DWORD dst_unused:UNUSED_PAD src0_sel:DWORD src1_sel:BYTE_3
	v_cndmask_b32_e32 v116, v44, v116, vcc_lo
	v_and_b32_e32 v13, 0x80000000, v13
	v_and_b32_e32 v43, 7, v43
	v_lshl_add_u32 v116, v116, 23, 0x3b800000
	v_cndmask_b32_e32 v17, v17, v43, vcc_lo
	v_lshlrev_b32_e32 v17, 20, v17
	v_or3_b32 v17, v13, v116, v17
.LBB6_1402:                             ;   in Loop: Header=BB6_130 Depth=2
	s_or_b32 exec_lo, exec_lo, s27
	v_add_f32_e32 v3, v3, v17
	v_and_b32_e32 v13, 0x7f800000, v3
	v_cmp_ne_u32_e32 vcc_lo, 0x7f800000, v13
	v_mov_b32_e32 v13, 0x8000
	s_and_saveexec_b32 s27, vcc_lo
	s_cbranch_execz .LBB6_129
; %bb.1403:                             ;   in Loop: Header=BB6_130 Depth=2
	v_mov_b32_e32 v13, 0
	s_mov_b32 s28, exec_lo
	v_cmpx_ne_u32_e32 0, v3
	s_cbranch_execz .LBB6_128
; %bb.1404:                             ;   in Loop: Header=BB6_130 Depth=2
	v_bfe_u32 v17, v3, 23, 8
	v_and_b32_e32 v13, 0x7fffff, v3
	v_cmp_gt_u32_e64 s13, 0x79, v17
	v_sub_nc_u32_e32 v116, 0x78, v17
	v_cmp_eq_u32_e32 vcc_lo, 0, v17
	v_or_b32_e32 v43, 0x800000, v13
	v_cndmask_b32_e64 v116, 0, v116, s13
	v_cndmask_b32_e32 v13, v43, v13, vcc_lo
	v_cndmask_b32_e64 v116, v116, 0x77, vcc_lo
	v_lshl_add_u32 v43, 0x100000, v116, -1
	v_lshlrev_b32_e64 v44, v116, 0x80000
	v_and_b32_e32 v43, v43, v13
	v_cmp_eq_u32_e64 s13, v43, v44
	v_lshrrev_b32_e32 v43, v116, v13
	v_add_nc_u32_e32 v13, 0xffffff89, v17
	v_lshrrev_b32_e32 v17, 23, v43
	v_cndmask_b32_e64 v13, v13, 0xffffff8a, vcc_lo
	v_xor_b32_e32 v17, 1, v17
	v_add_nc_u32_e32 v13, v116, v13
	v_bfe_u32 v116, v43, 20, 1
	v_add_nc_u32_e32 v116, -1, v116
	v_cndmask_b32_e64 v116, 0, v116, s13
	s_mov_b32 s13, exec_lo
	v_add_nc_u32_e32 v116, v116, v43
	v_and_b32_e32 v116, 0xfffff, v116
	v_add_nc_u32_e32 v43, v116, v43
                                        ; implicit-def: $vgpr116
	v_cmpx_ne_u32_e64 v13, v17
	s_xor_b32 s13, exec_lo, s13
; %bb.1405:                             ;   in Loop: Header=BB6_130 Depth=2
	v_cmp_lt_u32_e32 vcc_lo, 0xffffff, v43
	v_sub_nc_u32_e32 v13, v13, v17
	v_cndmask_b32_e64 v17, 0, 1, vcc_lo
	v_add_co_ci_u32_e64 v116, null, 0, v13, vcc_lo
	v_lshrrev_b32_e32 v43, v17, v43
; %bb.1406:                             ;   in Loop: Header=BB6_130 Depth=2
	s_andn2_saveexec_b32 s13, s13
	s_cbranch_execz .LBB6_127
; %bb.1407:                             ;   in Loop: Header=BB6_130 Depth=2
	v_bfe_u32 v116, v43, 23, 1
	s_branch .LBB6_127
.LBB6_1408:                             ;   in Loop: Header=BB6_130 Depth=2
	s_or_saveexec_b32 s27, s27
	v_mov_b32_e32 v2, 0x7f800001
	s_xor_b32 exec_lo, exec_lo, s27
	s_cbranch_execz .LBB6_134
.LBB6_1409:                             ;   in Loop: Header=BB6_130 Depth=2
	v_cmp_ne_u16_sdwa s28, v48, v84 src0_sel:BYTE_0 src1_sel:DWORD
	v_mov_b32_e32 v2, 0
	s_andn2_b32 s13, s13, exec_lo
	s_and_b32 s28, s28, exec_lo
	s_or_b32 s13, s13, s28
	s_or_b32 exec_lo, exec_lo, s27
	s_and_saveexec_b32 s27, s13
	s_cbranch_execnz .LBB6_135
	s_branch .LBB6_136
.LBB6_1410:                             ;   in Loop: Header=BB6_130 Depth=2
	s_or_saveexec_b32 s27, s27
	v_mov_b32_e32 v3, 0x7f800001
	s_xor_b32 exec_lo, exec_lo, s27
	s_cbranch_execz .LBB6_140
.LBB6_1411:                             ;   in Loop: Header=BB6_130 Depth=2
	v_cmp_ne_u16_sdwa s28, v36, v84 src0_sel:BYTE_0 src1_sel:DWORD
	v_mov_b32_e32 v3, 0
	s_andn2_b32 s13, s13, exec_lo
	s_and_b32 s28, s28, exec_lo
	s_or_b32 s13, s13, s28
	s_or_b32 exec_lo, exec_lo, s27
	s_and_saveexec_b32 s27, s13
	s_cbranch_execnz .LBB6_141
	s_branch .LBB6_142
.LBB6_1412:                             ;   in Loop: Header=BB6_130 Depth=2
	s_or_saveexec_b32 s27, s27
	v_mov_b32_e32 v2, 0x7f800001
	s_xor_b32 exec_lo, exec_lo, s27
	s_cbranch_execz .LBB6_154
.LBB6_1413:                             ;   in Loop: Header=BB6_130 Depth=2
	v_cmp_ne_u16_sdwa s28, v48, v84 src0_sel:BYTE_1 src1_sel:DWORD
	v_mov_b32_e32 v2, 0
	s_andn2_b32 s13, s13, exec_lo
	s_and_b32 s28, s28, exec_lo
	s_or_b32 s13, s13, s28
	s_or_b32 exec_lo, exec_lo, s27
	s_and_saveexec_b32 s27, s13
	s_cbranch_execnz .LBB6_155
	s_branch .LBB6_156
.LBB6_1414:                             ;   in Loop: Header=BB6_130 Depth=2
	s_or_saveexec_b32 s27, s27
	v_mov_b32_e32 v3, 0x7f800001
	s_xor_b32 exec_lo, exec_lo, s27
	s_cbranch_execz .LBB6_160
.LBB6_1415:                             ;   in Loop: Header=BB6_130 Depth=2
	v_cmp_ne_u16_sdwa s28, v36, v84 src0_sel:BYTE_1 src1_sel:DWORD
	v_mov_b32_e32 v3, 0
	s_andn2_b32 s13, s13, exec_lo
	s_and_b32 s28, s28, exec_lo
	s_or_b32 s13, s13, s28
	s_or_b32 exec_lo, exec_lo, s27
	s_and_saveexec_b32 s27, s13
	s_cbranch_execnz .LBB6_161
	s_branch .LBB6_162
.LBB6_1416:                             ;   in Loop: Header=BB6_130 Depth=2
	s_or_saveexec_b32 s27, s27
	v_mov_b32_e32 v2, 0x7f800001
	s_xor_b32 exec_lo, exec_lo, s27
	s_cbranch_execz .LBB6_174
.LBB6_1417:                             ;   in Loop: Header=BB6_130 Depth=2
	v_cmp_ne_u16_e32 vcc_lo, 0, v3
	v_mov_b32_e32 v2, 0
	s_andn2_b32 s13, s13, exec_lo
	s_and_b32 s28, vcc_lo, exec_lo
	s_or_b32 s13, s13, s28
	s_or_b32 exec_lo, exec_lo, s27
	s_and_saveexec_b32 s27, s13
	s_cbranch_execnz .LBB6_175
	s_branch .LBB6_176
.LBB6_1418:                             ;   in Loop: Header=BB6_130 Depth=2
	s_or_saveexec_b32 s27, s27
	v_mov_b32_e32 v3, 0x7f800001
	s_xor_b32 exec_lo, exec_lo, s27
	s_cbranch_execz .LBB6_180
.LBB6_1419:                             ;   in Loop: Header=BB6_130 Depth=2
	v_cmp_ne_u16_e32 vcc_lo, 0, v30
	v_mov_b32_e32 v3, 0
	s_andn2_b32 s13, s13, exec_lo
	s_and_b32 s28, vcc_lo, exec_lo
	s_or_b32 s13, s13, s28
	s_or_b32 exec_lo, exec_lo, s27
	s_and_saveexec_b32 s27, s13
	s_cbranch_execnz .LBB6_181
	s_branch .LBB6_182
.LBB6_1420:                             ;   in Loop: Header=BB6_130 Depth=2
	s_or_saveexec_b32 s27, s27
	v_mov_b32_e32 v2, 0x7f800001
	s_xor_b32 exec_lo, exec_lo, s27
	s_cbranch_execz .LBB6_194
.LBB6_1421:                             ;   in Loop: Header=BB6_130 Depth=2
	v_cmp_ne_u16_sdwa s28, v48, v84 src0_sel:BYTE_3 src1_sel:DWORD
	v_mov_b32_e32 v2, 0
	s_andn2_b32 s13, s13, exec_lo
	s_and_b32 s28, s28, exec_lo
	s_or_b32 s13, s13, s28
	s_or_b32 exec_lo, exec_lo, s27
	s_and_saveexec_b32 s27, s13
	s_cbranch_execnz .LBB6_195
	s_branch .LBB6_196
.LBB6_1422:                             ;   in Loop: Header=BB6_130 Depth=2
	s_or_saveexec_b32 s27, s27
	v_mov_b32_e32 v3, 0x7f800001
	s_xor_b32 exec_lo, exec_lo, s27
	s_cbranch_execz .LBB6_200
.LBB6_1423:                             ;   in Loop: Header=BB6_130 Depth=2
	v_cmp_ne_u16_sdwa s28, v36, v84 src0_sel:BYTE_3 src1_sel:DWORD
	v_mov_b32_e32 v3, 0
	s_andn2_b32 s13, s13, exec_lo
	s_and_b32 s28, s28, exec_lo
	s_or_b32 s13, s13, s28
	s_or_b32 exec_lo, exec_lo, s27
	s_and_saveexec_b32 s27, s13
	s_cbranch_execnz .LBB6_201
	s_branch .LBB6_202
.LBB6_1424:                             ;   in Loop: Header=BB6_130 Depth=2
	s_or_saveexec_b32 s27, s27
	v_mov_b32_e32 v2, 0x7f800001
	s_xor_b32 exec_lo, exec_lo, s27
	s_cbranch_execz .LBB6_214
.LBB6_1425:                             ;   in Loop: Header=BB6_130 Depth=2
	v_cmp_ne_u16_sdwa s28, v49, v84 src0_sel:BYTE_0 src1_sel:DWORD
	v_mov_b32_e32 v2, 0
	s_andn2_b32 s13, s13, exec_lo
	s_and_b32 s28, s28, exec_lo
	s_or_b32 s13, s13, s28
	s_or_b32 exec_lo, exec_lo, s27
	s_and_saveexec_b32 s27, s13
	s_cbranch_execnz .LBB6_215
	s_branch .LBB6_216
.LBB6_1426:                             ;   in Loop: Header=BB6_130 Depth=2
	s_or_saveexec_b32 s27, s27
	v_mov_b32_e32 v3, 0x7f800001
	s_xor_b32 exec_lo, exec_lo, s27
	s_cbranch_execz .LBB6_220
.LBB6_1427:                             ;   in Loop: Header=BB6_130 Depth=2
	v_cmp_ne_u16_sdwa s28, v37, v84 src0_sel:BYTE_0 src1_sel:DWORD
	v_mov_b32_e32 v3, 0
	s_andn2_b32 s13, s13, exec_lo
	s_and_b32 s28, s28, exec_lo
	s_or_b32 s13, s13, s28
	s_or_b32 exec_lo, exec_lo, s27
	s_and_saveexec_b32 s27, s13
	s_cbranch_execnz .LBB6_221
	s_branch .LBB6_222
.LBB6_1428:                             ;   in Loop: Header=BB6_130 Depth=2
	s_or_saveexec_b32 s27, s27
	v_mov_b32_e32 v2, 0x7f800001
	s_xor_b32 exec_lo, exec_lo, s27
	s_cbranch_execz .LBB6_234
.LBB6_1429:                             ;   in Loop: Header=BB6_130 Depth=2
	v_cmp_ne_u16_sdwa s28, v49, v84 src0_sel:BYTE_1 src1_sel:DWORD
	v_mov_b32_e32 v2, 0
	s_andn2_b32 s13, s13, exec_lo
	s_and_b32 s28, s28, exec_lo
	s_or_b32 s13, s13, s28
	s_or_b32 exec_lo, exec_lo, s27
	s_and_saveexec_b32 s27, s13
	s_cbranch_execnz .LBB6_235
	s_branch .LBB6_236
.LBB6_1430:                             ;   in Loop: Header=BB6_130 Depth=2
	s_or_saveexec_b32 s27, s27
	v_mov_b32_e32 v3, 0x7f800001
	s_xor_b32 exec_lo, exec_lo, s27
	s_cbranch_execz .LBB6_240
.LBB6_1431:                             ;   in Loop: Header=BB6_130 Depth=2
	v_cmp_ne_u16_sdwa s28, v37, v84 src0_sel:BYTE_1 src1_sel:DWORD
	v_mov_b32_e32 v3, 0
	s_andn2_b32 s13, s13, exec_lo
	s_and_b32 s28, s28, exec_lo
	s_or_b32 s13, s13, s28
	s_or_b32 exec_lo, exec_lo, s27
	s_and_saveexec_b32 s27, s13
	s_cbranch_execnz .LBB6_241
	s_branch .LBB6_242
.LBB6_1432:                             ;   in Loop: Header=BB6_130 Depth=2
	s_or_saveexec_b32 s27, s27
	v_mov_b32_e32 v2, 0x7f800001
	s_xor_b32 exec_lo, exec_lo, s27
	s_cbranch_execz .LBB6_254
.LBB6_1433:                             ;   in Loop: Header=BB6_130 Depth=2
	v_cmp_ne_u16_e32 vcc_lo, 0, v3
	v_mov_b32_e32 v2, 0
	s_andn2_b32 s13, s13, exec_lo
	s_and_b32 s28, vcc_lo, exec_lo
	s_or_b32 s13, s13, s28
	s_or_b32 exec_lo, exec_lo, s27
	s_and_saveexec_b32 s27, s13
	s_cbranch_execnz .LBB6_255
	s_branch .LBB6_256
.LBB6_1434:                             ;   in Loop: Header=BB6_130 Depth=2
	s_or_saveexec_b32 s27, s27
	v_mov_b32_e32 v3, 0x7f800001
	s_xor_b32 exec_lo, exec_lo, s27
	s_cbranch_execz .LBB6_260
.LBB6_1435:                             ;   in Loop: Header=BB6_130 Depth=2
	v_cmp_ne_u16_e32 vcc_lo, 0, v30
	v_mov_b32_e32 v3, 0
	s_andn2_b32 s13, s13, exec_lo
	s_and_b32 s28, vcc_lo, exec_lo
	s_or_b32 s13, s13, s28
	s_or_b32 exec_lo, exec_lo, s27
	s_and_saveexec_b32 s27, s13
	s_cbranch_execnz .LBB6_261
	s_branch .LBB6_262
.LBB6_1436:                             ;   in Loop: Header=BB6_130 Depth=2
	s_or_saveexec_b32 s27, s27
	v_mov_b32_e32 v2, 0x7f800001
	s_xor_b32 exec_lo, exec_lo, s27
	s_cbranch_execz .LBB6_274
.LBB6_1437:                             ;   in Loop: Header=BB6_130 Depth=2
	v_cmp_ne_u16_sdwa s28, v49, v84 src0_sel:BYTE_3 src1_sel:DWORD
	v_mov_b32_e32 v2, 0
	s_andn2_b32 s13, s13, exec_lo
	s_and_b32 s28, s28, exec_lo
	s_or_b32 s13, s13, s28
	s_or_b32 exec_lo, exec_lo, s27
	s_and_saveexec_b32 s27, s13
	s_cbranch_execnz .LBB6_275
	s_branch .LBB6_276
.LBB6_1438:                             ;   in Loop: Header=BB6_130 Depth=2
	s_or_saveexec_b32 s27, s27
	v_mov_b32_e32 v3, 0x7f800001
	s_xor_b32 exec_lo, exec_lo, s27
	s_cbranch_execz .LBB6_280
.LBB6_1439:                             ;   in Loop: Header=BB6_130 Depth=2
	v_cmp_ne_u16_sdwa s28, v37, v84 src0_sel:BYTE_3 src1_sel:DWORD
	v_mov_b32_e32 v3, 0
	s_andn2_b32 s13, s13, exec_lo
	s_and_b32 s28, s28, exec_lo
	s_or_b32 s13, s13, s28
	s_or_b32 exec_lo, exec_lo, s27
	s_and_saveexec_b32 s27, s13
	s_cbranch_execnz .LBB6_281
	s_branch .LBB6_282
.LBB6_1440:                             ;   in Loop: Header=BB6_130 Depth=2
	s_or_saveexec_b32 s27, s27
	v_mov_b32_e32 v2, 0x7f800001
	s_xor_b32 exec_lo, exec_lo, s27
	s_cbranch_execz .LBB6_294
.LBB6_1441:                             ;   in Loop: Header=BB6_130 Depth=2
	v_cmp_ne_u16_sdwa s28, v50, v84 src0_sel:BYTE_0 src1_sel:DWORD
	v_mov_b32_e32 v2, 0
	s_andn2_b32 s13, s13, exec_lo
	s_and_b32 s28, s28, exec_lo
	s_or_b32 s13, s13, s28
	s_or_b32 exec_lo, exec_lo, s27
	s_and_saveexec_b32 s27, s13
	s_cbranch_execnz .LBB6_295
	s_branch .LBB6_296
.LBB6_1442:                             ;   in Loop: Header=BB6_130 Depth=2
	s_or_saveexec_b32 s27, s27
	v_mov_b32_e32 v3, 0x7f800001
	s_xor_b32 exec_lo, exec_lo, s27
	s_cbranch_execz .LBB6_300
.LBB6_1443:                             ;   in Loop: Header=BB6_130 Depth=2
	v_cmp_ne_u16_sdwa s28, v38, v84 src0_sel:BYTE_0 src1_sel:DWORD
	v_mov_b32_e32 v3, 0
	s_andn2_b32 s13, s13, exec_lo
	s_and_b32 s28, s28, exec_lo
	s_or_b32 s13, s13, s28
	s_or_b32 exec_lo, exec_lo, s27
	s_and_saveexec_b32 s27, s13
	s_cbranch_execnz .LBB6_301
	s_branch .LBB6_302
.LBB6_1444:                             ;   in Loop: Header=BB6_130 Depth=2
	s_or_saveexec_b32 s27, s27
	v_mov_b32_e32 v2, 0x7f800001
	s_xor_b32 exec_lo, exec_lo, s27
	s_cbranch_execz .LBB6_314
.LBB6_1445:                             ;   in Loop: Header=BB6_130 Depth=2
	v_cmp_ne_u16_sdwa s28, v50, v84 src0_sel:BYTE_1 src1_sel:DWORD
	v_mov_b32_e32 v2, 0
	s_andn2_b32 s13, s13, exec_lo
	s_and_b32 s28, s28, exec_lo
	s_or_b32 s13, s13, s28
	s_or_b32 exec_lo, exec_lo, s27
	s_and_saveexec_b32 s27, s13
	s_cbranch_execnz .LBB6_315
	s_branch .LBB6_316
.LBB6_1446:                             ;   in Loop: Header=BB6_130 Depth=2
	s_or_saveexec_b32 s27, s27
	v_mov_b32_e32 v3, 0x7f800001
	s_xor_b32 exec_lo, exec_lo, s27
	s_cbranch_execz .LBB6_320
.LBB6_1447:                             ;   in Loop: Header=BB6_130 Depth=2
	v_cmp_ne_u16_sdwa s28, v38, v84 src0_sel:BYTE_1 src1_sel:DWORD
	v_mov_b32_e32 v3, 0
	s_andn2_b32 s13, s13, exec_lo
	s_and_b32 s28, s28, exec_lo
	s_or_b32 s13, s13, s28
	s_or_b32 exec_lo, exec_lo, s27
	s_and_saveexec_b32 s27, s13
	s_cbranch_execnz .LBB6_321
	s_branch .LBB6_322
.LBB6_1448:                             ;   in Loop: Header=BB6_130 Depth=2
	s_or_saveexec_b32 s27, s27
	v_mov_b32_e32 v2, 0x7f800001
	s_xor_b32 exec_lo, exec_lo, s27
	s_cbranch_execz .LBB6_334
.LBB6_1449:                             ;   in Loop: Header=BB6_130 Depth=2
	v_cmp_ne_u16_e32 vcc_lo, 0, v3
	v_mov_b32_e32 v2, 0
	s_andn2_b32 s13, s13, exec_lo
	s_and_b32 s28, vcc_lo, exec_lo
	s_or_b32 s13, s13, s28
	s_or_b32 exec_lo, exec_lo, s27
	s_and_saveexec_b32 s27, s13
	s_cbranch_execnz .LBB6_335
	s_branch .LBB6_336
.LBB6_1450:                             ;   in Loop: Header=BB6_130 Depth=2
	s_or_saveexec_b32 s27, s27
	v_mov_b32_e32 v3, 0x7f800001
	s_xor_b32 exec_lo, exec_lo, s27
	s_cbranch_execz .LBB6_340
.LBB6_1451:                             ;   in Loop: Header=BB6_130 Depth=2
	v_cmp_ne_u16_e32 vcc_lo, 0, v30
	v_mov_b32_e32 v3, 0
	s_andn2_b32 s13, s13, exec_lo
	s_and_b32 s28, vcc_lo, exec_lo
	s_or_b32 s13, s13, s28
	s_or_b32 exec_lo, exec_lo, s27
	s_and_saveexec_b32 s27, s13
	s_cbranch_execnz .LBB6_341
	s_branch .LBB6_342
.LBB6_1452:                             ;   in Loop: Header=BB6_130 Depth=2
	s_or_saveexec_b32 s27, s27
	v_mov_b32_e32 v2, 0x7f800001
	s_xor_b32 exec_lo, exec_lo, s27
	s_cbranch_execz .LBB6_354
.LBB6_1453:                             ;   in Loop: Header=BB6_130 Depth=2
	v_cmp_ne_u16_sdwa s28, v50, v84 src0_sel:BYTE_3 src1_sel:DWORD
	v_mov_b32_e32 v2, 0
	s_andn2_b32 s13, s13, exec_lo
	s_and_b32 s28, s28, exec_lo
	s_or_b32 s13, s13, s28
	s_or_b32 exec_lo, exec_lo, s27
	s_and_saveexec_b32 s27, s13
	s_cbranch_execnz .LBB6_355
	s_branch .LBB6_356
.LBB6_1454:                             ;   in Loop: Header=BB6_130 Depth=2
	s_or_saveexec_b32 s27, s27
	v_mov_b32_e32 v3, 0x7f800001
	s_xor_b32 exec_lo, exec_lo, s27
	s_cbranch_execz .LBB6_360
.LBB6_1455:                             ;   in Loop: Header=BB6_130 Depth=2
	v_cmp_ne_u16_sdwa s28, v38, v84 src0_sel:BYTE_3 src1_sel:DWORD
	v_mov_b32_e32 v3, 0
	s_andn2_b32 s13, s13, exec_lo
	s_and_b32 s28, s28, exec_lo
	s_or_b32 s13, s13, s28
	s_or_b32 exec_lo, exec_lo, s27
	s_and_saveexec_b32 s27, s13
	s_cbranch_execnz .LBB6_361
	s_branch .LBB6_362
.LBB6_1456:                             ;   in Loop: Header=BB6_130 Depth=2
	s_or_saveexec_b32 s27, s27
	v_mov_b32_e32 v2, 0x7f800001
	s_xor_b32 exec_lo, exec_lo, s27
	s_cbranch_execz .LBB6_374
.LBB6_1457:                             ;   in Loop: Header=BB6_130 Depth=2
	v_cmp_ne_u16_sdwa s28, v51, v84 src0_sel:BYTE_0 src1_sel:DWORD
	v_mov_b32_e32 v2, 0
	s_andn2_b32 s13, s13, exec_lo
	s_and_b32 s28, s28, exec_lo
	s_or_b32 s13, s13, s28
	s_or_b32 exec_lo, exec_lo, s27
	s_and_saveexec_b32 s27, s13
	s_cbranch_execnz .LBB6_375
	s_branch .LBB6_376
.LBB6_1458:                             ;   in Loop: Header=BB6_130 Depth=2
	s_or_saveexec_b32 s27, s27
	v_mov_b32_e32 v3, 0x7f800001
	s_xor_b32 exec_lo, exec_lo, s27
	s_cbranch_execz .LBB6_380
.LBB6_1459:                             ;   in Loop: Header=BB6_130 Depth=2
	v_cmp_ne_u16_sdwa s28, v39, v84 src0_sel:BYTE_0 src1_sel:DWORD
	v_mov_b32_e32 v3, 0
	s_andn2_b32 s13, s13, exec_lo
	s_and_b32 s28, s28, exec_lo
	s_or_b32 s13, s13, s28
	s_or_b32 exec_lo, exec_lo, s27
	s_and_saveexec_b32 s27, s13
	s_cbranch_execnz .LBB6_381
	s_branch .LBB6_382
.LBB6_1460:                             ;   in Loop: Header=BB6_130 Depth=2
	s_or_saveexec_b32 s27, s27
	v_mov_b32_e32 v2, 0x7f800001
	s_xor_b32 exec_lo, exec_lo, s27
	s_cbranch_execz .LBB6_394
.LBB6_1461:                             ;   in Loop: Header=BB6_130 Depth=2
	v_cmp_ne_u16_sdwa s28, v51, v84 src0_sel:BYTE_1 src1_sel:DWORD
	v_mov_b32_e32 v2, 0
	s_andn2_b32 s13, s13, exec_lo
	s_and_b32 s28, s28, exec_lo
	s_or_b32 s13, s13, s28
	s_or_b32 exec_lo, exec_lo, s27
	s_and_saveexec_b32 s27, s13
	s_cbranch_execnz .LBB6_395
	s_branch .LBB6_396
.LBB6_1462:                             ;   in Loop: Header=BB6_130 Depth=2
	s_or_saveexec_b32 s27, s27
	v_mov_b32_e32 v3, 0x7f800001
	s_xor_b32 exec_lo, exec_lo, s27
	s_cbranch_execz .LBB6_400
.LBB6_1463:                             ;   in Loop: Header=BB6_130 Depth=2
	v_cmp_ne_u16_sdwa s28, v39, v84 src0_sel:BYTE_1 src1_sel:DWORD
	v_mov_b32_e32 v3, 0
	s_andn2_b32 s13, s13, exec_lo
	s_and_b32 s28, s28, exec_lo
	s_or_b32 s13, s13, s28
	s_or_b32 exec_lo, exec_lo, s27
	s_and_saveexec_b32 s27, s13
	s_cbranch_execnz .LBB6_401
	s_branch .LBB6_402
.LBB6_1464:                             ;   in Loop: Header=BB6_130 Depth=2
	s_or_saveexec_b32 s27, s27
	v_mov_b32_e32 v2, 0x7f800001
	s_xor_b32 exec_lo, exec_lo, s27
	s_cbranch_execz .LBB6_414
.LBB6_1465:                             ;   in Loop: Header=BB6_130 Depth=2
	v_cmp_ne_u16_e32 vcc_lo, 0, v3
	v_mov_b32_e32 v2, 0
	s_andn2_b32 s13, s13, exec_lo
	s_and_b32 s28, vcc_lo, exec_lo
	s_or_b32 s13, s13, s28
	s_or_b32 exec_lo, exec_lo, s27
	s_and_saveexec_b32 s27, s13
	s_cbranch_execnz .LBB6_415
	s_branch .LBB6_416
.LBB6_1466:                             ;   in Loop: Header=BB6_130 Depth=2
	s_or_saveexec_b32 s27, s27
	v_mov_b32_e32 v3, 0x7f800001
	s_xor_b32 exec_lo, exec_lo, s27
	s_cbranch_execz .LBB6_420
.LBB6_1467:                             ;   in Loop: Header=BB6_130 Depth=2
	v_cmp_ne_u16_e32 vcc_lo, 0, v30
	v_mov_b32_e32 v3, 0
	s_andn2_b32 s13, s13, exec_lo
	s_and_b32 s28, vcc_lo, exec_lo
	s_or_b32 s13, s13, s28
	s_or_b32 exec_lo, exec_lo, s27
	s_and_saveexec_b32 s27, s13
	s_cbranch_execnz .LBB6_421
	s_branch .LBB6_422
.LBB6_1468:                             ;   in Loop: Header=BB6_130 Depth=2
	s_or_saveexec_b32 s27, s27
	v_mov_b32_e32 v2, 0x7f800001
	s_xor_b32 exec_lo, exec_lo, s27
	s_cbranch_execz .LBB6_434
.LBB6_1469:                             ;   in Loop: Header=BB6_130 Depth=2
	v_cmp_ne_u16_sdwa s28, v51, v84 src0_sel:BYTE_3 src1_sel:DWORD
	v_mov_b32_e32 v2, 0
	s_andn2_b32 s13, s13, exec_lo
	s_and_b32 s28, s28, exec_lo
	s_or_b32 s13, s13, s28
	s_or_b32 exec_lo, exec_lo, s27
	s_and_saveexec_b32 s27, s13
	s_cbranch_execnz .LBB6_435
	s_branch .LBB6_436
.LBB6_1470:                             ;   in Loop: Header=BB6_130 Depth=2
	s_or_saveexec_b32 s27, s27
	v_mov_b32_e32 v3, 0x7f800001
	s_xor_b32 exec_lo, exec_lo, s27
	s_cbranch_execz .LBB6_440
.LBB6_1471:                             ;   in Loop: Header=BB6_130 Depth=2
	v_cmp_ne_u16_sdwa s28, v39, v84 src0_sel:BYTE_3 src1_sel:DWORD
	v_mov_b32_e32 v3, 0
	s_andn2_b32 s13, s13, exec_lo
	s_and_b32 s28, s28, exec_lo
	s_or_b32 s13, s13, s28
	s_or_b32 exec_lo, exec_lo, s27
	s_and_saveexec_b32 s27, s13
	s_cbranch_execnz .LBB6_441
	s_branch .LBB6_442
.LBB6_1472:                             ;   in Loop: Header=BB6_130 Depth=2
	s_or_saveexec_b32 s27, s27
	v_mov_b32_e32 v2, 0x7f800001
	s_xor_b32 exec_lo, exec_lo, s27
	s_cbranch_execz .LBB6_454
.LBB6_1473:                             ;   in Loop: Header=BB6_130 Depth=2
	v_cmp_ne_u16_sdwa s28, v32, v84 src0_sel:BYTE_0 src1_sel:DWORD
	v_mov_b32_e32 v2, 0
	s_andn2_b32 s13, s13, exec_lo
	s_and_b32 s28, s28, exec_lo
	s_or_b32 s13, s13, s28
	s_or_b32 exec_lo, exec_lo, s27
	s_and_saveexec_b32 s27, s13
	s_cbranch_execnz .LBB6_455
	s_branch .LBB6_456
.LBB6_1474:                             ;   in Loop: Header=BB6_130 Depth=2
	s_or_saveexec_b32 s27, s27
	v_mov_b32_e32 v3, 0x7f800001
	s_xor_b32 exec_lo, exec_lo, s27
	s_cbranch_execz .LBB6_460
.LBB6_1475:                             ;   in Loop: Header=BB6_130 Depth=2
	v_cmp_ne_u16_sdwa s28, v26, v84 src0_sel:BYTE_0 src1_sel:DWORD
	v_mov_b32_e32 v3, 0
	s_andn2_b32 s13, s13, exec_lo
	s_and_b32 s28, s28, exec_lo
	s_or_b32 s13, s13, s28
	s_or_b32 exec_lo, exec_lo, s27
	s_and_saveexec_b32 s27, s13
	s_cbranch_execnz .LBB6_461
	s_branch .LBB6_462
.LBB6_1476:                             ;   in Loop: Header=BB6_130 Depth=2
	s_or_saveexec_b32 s27, s27
	v_mov_b32_e32 v2, 0x7f800001
	s_xor_b32 exec_lo, exec_lo, s27
	s_cbranch_execz .LBB6_474
.LBB6_1477:                             ;   in Loop: Header=BB6_130 Depth=2
	v_cmp_ne_u16_sdwa s28, v32, v84 src0_sel:BYTE_1 src1_sel:DWORD
	v_mov_b32_e32 v2, 0
	s_andn2_b32 s13, s13, exec_lo
	s_and_b32 s28, s28, exec_lo
	s_or_b32 s13, s13, s28
	s_or_b32 exec_lo, exec_lo, s27
	s_and_saveexec_b32 s27, s13
	s_cbranch_execnz .LBB6_475
	s_branch .LBB6_476
.LBB6_1478:                             ;   in Loop: Header=BB6_130 Depth=2
	s_or_saveexec_b32 s27, s27
	v_mov_b32_e32 v3, 0x7f800001
	s_xor_b32 exec_lo, exec_lo, s27
	s_cbranch_execz .LBB6_480
.LBB6_1479:                             ;   in Loop: Header=BB6_130 Depth=2
	v_cmp_ne_u16_sdwa s28, v26, v84 src0_sel:BYTE_1 src1_sel:DWORD
	v_mov_b32_e32 v3, 0
	s_andn2_b32 s13, s13, exec_lo
	s_and_b32 s28, s28, exec_lo
	s_or_b32 s13, s13, s28
	s_or_b32 exec_lo, exec_lo, s27
	s_and_saveexec_b32 s27, s13
	s_cbranch_execnz .LBB6_481
	s_branch .LBB6_482
.LBB6_1480:                             ;   in Loop: Header=BB6_130 Depth=2
	s_or_saveexec_b32 s27, s27
	v_mov_b32_e32 v2, 0x7f800001
	s_xor_b32 exec_lo, exec_lo, s27
	s_cbranch_execz .LBB6_494
.LBB6_1481:                             ;   in Loop: Header=BB6_130 Depth=2
	v_cmp_ne_u16_e32 vcc_lo, 0, v3
	v_mov_b32_e32 v2, 0
	s_andn2_b32 s13, s13, exec_lo
	s_and_b32 s28, vcc_lo, exec_lo
	s_or_b32 s13, s13, s28
	s_or_b32 exec_lo, exec_lo, s27
	s_and_saveexec_b32 s27, s13
	s_cbranch_execnz .LBB6_495
	s_branch .LBB6_496
.LBB6_1482:                             ;   in Loop: Header=BB6_130 Depth=2
	s_or_saveexec_b32 s27, s27
	v_mov_b32_e32 v3, 0x7f800001
	s_xor_b32 exec_lo, exec_lo, s27
	s_cbranch_execz .LBB6_500
.LBB6_1483:                             ;   in Loop: Header=BB6_130 Depth=2
	v_cmp_ne_u16_e32 vcc_lo, 0, v30
	v_mov_b32_e32 v3, 0
	s_andn2_b32 s13, s13, exec_lo
	s_and_b32 s28, vcc_lo, exec_lo
	s_or_b32 s13, s13, s28
	s_or_b32 exec_lo, exec_lo, s27
	s_and_saveexec_b32 s27, s13
	s_cbranch_execnz .LBB6_501
	s_branch .LBB6_502
.LBB6_1484:                             ;   in Loop: Header=BB6_130 Depth=2
	s_or_saveexec_b32 s27, s27
	v_mov_b32_e32 v2, 0x7f800001
	s_xor_b32 exec_lo, exec_lo, s27
	s_cbranch_execz .LBB6_514
.LBB6_1485:                             ;   in Loop: Header=BB6_130 Depth=2
	v_cmp_ne_u16_sdwa s28, v32, v84 src0_sel:BYTE_3 src1_sel:DWORD
	v_mov_b32_e32 v2, 0
	s_andn2_b32 s13, s13, exec_lo
	s_and_b32 s28, s28, exec_lo
	s_or_b32 s13, s13, s28
	s_or_b32 exec_lo, exec_lo, s27
	s_and_saveexec_b32 s27, s13
	s_cbranch_execnz .LBB6_515
	s_branch .LBB6_516
.LBB6_1486:                             ;   in Loop: Header=BB6_130 Depth=2
	s_or_saveexec_b32 s27, s27
	v_mov_b32_e32 v3, 0x7f800001
	s_xor_b32 exec_lo, exec_lo, s27
	s_cbranch_execz .LBB6_520
.LBB6_1487:                             ;   in Loop: Header=BB6_130 Depth=2
	v_cmp_ne_u16_sdwa s28, v26, v84 src0_sel:BYTE_3 src1_sel:DWORD
	v_mov_b32_e32 v3, 0
	s_andn2_b32 s13, s13, exec_lo
	s_and_b32 s28, s28, exec_lo
	s_or_b32 s13, s13, s28
	s_or_b32 exec_lo, exec_lo, s27
	s_and_saveexec_b32 s27, s13
	s_cbranch_execnz .LBB6_521
	s_branch .LBB6_522
.LBB6_1488:                             ;   in Loop: Header=BB6_130 Depth=2
	s_or_saveexec_b32 s27, s27
	v_mov_b32_e32 v2, 0x7f800001
	s_xor_b32 exec_lo, exec_lo, s27
	s_cbranch_execz .LBB6_534
.LBB6_1489:                             ;   in Loop: Header=BB6_130 Depth=2
	v_cmp_ne_u16_sdwa s28, v33, v84 src0_sel:BYTE_0 src1_sel:DWORD
	v_mov_b32_e32 v2, 0
	s_andn2_b32 s13, s13, exec_lo
	s_and_b32 s28, s28, exec_lo
	s_or_b32 s13, s13, s28
	s_or_b32 exec_lo, exec_lo, s27
	s_and_saveexec_b32 s27, s13
	s_cbranch_execnz .LBB6_535
	s_branch .LBB6_536
.LBB6_1490:                             ;   in Loop: Header=BB6_130 Depth=2
	s_or_saveexec_b32 s27, s27
	v_mov_b32_e32 v3, 0x7f800001
	s_xor_b32 exec_lo, exec_lo, s27
	s_cbranch_execz .LBB6_540
.LBB6_1491:                             ;   in Loop: Header=BB6_130 Depth=2
	v_cmp_ne_u16_sdwa s28, v27, v84 src0_sel:BYTE_0 src1_sel:DWORD
	v_mov_b32_e32 v3, 0
	s_andn2_b32 s13, s13, exec_lo
	s_and_b32 s28, s28, exec_lo
	s_or_b32 s13, s13, s28
	s_or_b32 exec_lo, exec_lo, s27
	s_and_saveexec_b32 s27, s13
	s_cbranch_execnz .LBB6_541
	s_branch .LBB6_542
.LBB6_1492:                             ;   in Loop: Header=BB6_130 Depth=2
	s_or_saveexec_b32 s27, s27
	v_mov_b32_e32 v2, 0x7f800001
	s_xor_b32 exec_lo, exec_lo, s27
	s_cbranch_execz .LBB6_554
.LBB6_1493:                             ;   in Loop: Header=BB6_130 Depth=2
	v_cmp_ne_u16_sdwa s28, v33, v84 src0_sel:BYTE_1 src1_sel:DWORD
	v_mov_b32_e32 v2, 0
	s_andn2_b32 s13, s13, exec_lo
	s_and_b32 s28, s28, exec_lo
	s_or_b32 s13, s13, s28
	s_or_b32 exec_lo, exec_lo, s27
	s_and_saveexec_b32 s27, s13
	s_cbranch_execnz .LBB6_555
	s_branch .LBB6_556
.LBB6_1494:                             ;   in Loop: Header=BB6_130 Depth=2
	s_or_saveexec_b32 s27, s27
	v_mov_b32_e32 v3, 0x7f800001
	s_xor_b32 exec_lo, exec_lo, s27
	s_cbranch_execz .LBB6_560
.LBB6_1495:                             ;   in Loop: Header=BB6_130 Depth=2
	v_cmp_ne_u16_sdwa s28, v27, v84 src0_sel:BYTE_1 src1_sel:DWORD
	v_mov_b32_e32 v3, 0
	s_andn2_b32 s13, s13, exec_lo
	s_and_b32 s28, s28, exec_lo
	s_or_b32 s13, s13, s28
	s_or_b32 exec_lo, exec_lo, s27
	s_and_saveexec_b32 s27, s13
	s_cbranch_execnz .LBB6_561
	s_branch .LBB6_562
.LBB6_1496:                             ;   in Loop: Header=BB6_130 Depth=2
	s_or_saveexec_b32 s27, s27
	v_mov_b32_e32 v2, 0x7f800001
	s_xor_b32 exec_lo, exec_lo, s27
	s_cbranch_execz .LBB6_574
.LBB6_1497:                             ;   in Loop: Header=BB6_130 Depth=2
	v_cmp_ne_u16_e32 vcc_lo, 0, v3
	v_mov_b32_e32 v2, 0
	s_andn2_b32 s13, s13, exec_lo
	s_and_b32 s28, vcc_lo, exec_lo
	s_or_b32 s13, s13, s28
	s_or_b32 exec_lo, exec_lo, s27
	s_and_saveexec_b32 s27, s13
	s_cbranch_execnz .LBB6_575
	s_branch .LBB6_576
.LBB6_1498:                             ;   in Loop: Header=BB6_130 Depth=2
	s_or_saveexec_b32 s27, s27
	v_mov_b32_e32 v3, 0x7f800001
	s_xor_b32 exec_lo, exec_lo, s27
	s_cbranch_execz .LBB6_580
.LBB6_1499:                             ;   in Loop: Header=BB6_130 Depth=2
	v_cmp_ne_u16_e32 vcc_lo, 0, v30
	v_mov_b32_e32 v3, 0
	s_andn2_b32 s13, s13, exec_lo
	s_and_b32 s28, vcc_lo, exec_lo
	s_or_b32 s13, s13, s28
	s_or_b32 exec_lo, exec_lo, s27
	s_and_saveexec_b32 s27, s13
	s_cbranch_execnz .LBB6_581
	s_branch .LBB6_582
.LBB6_1500:                             ;   in Loop: Header=BB6_130 Depth=2
	s_or_saveexec_b32 s27, s27
	v_mov_b32_e32 v2, 0x7f800001
	s_xor_b32 exec_lo, exec_lo, s27
	s_cbranch_execz .LBB6_594
.LBB6_1501:                             ;   in Loop: Header=BB6_130 Depth=2
	v_cmp_ne_u16_sdwa s28, v33, v84 src0_sel:BYTE_3 src1_sel:DWORD
	v_mov_b32_e32 v2, 0
	s_andn2_b32 s13, s13, exec_lo
	s_and_b32 s28, s28, exec_lo
	s_or_b32 s13, s13, s28
	s_or_b32 exec_lo, exec_lo, s27
	s_and_saveexec_b32 s27, s13
	s_cbranch_execnz .LBB6_595
	s_branch .LBB6_596
.LBB6_1502:                             ;   in Loop: Header=BB6_130 Depth=2
	s_or_saveexec_b32 s27, s27
	v_mov_b32_e32 v3, 0x7f800001
	s_xor_b32 exec_lo, exec_lo, s27
	s_cbranch_execz .LBB6_600
.LBB6_1503:                             ;   in Loop: Header=BB6_130 Depth=2
	v_cmp_ne_u16_sdwa s28, v27, v84 src0_sel:BYTE_3 src1_sel:DWORD
	v_mov_b32_e32 v3, 0
	s_andn2_b32 s13, s13, exec_lo
	s_and_b32 s28, s28, exec_lo
	s_or_b32 s13, s13, s28
	s_or_b32 exec_lo, exec_lo, s27
	s_and_saveexec_b32 s27, s13
	s_cbranch_execnz .LBB6_601
	s_branch .LBB6_602
.LBB6_1504:                             ;   in Loop: Header=BB6_130 Depth=2
	s_or_saveexec_b32 s27, s27
	v_mov_b32_e32 v2, 0x7f800001
	s_xor_b32 exec_lo, exec_lo, s27
	s_cbranch_execz .LBB6_614
.LBB6_1505:                             ;   in Loop: Header=BB6_130 Depth=2
	v_cmp_ne_u16_sdwa s28, v34, v84 src0_sel:BYTE_0 src1_sel:DWORD
	v_mov_b32_e32 v2, 0
	s_andn2_b32 s13, s13, exec_lo
	s_and_b32 s28, s28, exec_lo
	s_or_b32 s13, s13, s28
	s_or_b32 exec_lo, exec_lo, s27
	s_and_saveexec_b32 s27, s13
	s_cbranch_execnz .LBB6_615
	s_branch .LBB6_616
.LBB6_1506:                             ;   in Loop: Header=BB6_130 Depth=2
	s_or_saveexec_b32 s27, s27
	v_mov_b32_e32 v3, 0x7f800001
	s_xor_b32 exec_lo, exec_lo, s27
	s_cbranch_execz .LBB6_620
.LBB6_1507:                             ;   in Loop: Header=BB6_130 Depth=2
	v_cmp_ne_u16_sdwa s28, v28, v84 src0_sel:BYTE_0 src1_sel:DWORD
	v_mov_b32_e32 v3, 0
	s_andn2_b32 s13, s13, exec_lo
	s_and_b32 s28, s28, exec_lo
	s_or_b32 s13, s13, s28
	s_or_b32 exec_lo, exec_lo, s27
	s_and_saveexec_b32 s27, s13
	s_cbranch_execnz .LBB6_621
	s_branch .LBB6_622
.LBB6_1508:                             ;   in Loop: Header=BB6_130 Depth=2
	s_or_saveexec_b32 s27, s27
	v_mov_b32_e32 v2, 0x7f800001
	s_xor_b32 exec_lo, exec_lo, s27
	s_cbranch_execz .LBB6_634
.LBB6_1509:                             ;   in Loop: Header=BB6_130 Depth=2
	v_cmp_ne_u16_sdwa s28, v34, v84 src0_sel:BYTE_1 src1_sel:DWORD
	v_mov_b32_e32 v2, 0
	s_andn2_b32 s13, s13, exec_lo
	s_and_b32 s28, s28, exec_lo
	s_or_b32 s13, s13, s28
	s_or_b32 exec_lo, exec_lo, s27
	s_and_saveexec_b32 s27, s13
	s_cbranch_execnz .LBB6_635
	s_branch .LBB6_636
.LBB6_1510:                             ;   in Loop: Header=BB6_130 Depth=2
	s_or_saveexec_b32 s27, s27
	v_mov_b32_e32 v3, 0x7f800001
	s_xor_b32 exec_lo, exec_lo, s27
	s_cbranch_execz .LBB6_640
.LBB6_1511:                             ;   in Loop: Header=BB6_130 Depth=2
	v_cmp_ne_u16_sdwa s28, v28, v84 src0_sel:BYTE_1 src1_sel:DWORD
	v_mov_b32_e32 v3, 0
	s_andn2_b32 s13, s13, exec_lo
	s_and_b32 s28, s28, exec_lo
	s_or_b32 s13, s13, s28
	s_or_b32 exec_lo, exec_lo, s27
	s_and_saveexec_b32 s27, s13
	s_cbranch_execnz .LBB6_641
	s_branch .LBB6_642
.LBB6_1512:                             ;   in Loop: Header=BB6_130 Depth=2
	s_or_saveexec_b32 s27, s27
	v_mov_b32_e32 v2, 0x7f800001
	s_xor_b32 exec_lo, exec_lo, s27
	s_cbranch_execz .LBB6_654
.LBB6_1513:                             ;   in Loop: Header=BB6_130 Depth=2
	v_cmp_ne_u16_e32 vcc_lo, 0, v3
	v_mov_b32_e32 v2, 0
	s_andn2_b32 s13, s13, exec_lo
	s_and_b32 s28, vcc_lo, exec_lo
	s_or_b32 s13, s13, s28
	s_or_b32 exec_lo, exec_lo, s27
	s_and_saveexec_b32 s27, s13
	s_cbranch_execnz .LBB6_655
	s_branch .LBB6_656
.LBB6_1514:                             ;   in Loop: Header=BB6_130 Depth=2
	s_or_saveexec_b32 s27, s27
	v_mov_b32_e32 v3, 0x7f800001
	s_xor_b32 exec_lo, exec_lo, s27
	s_cbranch_execz .LBB6_660
.LBB6_1515:                             ;   in Loop: Header=BB6_130 Depth=2
	v_cmp_ne_u16_e32 vcc_lo, 0, v30
	v_mov_b32_e32 v3, 0
	s_andn2_b32 s13, s13, exec_lo
	s_and_b32 s28, vcc_lo, exec_lo
	s_or_b32 s13, s13, s28
	s_or_b32 exec_lo, exec_lo, s27
	s_and_saveexec_b32 s27, s13
	s_cbranch_execnz .LBB6_661
	s_branch .LBB6_662
.LBB6_1516:                             ;   in Loop: Header=BB6_130 Depth=2
	s_or_saveexec_b32 s27, s27
	v_mov_b32_e32 v2, 0x7f800001
	s_xor_b32 exec_lo, exec_lo, s27
	s_cbranch_execz .LBB6_674
.LBB6_1517:                             ;   in Loop: Header=BB6_130 Depth=2
	v_cmp_ne_u16_sdwa s28, v34, v84 src0_sel:BYTE_3 src1_sel:DWORD
	v_mov_b32_e32 v2, 0
	s_andn2_b32 s13, s13, exec_lo
	s_and_b32 s28, s28, exec_lo
	s_or_b32 s13, s13, s28
	s_or_b32 exec_lo, exec_lo, s27
	s_and_saveexec_b32 s27, s13
	s_cbranch_execnz .LBB6_675
	s_branch .LBB6_676
.LBB6_1518:                             ;   in Loop: Header=BB6_130 Depth=2
	s_or_saveexec_b32 s27, s27
	v_mov_b32_e32 v3, 0x7f800001
	s_xor_b32 exec_lo, exec_lo, s27
	s_cbranch_execz .LBB6_680
.LBB6_1519:                             ;   in Loop: Header=BB6_130 Depth=2
	v_cmp_ne_u16_sdwa s28, v28, v84 src0_sel:BYTE_3 src1_sel:DWORD
	v_mov_b32_e32 v3, 0
	s_andn2_b32 s13, s13, exec_lo
	s_and_b32 s28, s28, exec_lo
	s_or_b32 s13, s13, s28
	s_or_b32 exec_lo, exec_lo, s27
	s_and_saveexec_b32 s27, s13
	s_cbranch_execnz .LBB6_681
	s_branch .LBB6_682
.LBB6_1520:                             ;   in Loop: Header=BB6_130 Depth=2
	s_or_saveexec_b32 s27, s27
	v_mov_b32_e32 v2, 0x7f800001
	s_xor_b32 exec_lo, exec_lo, s27
	s_cbranch_execz .LBB6_694
.LBB6_1521:                             ;   in Loop: Header=BB6_130 Depth=2
	v_cmp_ne_u16_sdwa s28, v35, v84 src0_sel:BYTE_0 src1_sel:DWORD
	v_mov_b32_e32 v2, 0
	s_andn2_b32 s13, s13, exec_lo
	s_and_b32 s28, s28, exec_lo
	s_or_b32 s13, s13, s28
	s_or_b32 exec_lo, exec_lo, s27
	s_and_saveexec_b32 s27, s13
	s_cbranch_execnz .LBB6_695
	s_branch .LBB6_696
.LBB6_1522:                             ;   in Loop: Header=BB6_130 Depth=2
	s_or_saveexec_b32 s27, s27
	v_mov_b32_e32 v3, 0x7f800001
	s_xor_b32 exec_lo, exec_lo, s27
	s_cbranch_execz .LBB6_700
.LBB6_1523:                             ;   in Loop: Header=BB6_130 Depth=2
	v_cmp_ne_u16_sdwa s28, v29, v84 src0_sel:BYTE_0 src1_sel:DWORD
	v_mov_b32_e32 v3, 0
	s_andn2_b32 s13, s13, exec_lo
	s_and_b32 s28, s28, exec_lo
	s_or_b32 s13, s13, s28
	s_or_b32 exec_lo, exec_lo, s27
	s_and_saveexec_b32 s27, s13
	s_cbranch_execnz .LBB6_701
	s_branch .LBB6_702
.LBB6_1524:                             ;   in Loop: Header=BB6_130 Depth=2
	s_or_saveexec_b32 s27, s27
	v_mov_b32_e32 v2, 0x7f800001
	s_xor_b32 exec_lo, exec_lo, s27
	s_cbranch_execz .LBB6_714
.LBB6_1525:                             ;   in Loop: Header=BB6_130 Depth=2
	v_cmp_ne_u16_sdwa s28, v35, v84 src0_sel:BYTE_1 src1_sel:DWORD
	v_mov_b32_e32 v2, 0
	s_andn2_b32 s13, s13, exec_lo
	s_and_b32 s28, s28, exec_lo
	s_or_b32 s13, s13, s28
	s_or_b32 exec_lo, exec_lo, s27
	s_and_saveexec_b32 s27, s13
	s_cbranch_execnz .LBB6_715
	s_branch .LBB6_716
.LBB6_1526:                             ;   in Loop: Header=BB6_130 Depth=2
	s_or_saveexec_b32 s27, s27
	v_mov_b32_e32 v3, 0x7f800001
	s_xor_b32 exec_lo, exec_lo, s27
	s_cbranch_execz .LBB6_720
.LBB6_1527:                             ;   in Loop: Header=BB6_130 Depth=2
	v_cmp_ne_u16_sdwa s28, v29, v84 src0_sel:BYTE_1 src1_sel:DWORD
	v_mov_b32_e32 v3, 0
	s_andn2_b32 s13, s13, exec_lo
	s_and_b32 s28, s28, exec_lo
	s_or_b32 s13, s13, s28
	s_or_b32 exec_lo, exec_lo, s27
	s_and_saveexec_b32 s27, s13
	s_cbranch_execnz .LBB6_721
	s_branch .LBB6_722
.LBB6_1528:                             ;   in Loop: Header=BB6_130 Depth=2
	s_or_saveexec_b32 s27, s27
	v_mov_b32_e32 v2, 0x7f800001
	s_xor_b32 exec_lo, exec_lo, s27
	s_cbranch_execz .LBB6_734
.LBB6_1529:                             ;   in Loop: Header=BB6_130 Depth=2
	v_cmp_ne_u16_e32 vcc_lo, 0, v3
	v_mov_b32_e32 v2, 0
	s_andn2_b32 s13, s13, exec_lo
	s_and_b32 s28, vcc_lo, exec_lo
	s_or_b32 s13, s13, s28
	s_or_b32 exec_lo, exec_lo, s27
	s_and_saveexec_b32 s27, s13
	s_cbranch_execnz .LBB6_735
	s_branch .LBB6_736
.LBB6_1530:                             ;   in Loop: Header=BB6_130 Depth=2
	s_or_saveexec_b32 s27, s27
	v_mov_b32_e32 v3, 0x7f800001
	s_xor_b32 exec_lo, exec_lo, s27
	s_cbranch_execz .LBB6_740
.LBB6_1531:                             ;   in Loop: Header=BB6_130 Depth=2
	v_cmp_ne_u16_e32 vcc_lo, 0, v30
	v_mov_b32_e32 v3, 0
	s_andn2_b32 s13, s13, exec_lo
	s_and_b32 s28, vcc_lo, exec_lo
	s_or_b32 s13, s13, s28
	s_or_b32 exec_lo, exec_lo, s27
	s_and_saveexec_b32 s27, s13
	s_cbranch_execnz .LBB6_741
	s_branch .LBB6_742
.LBB6_1532:                             ;   in Loop: Header=BB6_130 Depth=2
	s_or_saveexec_b32 s27, s27
	v_mov_b32_e32 v2, 0x7f800001
	s_xor_b32 exec_lo, exec_lo, s27
	s_cbranch_execz .LBB6_754
.LBB6_1533:                             ;   in Loop: Header=BB6_130 Depth=2
	v_cmp_ne_u16_sdwa s28, v35, v84 src0_sel:BYTE_3 src1_sel:DWORD
	v_mov_b32_e32 v2, 0
	s_andn2_b32 s13, s13, exec_lo
	s_and_b32 s28, s28, exec_lo
	s_or_b32 s13, s13, s28
	s_or_b32 exec_lo, exec_lo, s27
	s_and_saveexec_b32 s27, s13
	s_cbranch_execnz .LBB6_755
	s_branch .LBB6_756
.LBB6_1534:                             ;   in Loop: Header=BB6_130 Depth=2
	s_or_saveexec_b32 s27, s27
	v_mov_b32_e32 v3, 0x7f800001
	s_xor_b32 exec_lo, exec_lo, s27
	s_cbranch_execz .LBB6_760
.LBB6_1535:                             ;   in Loop: Header=BB6_130 Depth=2
	v_cmp_ne_u16_sdwa s28, v29, v84 src0_sel:BYTE_3 src1_sel:DWORD
	v_mov_b32_e32 v3, 0
	s_andn2_b32 s13, s13, exec_lo
	s_and_b32 s28, s28, exec_lo
	s_or_b32 s13, s13, s28
	s_or_b32 exec_lo, exec_lo, s27
	s_and_saveexec_b32 s27, s13
	s_cbranch_execnz .LBB6_761
	s_branch .LBB6_762
.LBB6_1536:                             ;   in Loop: Header=BB6_130 Depth=2
	s_or_saveexec_b32 s27, s27
	v_mov_b32_e32 v2, 0x7f800001
	s_xor_b32 exec_lo, exec_lo, s27
	s_cbranch_execz .LBB6_774
.LBB6_1537:                             ;   in Loop: Header=BB6_130 Depth=2
	v_cmp_ne_u16_sdwa s28, v22, v84 src0_sel:BYTE_0 src1_sel:DWORD
	v_mov_b32_e32 v2, 0
	s_andn2_b32 s13, s13, exec_lo
	s_and_b32 s28, s28, exec_lo
	s_or_b32 s13, s13, s28
	s_or_b32 exec_lo, exec_lo, s27
	s_and_saveexec_b32 s27, s13
	s_cbranch_execnz .LBB6_775
	s_branch .LBB6_776
.LBB6_1538:                             ;   in Loop: Header=BB6_130 Depth=2
	s_or_saveexec_b32 s27, s27
	v_mov_b32_e32 v3, 0x7f800001
	s_xor_b32 exec_lo, exec_lo, s27
	s_cbranch_execz .LBB6_780
.LBB6_1539:                             ;   in Loop: Header=BB6_130 Depth=2
	v_cmp_ne_u16_sdwa s28, v18, v84 src0_sel:BYTE_0 src1_sel:DWORD
	v_mov_b32_e32 v3, 0
	s_andn2_b32 s13, s13, exec_lo
	s_and_b32 s28, s28, exec_lo
	s_or_b32 s13, s13, s28
	s_or_b32 exec_lo, exec_lo, s27
	s_and_saveexec_b32 s27, s13
	s_cbranch_execnz .LBB6_781
	s_branch .LBB6_782
.LBB6_1540:                             ;   in Loop: Header=BB6_130 Depth=2
	s_or_saveexec_b32 s27, s27
	v_mov_b32_e32 v2, 0x7f800001
	s_xor_b32 exec_lo, exec_lo, s27
	s_cbranch_execz .LBB6_794
.LBB6_1541:                             ;   in Loop: Header=BB6_130 Depth=2
	v_cmp_ne_u16_sdwa s28, v22, v84 src0_sel:BYTE_1 src1_sel:DWORD
	v_mov_b32_e32 v2, 0
	s_andn2_b32 s13, s13, exec_lo
	s_and_b32 s28, s28, exec_lo
	s_or_b32 s13, s13, s28
	s_or_b32 exec_lo, exec_lo, s27
	s_and_saveexec_b32 s27, s13
	s_cbranch_execnz .LBB6_795
	s_branch .LBB6_796
.LBB6_1542:                             ;   in Loop: Header=BB6_130 Depth=2
	s_or_saveexec_b32 s27, s27
	v_mov_b32_e32 v3, 0x7f800001
	s_xor_b32 exec_lo, exec_lo, s27
	s_cbranch_execz .LBB6_800
.LBB6_1543:                             ;   in Loop: Header=BB6_130 Depth=2
	v_cmp_ne_u16_sdwa s28, v18, v84 src0_sel:BYTE_1 src1_sel:DWORD
	v_mov_b32_e32 v3, 0
	s_andn2_b32 s13, s13, exec_lo
	s_and_b32 s28, s28, exec_lo
	s_or_b32 s13, s13, s28
	s_or_b32 exec_lo, exec_lo, s27
	s_and_saveexec_b32 s27, s13
	s_cbranch_execnz .LBB6_801
	s_branch .LBB6_802
.LBB6_1544:                             ;   in Loop: Header=BB6_130 Depth=2
	s_or_saveexec_b32 s27, s27
	v_mov_b32_e32 v2, 0x7f800001
	s_xor_b32 exec_lo, exec_lo, s27
	s_cbranch_execz .LBB6_814
.LBB6_1545:                             ;   in Loop: Header=BB6_130 Depth=2
	v_cmp_ne_u16_e32 vcc_lo, 0, v3
	v_mov_b32_e32 v2, 0
	s_andn2_b32 s13, s13, exec_lo
	s_and_b32 s28, vcc_lo, exec_lo
	s_or_b32 s13, s13, s28
	s_or_b32 exec_lo, exec_lo, s27
	s_and_saveexec_b32 s27, s13
	s_cbranch_execnz .LBB6_815
	s_branch .LBB6_816
.LBB6_1546:                             ;   in Loop: Header=BB6_130 Depth=2
	s_or_saveexec_b32 s27, s27
	v_mov_b32_e32 v3, 0x7f800001
	s_xor_b32 exec_lo, exec_lo, s27
	s_cbranch_execz .LBB6_820
.LBB6_1547:                             ;   in Loop: Header=BB6_130 Depth=2
	v_cmp_ne_u16_e32 vcc_lo, 0, v30
	v_mov_b32_e32 v3, 0
	s_andn2_b32 s13, s13, exec_lo
	s_and_b32 s28, vcc_lo, exec_lo
	s_or_b32 s13, s13, s28
	s_or_b32 exec_lo, exec_lo, s27
	s_and_saveexec_b32 s27, s13
	s_cbranch_execnz .LBB6_821
	s_branch .LBB6_822
.LBB6_1548:                             ;   in Loop: Header=BB6_130 Depth=2
	s_or_saveexec_b32 s27, s27
	v_mov_b32_e32 v2, 0x7f800001
	s_xor_b32 exec_lo, exec_lo, s27
	s_cbranch_execz .LBB6_834
.LBB6_1549:                             ;   in Loop: Header=BB6_130 Depth=2
	v_cmp_ne_u16_sdwa s28, v22, v84 src0_sel:BYTE_3 src1_sel:DWORD
	v_mov_b32_e32 v2, 0
	s_andn2_b32 s13, s13, exec_lo
	s_and_b32 s28, s28, exec_lo
	s_or_b32 s13, s13, s28
	s_or_b32 exec_lo, exec_lo, s27
	s_and_saveexec_b32 s27, s13
	s_cbranch_execnz .LBB6_835
	s_branch .LBB6_836
.LBB6_1550:                             ;   in Loop: Header=BB6_130 Depth=2
	s_or_saveexec_b32 s27, s27
	v_mov_b32_e32 v3, 0x7f800001
	s_xor_b32 exec_lo, exec_lo, s27
	s_cbranch_execz .LBB6_840
.LBB6_1551:                             ;   in Loop: Header=BB6_130 Depth=2
	v_cmp_ne_u16_sdwa s28, v18, v84 src0_sel:BYTE_3 src1_sel:DWORD
	v_mov_b32_e32 v3, 0
	s_andn2_b32 s13, s13, exec_lo
	s_and_b32 s28, s28, exec_lo
	s_or_b32 s13, s13, s28
	s_or_b32 exec_lo, exec_lo, s27
	s_and_saveexec_b32 s27, s13
	s_cbranch_execnz .LBB6_841
	s_branch .LBB6_842
.LBB6_1552:                             ;   in Loop: Header=BB6_130 Depth=2
	s_or_saveexec_b32 s27, s27
	v_mov_b32_e32 v2, 0x7f800001
	s_xor_b32 exec_lo, exec_lo, s27
	s_cbranch_execz .LBB6_854
.LBB6_1553:                             ;   in Loop: Header=BB6_130 Depth=2
	v_cmp_ne_u16_sdwa s28, v23, v84 src0_sel:BYTE_0 src1_sel:DWORD
	v_mov_b32_e32 v2, 0
	s_andn2_b32 s13, s13, exec_lo
	s_and_b32 s28, s28, exec_lo
	s_or_b32 s13, s13, s28
	s_or_b32 exec_lo, exec_lo, s27
	s_and_saveexec_b32 s27, s13
	s_cbranch_execnz .LBB6_855
	s_branch .LBB6_856
.LBB6_1554:                             ;   in Loop: Header=BB6_130 Depth=2
	s_or_saveexec_b32 s27, s27
	v_mov_b32_e32 v3, 0x7f800001
	s_xor_b32 exec_lo, exec_lo, s27
	s_cbranch_execz .LBB6_860
.LBB6_1555:                             ;   in Loop: Header=BB6_130 Depth=2
	v_cmp_ne_u16_sdwa s28, v19, v84 src0_sel:BYTE_0 src1_sel:DWORD
	v_mov_b32_e32 v3, 0
	s_andn2_b32 s13, s13, exec_lo
	s_and_b32 s28, s28, exec_lo
	s_or_b32 s13, s13, s28
	s_or_b32 exec_lo, exec_lo, s27
	s_and_saveexec_b32 s27, s13
	s_cbranch_execnz .LBB6_861
	s_branch .LBB6_862
.LBB6_1556:                             ;   in Loop: Header=BB6_130 Depth=2
	s_or_saveexec_b32 s27, s27
	v_mov_b32_e32 v2, 0x7f800001
	s_xor_b32 exec_lo, exec_lo, s27
	s_cbranch_execz .LBB6_874
.LBB6_1557:                             ;   in Loop: Header=BB6_130 Depth=2
	v_cmp_ne_u16_sdwa s28, v23, v84 src0_sel:BYTE_1 src1_sel:DWORD
	v_mov_b32_e32 v2, 0
	s_andn2_b32 s13, s13, exec_lo
	s_and_b32 s28, s28, exec_lo
	s_or_b32 s13, s13, s28
	s_or_b32 exec_lo, exec_lo, s27
	s_and_saveexec_b32 s27, s13
	s_cbranch_execnz .LBB6_875
	s_branch .LBB6_876
.LBB6_1558:                             ;   in Loop: Header=BB6_130 Depth=2
	s_or_saveexec_b32 s27, s27
	v_mov_b32_e32 v3, 0x7f800001
	s_xor_b32 exec_lo, exec_lo, s27
	s_cbranch_execz .LBB6_880
.LBB6_1559:                             ;   in Loop: Header=BB6_130 Depth=2
	v_cmp_ne_u16_sdwa s28, v19, v84 src0_sel:BYTE_1 src1_sel:DWORD
	v_mov_b32_e32 v3, 0
	s_andn2_b32 s13, s13, exec_lo
	s_and_b32 s28, s28, exec_lo
	s_or_b32 s13, s13, s28
	s_or_b32 exec_lo, exec_lo, s27
	s_and_saveexec_b32 s27, s13
	s_cbranch_execnz .LBB6_881
	s_branch .LBB6_882
.LBB6_1560:                             ;   in Loop: Header=BB6_130 Depth=2
	s_or_saveexec_b32 s27, s27
	v_mov_b32_e32 v2, 0x7f800001
	s_xor_b32 exec_lo, exec_lo, s27
	s_cbranch_execz .LBB6_894
.LBB6_1561:                             ;   in Loop: Header=BB6_130 Depth=2
	v_cmp_ne_u16_e32 vcc_lo, 0, v3
	v_mov_b32_e32 v2, 0
	s_andn2_b32 s13, s13, exec_lo
	s_and_b32 s28, vcc_lo, exec_lo
	s_or_b32 s13, s13, s28
	s_or_b32 exec_lo, exec_lo, s27
	s_and_saveexec_b32 s27, s13
	s_cbranch_execnz .LBB6_895
	s_branch .LBB6_896
.LBB6_1562:                             ;   in Loop: Header=BB6_130 Depth=2
	s_or_saveexec_b32 s27, s27
	v_mov_b32_e32 v3, 0x7f800001
	s_xor_b32 exec_lo, exec_lo, s27
	s_cbranch_execz .LBB6_900
.LBB6_1563:                             ;   in Loop: Header=BB6_130 Depth=2
	v_cmp_ne_u16_e32 vcc_lo, 0, v30
	v_mov_b32_e32 v3, 0
	s_andn2_b32 s13, s13, exec_lo
	s_and_b32 s28, vcc_lo, exec_lo
	s_or_b32 s13, s13, s28
	s_or_b32 exec_lo, exec_lo, s27
	s_and_saveexec_b32 s27, s13
	s_cbranch_execnz .LBB6_901
	s_branch .LBB6_902
.LBB6_1564:                             ;   in Loop: Header=BB6_130 Depth=2
	s_or_saveexec_b32 s27, s27
	v_mov_b32_e32 v2, 0x7f800001
	s_xor_b32 exec_lo, exec_lo, s27
	s_cbranch_execz .LBB6_914
.LBB6_1565:                             ;   in Loop: Header=BB6_130 Depth=2
	v_cmp_ne_u16_sdwa s28, v23, v84 src0_sel:BYTE_3 src1_sel:DWORD
	v_mov_b32_e32 v2, 0
	s_andn2_b32 s13, s13, exec_lo
	s_and_b32 s28, s28, exec_lo
	s_or_b32 s13, s13, s28
	s_or_b32 exec_lo, exec_lo, s27
	s_and_saveexec_b32 s27, s13
	s_cbranch_execnz .LBB6_915
	s_branch .LBB6_916
.LBB6_1566:                             ;   in Loop: Header=BB6_130 Depth=2
	s_or_saveexec_b32 s27, s27
	v_mov_b32_e32 v3, 0x7f800001
	s_xor_b32 exec_lo, exec_lo, s27
	s_cbranch_execz .LBB6_920
.LBB6_1567:                             ;   in Loop: Header=BB6_130 Depth=2
	v_cmp_ne_u16_sdwa s28, v19, v84 src0_sel:BYTE_3 src1_sel:DWORD
	v_mov_b32_e32 v3, 0
	s_andn2_b32 s13, s13, exec_lo
	s_and_b32 s28, s28, exec_lo
	s_or_b32 s13, s13, s28
	s_or_b32 exec_lo, exec_lo, s27
	s_and_saveexec_b32 s27, s13
	s_cbranch_execnz .LBB6_921
	s_branch .LBB6_922
.LBB6_1568:                             ;   in Loop: Header=BB6_130 Depth=2
	s_or_saveexec_b32 s27, s27
	v_mov_b32_e32 v2, 0x7f800001
	s_xor_b32 exec_lo, exec_lo, s27
	s_cbranch_execz .LBB6_934
.LBB6_1569:                             ;   in Loop: Header=BB6_130 Depth=2
	v_cmp_ne_u16_sdwa s28, v24, v84 src0_sel:BYTE_0 src1_sel:DWORD
	v_mov_b32_e32 v2, 0
	s_andn2_b32 s13, s13, exec_lo
	s_and_b32 s28, s28, exec_lo
	s_or_b32 s13, s13, s28
	s_or_b32 exec_lo, exec_lo, s27
	s_and_saveexec_b32 s27, s13
	s_cbranch_execnz .LBB6_935
	s_branch .LBB6_936
.LBB6_1570:                             ;   in Loop: Header=BB6_130 Depth=2
	s_or_saveexec_b32 s27, s27
	v_mov_b32_e32 v3, 0x7f800001
	s_xor_b32 exec_lo, exec_lo, s27
	s_cbranch_execz .LBB6_940
.LBB6_1571:                             ;   in Loop: Header=BB6_130 Depth=2
	v_cmp_ne_u16_sdwa s28, v20, v84 src0_sel:BYTE_0 src1_sel:DWORD
	v_mov_b32_e32 v3, 0
	s_andn2_b32 s13, s13, exec_lo
	s_and_b32 s28, s28, exec_lo
	s_or_b32 s13, s13, s28
	s_or_b32 exec_lo, exec_lo, s27
	s_and_saveexec_b32 s27, s13
	s_cbranch_execnz .LBB6_941
	s_branch .LBB6_942
.LBB6_1572:                             ;   in Loop: Header=BB6_130 Depth=2
	s_or_saveexec_b32 s27, s27
	v_mov_b32_e32 v2, 0x7f800001
	s_xor_b32 exec_lo, exec_lo, s27
	s_cbranch_execz .LBB6_954
.LBB6_1573:                             ;   in Loop: Header=BB6_130 Depth=2
	v_cmp_ne_u16_sdwa s28, v24, v84 src0_sel:BYTE_1 src1_sel:DWORD
	v_mov_b32_e32 v2, 0
	s_andn2_b32 s13, s13, exec_lo
	s_and_b32 s28, s28, exec_lo
	s_or_b32 s13, s13, s28
	s_or_b32 exec_lo, exec_lo, s27
	s_and_saveexec_b32 s27, s13
	s_cbranch_execnz .LBB6_955
	s_branch .LBB6_956
.LBB6_1574:                             ;   in Loop: Header=BB6_130 Depth=2
	s_or_saveexec_b32 s27, s27
	v_mov_b32_e32 v3, 0x7f800001
	s_xor_b32 exec_lo, exec_lo, s27
	s_cbranch_execz .LBB6_960
.LBB6_1575:                             ;   in Loop: Header=BB6_130 Depth=2
	v_cmp_ne_u16_sdwa s28, v20, v84 src0_sel:BYTE_1 src1_sel:DWORD
	v_mov_b32_e32 v3, 0
	s_andn2_b32 s13, s13, exec_lo
	s_and_b32 s28, s28, exec_lo
	s_or_b32 s13, s13, s28
	s_or_b32 exec_lo, exec_lo, s27
	s_and_saveexec_b32 s27, s13
	s_cbranch_execnz .LBB6_961
	s_branch .LBB6_962
.LBB6_1576:                             ;   in Loop: Header=BB6_130 Depth=2
	s_or_saveexec_b32 s27, s27
	v_mov_b32_e32 v2, 0x7f800001
	s_xor_b32 exec_lo, exec_lo, s27
	s_cbranch_execz .LBB6_974
.LBB6_1577:                             ;   in Loop: Header=BB6_130 Depth=2
	v_cmp_ne_u16_e32 vcc_lo, 0, v3
	v_mov_b32_e32 v2, 0
	s_andn2_b32 s13, s13, exec_lo
	s_and_b32 s28, vcc_lo, exec_lo
	s_or_b32 s13, s13, s28
	s_or_b32 exec_lo, exec_lo, s27
	s_and_saveexec_b32 s27, s13
	s_cbranch_execnz .LBB6_975
	s_branch .LBB6_976
.LBB6_1578:                             ;   in Loop: Header=BB6_130 Depth=2
	s_or_saveexec_b32 s27, s27
	v_mov_b32_e32 v3, 0x7f800001
	s_xor_b32 exec_lo, exec_lo, s27
	s_cbranch_execz .LBB6_980
.LBB6_1579:                             ;   in Loop: Header=BB6_130 Depth=2
	v_cmp_ne_u16_e32 vcc_lo, 0, v30
	v_mov_b32_e32 v3, 0
	s_andn2_b32 s13, s13, exec_lo
	s_and_b32 s28, vcc_lo, exec_lo
	s_or_b32 s13, s13, s28
	s_or_b32 exec_lo, exec_lo, s27
	s_and_saveexec_b32 s27, s13
	s_cbranch_execnz .LBB6_981
	s_branch .LBB6_982
.LBB6_1580:                             ;   in Loop: Header=BB6_130 Depth=2
	s_or_saveexec_b32 s27, s27
	v_mov_b32_e32 v2, 0x7f800001
	s_xor_b32 exec_lo, exec_lo, s27
	s_cbranch_execz .LBB6_994
.LBB6_1581:                             ;   in Loop: Header=BB6_130 Depth=2
	v_cmp_ne_u16_sdwa s28, v24, v84 src0_sel:BYTE_3 src1_sel:DWORD
	v_mov_b32_e32 v2, 0
	s_andn2_b32 s13, s13, exec_lo
	s_and_b32 s28, s28, exec_lo
	s_or_b32 s13, s13, s28
	s_or_b32 exec_lo, exec_lo, s27
	s_and_saveexec_b32 s27, s13
	s_cbranch_execnz .LBB6_995
	s_branch .LBB6_996
.LBB6_1582:                             ;   in Loop: Header=BB6_130 Depth=2
	s_or_saveexec_b32 s27, s27
	v_mov_b32_e32 v3, 0x7f800001
	s_xor_b32 exec_lo, exec_lo, s27
	s_cbranch_execz .LBB6_1000
.LBB6_1583:                             ;   in Loop: Header=BB6_130 Depth=2
	v_cmp_ne_u16_sdwa s28, v20, v84 src0_sel:BYTE_3 src1_sel:DWORD
	v_mov_b32_e32 v3, 0
	s_andn2_b32 s13, s13, exec_lo
	s_and_b32 s28, s28, exec_lo
	s_or_b32 s13, s13, s28
	s_or_b32 exec_lo, exec_lo, s27
	s_and_saveexec_b32 s27, s13
	s_cbranch_execnz .LBB6_1001
	s_branch .LBB6_1002
.LBB6_1584:                             ;   in Loop: Header=BB6_130 Depth=2
	s_or_saveexec_b32 s27, s27
	v_mov_b32_e32 v2, 0x7f800001
	s_xor_b32 exec_lo, exec_lo, s27
	s_cbranch_execz .LBB6_1014
.LBB6_1585:                             ;   in Loop: Header=BB6_130 Depth=2
	v_cmp_ne_u16_sdwa s28, v25, v84 src0_sel:BYTE_0 src1_sel:DWORD
	v_mov_b32_e32 v2, 0
	s_andn2_b32 s13, s13, exec_lo
	s_and_b32 s28, s28, exec_lo
	s_or_b32 s13, s13, s28
	s_or_b32 exec_lo, exec_lo, s27
	s_and_saveexec_b32 s27, s13
	s_cbranch_execnz .LBB6_1015
	s_branch .LBB6_1016
.LBB6_1586:                             ;   in Loop: Header=BB6_130 Depth=2
	s_or_saveexec_b32 s27, s27
	v_mov_b32_e32 v3, 0x7f800001
	s_xor_b32 exec_lo, exec_lo, s27
	s_cbranch_execz .LBB6_1020
.LBB6_1587:                             ;   in Loop: Header=BB6_130 Depth=2
	v_cmp_ne_u16_sdwa s28, v21, v84 src0_sel:BYTE_0 src1_sel:DWORD
	v_mov_b32_e32 v3, 0
	s_andn2_b32 s13, s13, exec_lo
	s_and_b32 s28, s28, exec_lo
	s_or_b32 s13, s13, s28
	s_or_b32 exec_lo, exec_lo, s27
	s_and_saveexec_b32 s27, s13
	s_cbranch_execnz .LBB6_1021
	s_branch .LBB6_1022
.LBB6_1588:                             ;   in Loop: Header=BB6_130 Depth=2
	s_or_saveexec_b32 s27, s27
	v_mov_b32_e32 v2, 0x7f800001
	s_xor_b32 exec_lo, exec_lo, s27
	s_cbranch_execz .LBB6_1034
.LBB6_1589:                             ;   in Loop: Header=BB6_130 Depth=2
	v_cmp_ne_u16_sdwa s28, v25, v84 src0_sel:BYTE_1 src1_sel:DWORD
	v_mov_b32_e32 v2, 0
	s_andn2_b32 s13, s13, exec_lo
	s_and_b32 s28, s28, exec_lo
	s_or_b32 s13, s13, s28
	s_or_b32 exec_lo, exec_lo, s27
	s_and_saveexec_b32 s27, s13
	s_cbranch_execnz .LBB6_1035
	s_branch .LBB6_1036
.LBB6_1590:                             ;   in Loop: Header=BB6_130 Depth=2
	s_or_saveexec_b32 s27, s27
	v_mov_b32_e32 v3, 0x7f800001
	s_xor_b32 exec_lo, exec_lo, s27
	s_cbranch_execz .LBB6_1040
.LBB6_1591:                             ;   in Loop: Header=BB6_130 Depth=2
	v_cmp_ne_u16_sdwa s28, v21, v84 src0_sel:BYTE_1 src1_sel:DWORD
	v_mov_b32_e32 v3, 0
	s_andn2_b32 s13, s13, exec_lo
	s_and_b32 s28, s28, exec_lo
	s_or_b32 s13, s13, s28
	s_or_b32 exec_lo, exec_lo, s27
	s_and_saveexec_b32 s27, s13
	s_cbranch_execnz .LBB6_1041
	s_branch .LBB6_1042
.LBB6_1592:                             ;   in Loop: Header=BB6_130 Depth=2
	s_or_saveexec_b32 s27, s27
	v_mov_b32_e32 v2, 0x7f800001
	s_xor_b32 exec_lo, exec_lo, s27
	s_cbranch_execz .LBB6_1054
.LBB6_1593:                             ;   in Loop: Header=BB6_130 Depth=2
	v_cmp_ne_u16_e32 vcc_lo, 0, v3
	v_mov_b32_e32 v2, 0
	s_andn2_b32 s13, s13, exec_lo
	s_and_b32 s28, vcc_lo, exec_lo
	s_or_b32 s13, s13, s28
	s_or_b32 exec_lo, exec_lo, s27
	s_and_saveexec_b32 s27, s13
	s_cbranch_execnz .LBB6_1055
	s_branch .LBB6_1056
.LBB6_1594:                             ;   in Loop: Header=BB6_130 Depth=2
	s_or_saveexec_b32 s27, s27
	v_mov_b32_e32 v3, 0x7f800001
	s_xor_b32 exec_lo, exec_lo, s27
	s_cbranch_execz .LBB6_1060
.LBB6_1595:                             ;   in Loop: Header=BB6_130 Depth=2
	v_cmp_ne_u16_e32 vcc_lo, 0, v30
	v_mov_b32_e32 v3, 0
	s_andn2_b32 s13, s13, exec_lo
	s_and_b32 s28, vcc_lo, exec_lo
	s_or_b32 s13, s13, s28
	s_or_b32 exec_lo, exec_lo, s27
	s_and_saveexec_b32 s27, s13
	s_cbranch_execnz .LBB6_1061
	s_branch .LBB6_1062
.LBB6_1596:                             ;   in Loop: Header=BB6_130 Depth=2
	s_or_saveexec_b32 s27, s27
	v_mov_b32_e32 v2, 0x7f800001
	s_xor_b32 exec_lo, exec_lo, s27
	s_cbranch_execz .LBB6_1074
.LBB6_1597:                             ;   in Loop: Header=BB6_130 Depth=2
	v_cmp_ne_u16_sdwa s28, v25, v84 src0_sel:BYTE_3 src1_sel:DWORD
	v_mov_b32_e32 v2, 0
	s_andn2_b32 s13, s13, exec_lo
	s_and_b32 s28, s28, exec_lo
	s_or_b32 s13, s13, s28
	s_or_b32 exec_lo, exec_lo, s27
	s_and_saveexec_b32 s27, s13
	s_cbranch_execnz .LBB6_1075
	s_branch .LBB6_1076
.LBB6_1598:                             ;   in Loop: Header=BB6_130 Depth=2
	s_or_saveexec_b32 s27, s27
	v_mov_b32_e32 v3, 0x7f800001
	s_xor_b32 exec_lo, exec_lo, s27
	s_cbranch_execz .LBB6_1080
.LBB6_1599:                             ;   in Loop: Header=BB6_130 Depth=2
	v_cmp_ne_u16_sdwa s28, v21, v84 src0_sel:BYTE_3 src1_sel:DWORD
	v_mov_b32_e32 v3, 0
	s_andn2_b32 s13, s13, exec_lo
	s_and_b32 s28, s28, exec_lo
	s_or_b32 s13, s13, s28
	s_or_b32 exec_lo, exec_lo, s27
	s_and_saveexec_b32 s27, s13
	s_cbranch_execnz .LBB6_1081
	s_branch .LBB6_1082
.LBB6_1600:                             ;   in Loop: Header=BB6_130 Depth=2
	s_or_saveexec_b32 s27, s27
	v_mov_b32_e32 v2, 0x7f800001
	s_xor_b32 exec_lo, exec_lo, s27
	s_cbranch_execz .LBB6_1094
.LBB6_1601:                             ;   in Loop: Header=BB6_130 Depth=2
	v_cmp_ne_u16_sdwa s28, v14, v84 src0_sel:BYTE_0 src1_sel:DWORD
	v_mov_b32_e32 v2, 0
	s_andn2_b32 s13, s13, exec_lo
	s_and_b32 s28, s28, exec_lo
	s_or_b32 s13, s13, s28
	s_or_b32 exec_lo, exec_lo, s27
	s_and_saveexec_b32 s27, s13
	s_cbranch_execnz .LBB6_1095
	s_branch .LBB6_1096
.LBB6_1602:                             ;   in Loop: Header=BB6_130 Depth=2
	s_or_saveexec_b32 s27, s27
	v_mov_b32_e32 v3, 0x7f800001
	s_xor_b32 exec_lo, exec_lo, s27
	s_cbranch_execz .LBB6_1100
.LBB6_1603:                             ;   in Loop: Header=BB6_130 Depth=2
	v_cmp_ne_u16_sdwa s28, v10, v84 src0_sel:BYTE_0 src1_sel:DWORD
	v_mov_b32_e32 v3, 0
	s_andn2_b32 s13, s13, exec_lo
	s_and_b32 s28, s28, exec_lo
	s_or_b32 s13, s13, s28
	s_or_b32 exec_lo, exec_lo, s27
	s_and_saveexec_b32 s27, s13
	s_cbranch_execnz .LBB6_1101
	s_branch .LBB6_1102
.LBB6_1604:                             ;   in Loop: Header=BB6_130 Depth=2
	s_or_saveexec_b32 s27, s27
	v_mov_b32_e32 v2, 0x7f800001
	s_xor_b32 exec_lo, exec_lo, s27
	s_cbranch_execz .LBB6_1114
.LBB6_1605:                             ;   in Loop: Header=BB6_130 Depth=2
	v_cmp_ne_u16_sdwa s28, v14, v84 src0_sel:BYTE_1 src1_sel:DWORD
	v_mov_b32_e32 v2, 0
	s_andn2_b32 s13, s13, exec_lo
	s_and_b32 s28, s28, exec_lo
	s_or_b32 s13, s13, s28
	s_or_b32 exec_lo, exec_lo, s27
	s_and_saveexec_b32 s27, s13
	s_cbranch_execnz .LBB6_1115
	s_branch .LBB6_1116
.LBB6_1606:                             ;   in Loop: Header=BB6_130 Depth=2
	s_or_saveexec_b32 s27, s27
	v_mov_b32_e32 v3, 0x7f800001
	s_xor_b32 exec_lo, exec_lo, s27
	s_cbranch_execz .LBB6_1120
.LBB6_1607:                             ;   in Loop: Header=BB6_130 Depth=2
	v_cmp_ne_u16_sdwa s28, v10, v84 src0_sel:BYTE_1 src1_sel:DWORD
	v_mov_b32_e32 v3, 0
	s_andn2_b32 s13, s13, exec_lo
	s_and_b32 s28, s28, exec_lo
	s_or_b32 s13, s13, s28
	s_or_b32 exec_lo, exec_lo, s27
	s_and_saveexec_b32 s27, s13
	s_cbranch_execnz .LBB6_1121
	s_branch .LBB6_1122
.LBB6_1608:                             ;   in Loop: Header=BB6_130 Depth=2
	s_or_saveexec_b32 s13, s13
	v_mov_b32_e32 v2, 0x7f800001
	s_xor_b32 exec_lo, exec_lo, s13
	s_cbranch_execz .LBB6_1134
.LBB6_1609:                             ;   in Loop: Header=BB6_130 Depth=2
	v_cmp_ne_u16_e32 vcc_lo, 0, v3
	v_mov_b32_e32 v2, 0
	s_andn2_b32 s27, s27, exec_lo
	s_and_b32 s28, vcc_lo, exec_lo
	s_or_b32 s27, s27, s28
	s_or_b32 exec_lo, exec_lo, s13
	s_and_saveexec_b32 s13, s27
	s_cbranch_execnz .LBB6_1135
	s_branch .LBB6_1136
.LBB6_1610:                             ;   in Loop: Header=BB6_130 Depth=2
	s_or_saveexec_b32 s13, s13
	v_mov_b32_e32 v3, 0x7f800001
	s_xor_b32 exec_lo, exec_lo, s13
	s_cbranch_execz .LBB6_1140
.LBB6_1611:                             ;   in Loop: Header=BB6_130 Depth=2
	v_cmp_ne_u16_e32 vcc_lo, 0, v30
	v_mov_b32_e32 v3, 0
	s_andn2_b32 s27, s27, exec_lo
	s_and_b32 s28, vcc_lo, exec_lo
	s_or_b32 s27, s27, s28
	s_or_b32 exec_lo, exec_lo, s13
	s_and_saveexec_b32 s13, s27
	s_cbranch_execnz .LBB6_1141
	s_branch .LBB6_1142
.LBB6_1612:                             ;   in Loop: Header=BB6_130 Depth=2
	s_or_saveexec_b32 s27, s27
	v_mov_b32_e32 v2, 0x7f800001
	s_xor_b32 exec_lo, exec_lo, s27
	s_cbranch_execz .LBB6_1154
.LBB6_1613:                             ;   in Loop: Header=BB6_130 Depth=2
	v_cmp_ne_u16_sdwa s28, v14, v84 src0_sel:BYTE_3 src1_sel:DWORD
	v_mov_b32_e32 v2, 0
	s_andn2_b32 s13, s13, exec_lo
	s_and_b32 s28, s28, exec_lo
	s_or_b32 s13, s13, s28
	s_or_b32 exec_lo, exec_lo, s27
	s_and_saveexec_b32 s27, s13
	s_cbranch_execnz .LBB6_1155
	s_branch .LBB6_1156
.LBB6_1614:                             ;   in Loop: Header=BB6_130 Depth=2
	s_or_saveexec_b32 s27, s27
	v_mov_b32_e32 v3, 0x7f800001
	s_xor_b32 exec_lo, exec_lo, s27
	s_cbranch_execz .LBB6_1160
.LBB6_1615:                             ;   in Loop: Header=BB6_130 Depth=2
	v_cmp_ne_u16_sdwa s28, v10, v84 src0_sel:BYTE_3 src1_sel:DWORD
	v_mov_b32_e32 v3, 0
	s_andn2_b32 s13, s13, exec_lo
	s_and_b32 s28, s28, exec_lo
	s_or_b32 s13, s13, s28
	s_or_b32 exec_lo, exec_lo, s27
	s_and_saveexec_b32 s27, s13
	s_cbranch_execnz .LBB6_1161
	s_branch .LBB6_1162
.LBB6_1616:                             ;   in Loop: Header=BB6_130 Depth=2
	s_or_saveexec_b32 s13, s13
	v_mov_b32_e32 v2, 0x7f800001
	s_xor_b32 exec_lo, exec_lo, s13
	s_cbranch_execz .LBB6_1174
.LBB6_1617:                             ;   in Loop: Header=BB6_130 Depth=2
	v_cmp_ne_u16_sdwa s28, v15, v84 src0_sel:BYTE_0 src1_sel:DWORD
	v_mov_b32_e32 v2, 0
	s_andn2_b32 s27, s27, exec_lo
	s_and_b32 s28, s28, exec_lo
	s_or_b32 s27, s27, s28
	s_or_b32 exec_lo, exec_lo, s13
	s_and_saveexec_b32 s13, s27
	s_cbranch_execnz .LBB6_1175
	s_branch .LBB6_1176
.LBB6_1618:                             ;   in Loop: Header=BB6_130 Depth=2
	s_or_saveexec_b32 s13, s13
	v_mov_b32_e32 v3, 0x7f800001
	s_xor_b32 exec_lo, exec_lo, s13
	s_cbranch_execz .LBB6_1180
.LBB6_1619:                             ;   in Loop: Header=BB6_130 Depth=2
	v_cmp_ne_u16_sdwa s28, v11, v84 src0_sel:BYTE_0 src1_sel:DWORD
	v_mov_b32_e32 v3, 0
	s_andn2_b32 s27, s27, exec_lo
	s_and_b32 s28, s28, exec_lo
	s_or_b32 s27, s27, s28
	s_or_b32 exec_lo, exec_lo, s13
	s_and_saveexec_b32 s13, s27
	s_cbranch_execnz .LBB6_1181
	s_branch .LBB6_1182
.LBB6_1620:                             ;   in Loop: Header=BB6_130 Depth=2
	s_or_saveexec_b32 s27, s27
	v_mov_b32_e32 v2, 0x7f800001
	s_xor_b32 exec_lo, exec_lo, s27
	s_cbranch_execz .LBB6_1194
.LBB6_1621:                             ;   in Loop: Header=BB6_130 Depth=2
	v_cmp_ne_u16_sdwa s28, v15, v84 src0_sel:BYTE_1 src1_sel:DWORD
	v_mov_b32_e32 v2, 0
	s_andn2_b32 s13, s13, exec_lo
	s_and_b32 s28, s28, exec_lo
	s_or_b32 s13, s13, s28
	s_or_b32 exec_lo, exec_lo, s27
	s_and_saveexec_b32 s27, s13
	s_cbranch_execnz .LBB6_1195
	s_branch .LBB6_1196
.LBB6_1622:                             ;   in Loop: Header=BB6_130 Depth=2
	s_or_saveexec_b32 s27, s27
	v_mov_b32_e32 v3, 0x7f800001
	s_xor_b32 exec_lo, exec_lo, s27
	s_cbranch_execz .LBB6_1200
.LBB6_1623:                             ;   in Loop: Header=BB6_130 Depth=2
	v_cmp_ne_u16_sdwa s28, v11, v84 src0_sel:BYTE_1 src1_sel:DWORD
	v_mov_b32_e32 v3, 0
	s_andn2_b32 s13, s13, exec_lo
	s_and_b32 s28, s28, exec_lo
	s_or_b32 s13, s13, s28
	s_or_b32 exec_lo, exec_lo, s27
	s_and_saveexec_b32 s27, s13
	s_cbranch_execnz .LBB6_1201
	s_branch .LBB6_1202
.LBB6_1624:                             ;   in Loop: Header=BB6_130 Depth=2
	s_or_saveexec_b32 s13, s13
	v_mov_b32_e32 v2, 0x7f800001
	s_xor_b32 exec_lo, exec_lo, s13
	s_cbranch_execz .LBB6_1214
.LBB6_1625:                             ;   in Loop: Header=BB6_130 Depth=2
	v_cmp_ne_u16_e32 vcc_lo, 0, v3
	v_mov_b32_e32 v2, 0
	s_andn2_b32 s27, s27, exec_lo
	s_and_b32 s28, vcc_lo, exec_lo
	s_or_b32 s27, s27, s28
	s_or_b32 exec_lo, exec_lo, s13
	s_and_saveexec_b32 s13, s27
	s_cbranch_execnz .LBB6_1215
	s_branch .LBB6_1216
.LBB6_1626:                             ;   in Loop: Header=BB6_130 Depth=2
	s_or_saveexec_b32 s13, s13
	v_mov_b32_e32 v3, 0x7f800001
	s_xor_b32 exec_lo, exec_lo, s13
	s_cbranch_execz .LBB6_1220
.LBB6_1627:                             ;   in Loop: Header=BB6_130 Depth=2
	v_cmp_ne_u16_e32 vcc_lo, 0, v30
	v_mov_b32_e32 v3, 0
	s_andn2_b32 s27, s27, exec_lo
	s_and_b32 s28, vcc_lo, exec_lo
	s_or_b32 s27, s27, s28
	s_or_b32 exec_lo, exec_lo, s13
	s_and_saveexec_b32 s13, s27
	s_cbranch_execnz .LBB6_1221
	s_branch .LBB6_1222
.LBB6_1628:                             ;   in Loop: Header=BB6_130 Depth=2
	s_or_saveexec_b32 s27, s27
	v_mov_b32_e32 v2, 0x7f800001
	s_xor_b32 exec_lo, exec_lo, s27
	s_cbranch_execz .LBB6_1234
.LBB6_1629:                             ;   in Loop: Header=BB6_130 Depth=2
	v_cmp_ne_u16_sdwa s28, v15, v84 src0_sel:BYTE_3 src1_sel:DWORD
	v_mov_b32_e32 v2, 0
	s_andn2_b32 s13, s13, exec_lo
	s_and_b32 s28, s28, exec_lo
	s_or_b32 s13, s13, s28
	s_or_b32 exec_lo, exec_lo, s27
	s_and_saveexec_b32 s27, s13
	s_cbranch_execnz .LBB6_1235
	s_branch .LBB6_1236
.LBB6_1630:                             ;   in Loop: Header=BB6_130 Depth=2
	s_or_saveexec_b32 s27, s27
	v_mov_b32_e32 v3, 0x7f800001
	s_xor_b32 exec_lo, exec_lo, s27
	s_cbranch_execz .LBB6_1240
.LBB6_1631:                             ;   in Loop: Header=BB6_130 Depth=2
	v_cmp_ne_u16_sdwa s28, v11, v84 src0_sel:BYTE_3 src1_sel:DWORD
	v_mov_b32_e32 v3, 0
	s_andn2_b32 s13, s13, exec_lo
	s_and_b32 s28, s28, exec_lo
	s_or_b32 s13, s13, s28
	s_or_b32 exec_lo, exec_lo, s27
	s_and_saveexec_b32 s27, s13
	s_cbranch_execnz .LBB6_1241
	s_branch .LBB6_1242
.LBB6_1632:                             ;   in Loop: Header=BB6_130 Depth=2
	s_or_saveexec_b32 s13, s13
	v_mov_b32_e32 v2, 0x7f800001
	s_xor_b32 exec_lo, exec_lo, s13
	s_cbranch_execz .LBB6_1254
.LBB6_1633:                             ;   in Loop: Header=BB6_130 Depth=2
	v_cmp_ne_u16_sdwa s28, v16, v84 src0_sel:BYTE_0 src1_sel:DWORD
	v_mov_b32_e32 v2, 0
	s_andn2_b32 s27, s27, exec_lo
	s_and_b32 s28, s28, exec_lo
	s_or_b32 s27, s27, s28
	s_or_b32 exec_lo, exec_lo, s13
	s_and_saveexec_b32 s13, s27
	s_cbranch_execnz .LBB6_1255
	s_branch .LBB6_1256
.LBB6_1634:                             ;   in Loop: Header=BB6_130 Depth=2
	s_or_saveexec_b32 s13, s13
	v_mov_b32_e32 v3, 0x7f800001
	s_xor_b32 exec_lo, exec_lo, s13
	s_cbranch_execz .LBB6_1260
.LBB6_1635:                             ;   in Loop: Header=BB6_130 Depth=2
	v_cmp_ne_u16_sdwa s28, v12, v84 src0_sel:BYTE_0 src1_sel:DWORD
	v_mov_b32_e32 v3, 0
	s_andn2_b32 s27, s27, exec_lo
	s_and_b32 s28, s28, exec_lo
	s_or_b32 s27, s27, s28
	s_or_b32 exec_lo, exec_lo, s13
	s_and_saveexec_b32 s13, s27
	s_cbranch_execnz .LBB6_1261
	s_branch .LBB6_1262
.LBB6_1636:                             ;   in Loop: Header=BB6_130 Depth=2
	s_or_saveexec_b32 s27, s27
	v_mov_b32_e32 v2, 0x7f800001
	s_xor_b32 exec_lo, exec_lo, s27
	s_cbranch_execz .LBB6_1274
.LBB6_1637:                             ;   in Loop: Header=BB6_130 Depth=2
	v_cmp_ne_u16_sdwa s28, v16, v84 src0_sel:BYTE_1 src1_sel:DWORD
	v_mov_b32_e32 v2, 0
	s_andn2_b32 s13, s13, exec_lo
	s_and_b32 s28, s28, exec_lo
	s_or_b32 s13, s13, s28
	s_or_b32 exec_lo, exec_lo, s27
	s_and_saveexec_b32 s27, s13
	s_cbranch_execnz .LBB6_1275
	s_branch .LBB6_1276
.LBB6_1638:                             ;   in Loop: Header=BB6_130 Depth=2
	s_or_saveexec_b32 s27, s27
	v_mov_b32_e32 v3, 0x7f800001
	s_xor_b32 exec_lo, exec_lo, s27
	s_cbranch_execz .LBB6_1280
.LBB6_1639:                             ;   in Loop: Header=BB6_130 Depth=2
	v_cmp_ne_u16_sdwa s28, v12, v84 src0_sel:BYTE_1 src1_sel:DWORD
	v_mov_b32_e32 v3, 0
	s_andn2_b32 s13, s13, exec_lo
	s_and_b32 s28, s28, exec_lo
	s_or_b32 s13, s13, s28
	s_or_b32 exec_lo, exec_lo, s27
	s_and_saveexec_b32 s27, s13
	s_cbranch_execnz .LBB6_1281
	s_branch .LBB6_1282
.LBB6_1640:                             ;   in Loop: Header=BB6_130 Depth=2
	s_or_saveexec_b32 s13, s13
	v_mov_b32_e32 v2, 0x7f800001
	s_xor_b32 exec_lo, exec_lo, s13
	s_cbranch_execz .LBB6_1294
.LBB6_1641:                             ;   in Loop: Header=BB6_130 Depth=2
	v_cmp_ne_u16_e32 vcc_lo, 0, v3
	v_mov_b32_e32 v2, 0
	s_andn2_b32 s27, s27, exec_lo
	s_and_b32 s28, vcc_lo, exec_lo
	s_or_b32 s27, s27, s28
	s_or_b32 exec_lo, exec_lo, s13
	s_and_saveexec_b32 s13, s27
	s_cbranch_execnz .LBB6_1295
	s_branch .LBB6_1296
.LBB6_1642:                             ;   in Loop: Header=BB6_130 Depth=2
	s_or_saveexec_b32 s13, s13
	v_mov_b32_e32 v3, 0x7f800001
	s_xor_b32 exec_lo, exec_lo, s13
	s_cbranch_execz .LBB6_1300
.LBB6_1643:                             ;   in Loop: Header=BB6_130 Depth=2
	v_cmp_ne_u16_e32 vcc_lo, 0, v30
	v_mov_b32_e32 v3, 0
	s_andn2_b32 s27, s27, exec_lo
	s_and_b32 s28, vcc_lo, exec_lo
	s_or_b32 s27, s27, s28
	s_or_b32 exec_lo, exec_lo, s13
	s_and_saveexec_b32 s13, s27
	s_cbranch_execnz .LBB6_1301
	s_branch .LBB6_1302
.LBB6_1644:                             ;   in Loop: Header=BB6_130 Depth=2
	s_or_saveexec_b32 s27, s27
	v_mov_b32_e32 v2, 0x7f800001
	s_xor_b32 exec_lo, exec_lo, s27
	s_cbranch_execz .LBB6_1314
.LBB6_1645:                             ;   in Loop: Header=BB6_130 Depth=2
	v_cmp_ne_u16_sdwa s28, v16, v84 src0_sel:BYTE_3 src1_sel:DWORD
	v_mov_b32_e32 v2, 0
	s_andn2_b32 s13, s13, exec_lo
	s_and_b32 s28, s28, exec_lo
	s_or_b32 s13, s13, s28
	s_or_b32 exec_lo, exec_lo, s27
	s_and_saveexec_b32 s27, s13
	s_cbranch_execnz .LBB6_1315
	s_branch .LBB6_1316
.LBB6_1646:                             ;   in Loop: Header=BB6_130 Depth=2
	s_or_saveexec_b32 s27, s27
	v_mov_b32_e32 v3, 0x7f800001
	s_xor_b32 exec_lo, exec_lo, s27
	s_cbranch_execz .LBB6_1320
.LBB6_1647:                             ;   in Loop: Header=BB6_130 Depth=2
	v_cmp_ne_u16_sdwa s28, v12, v84 src0_sel:BYTE_3 src1_sel:DWORD
	v_mov_b32_e32 v3, 0
	s_andn2_b32 s13, s13, exec_lo
	s_and_b32 s28, s28, exec_lo
	s_or_b32 s13, s13, s28
	s_or_b32 exec_lo, exec_lo, s27
	s_and_saveexec_b32 s27, s13
	s_cbranch_execnz .LBB6_1321
	s_branch .LBB6_1322
.LBB6_1648:                             ;   in Loop: Header=BB6_130 Depth=2
	s_or_saveexec_b32 s13, s13
	v_mov_b32_e32 v2, 0x7f800001
	s_xor_b32 exec_lo, exec_lo, s13
	s_cbranch_execz .LBB6_1334
.LBB6_1649:                             ;   in Loop: Header=BB6_130 Depth=2
	v_cmp_ne_u16_sdwa s28, v17, v84 src0_sel:BYTE_0 src1_sel:DWORD
	v_mov_b32_e32 v2, 0
	s_andn2_b32 s27, s27, exec_lo
	s_and_b32 s28, s28, exec_lo
	s_or_b32 s27, s27, s28
	s_or_b32 exec_lo, exec_lo, s13
	s_and_saveexec_b32 s13, s27
	s_cbranch_execnz .LBB6_1335
	s_branch .LBB6_1336
.LBB6_1650:                             ;   in Loop: Header=BB6_130 Depth=2
	s_or_saveexec_b32 s13, s13
	v_mov_b32_e32 v3, 0x7f800001
	s_xor_b32 exec_lo, exec_lo, s13
	s_cbranch_execz .LBB6_1340
.LBB6_1651:                             ;   in Loop: Header=BB6_130 Depth=2
	v_cmp_ne_u16_sdwa s28, v13, v84 src0_sel:BYTE_0 src1_sel:DWORD
	v_mov_b32_e32 v3, 0
	s_andn2_b32 s27, s27, exec_lo
	s_and_b32 s28, s28, exec_lo
	s_or_b32 s27, s27, s28
	s_or_b32 exec_lo, exec_lo, s13
	s_and_saveexec_b32 s13, s27
	s_cbranch_execnz .LBB6_1341
	s_branch .LBB6_1342
.LBB6_1652:                             ;   in Loop: Header=BB6_130 Depth=2
	s_or_saveexec_b32 s27, s27
	v_mov_b32_e32 v2, 0x7f800001
	s_xor_b32 exec_lo, exec_lo, s27
	s_cbranch_execz .LBB6_1354
.LBB6_1653:                             ;   in Loop: Header=BB6_130 Depth=2
	v_cmp_ne_u16_sdwa s28, v17, v84 src0_sel:BYTE_1 src1_sel:DWORD
	v_mov_b32_e32 v2, 0
	s_andn2_b32 s13, s13, exec_lo
	s_and_b32 s28, s28, exec_lo
	s_or_b32 s13, s13, s28
	s_or_b32 exec_lo, exec_lo, s27
	s_and_saveexec_b32 s27, s13
	s_cbranch_execnz .LBB6_1355
	s_branch .LBB6_1356
.LBB6_1654:                             ;   in Loop: Header=BB6_130 Depth=2
	s_or_saveexec_b32 s27, s27
	v_mov_b32_e32 v3, 0x7f800001
	s_xor_b32 exec_lo, exec_lo, s27
	s_cbranch_execz .LBB6_1360
.LBB6_1655:                             ;   in Loop: Header=BB6_130 Depth=2
	v_cmp_ne_u16_sdwa s28, v13, v84 src0_sel:BYTE_1 src1_sel:DWORD
	v_mov_b32_e32 v3, 0
	s_andn2_b32 s13, s13, exec_lo
	s_and_b32 s28, s28, exec_lo
	s_or_b32 s13, s13, s28
	s_or_b32 exec_lo, exec_lo, s27
	s_and_saveexec_b32 s27, s13
	s_cbranch_execnz .LBB6_1361
	s_branch .LBB6_1362
.LBB6_1656:                             ;   in Loop: Header=BB6_130 Depth=2
	s_or_saveexec_b32 s13, s13
	v_mov_b32_e32 v2, 0x7f800001
	s_xor_b32 exec_lo, exec_lo, s13
	s_cbranch_execz .LBB6_1374
.LBB6_1657:                             ;   in Loop: Header=BB6_130 Depth=2
	v_cmp_ne_u16_e32 vcc_lo, 0, v3
	v_mov_b32_e32 v2, 0
	s_andn2_b32 s27, s27, exec_lo
	s_and_b32 s28, vcc_lo, exec_lo
	s_or_b32 s27, s27, s28
	s_or_b32 exec_lo, exec_lo, s13
	s_and_saveexec_b32 s13, s27
	s_cbranch_execnz .LBB6_1375
	s_branch .LBB6_1376
.LBB6_1658:                             ;   in Loop: Header=BB6_130 Depth=2
	s_or_saveexec_b32 s13, s13
	v_mov_b32_e32 v3, 0x7f800001
	s_xor_b32 exec_lo, exec_lo, s13
	s_cbranch_execz .LBB6_1380
.LBB6_1659:                             ;   in Loop: Header=BB6_130 Depth=2
	v_cmp_ne_u16_e32 vcc_lo, 0, v116
	v_mov_b32_e32 v3, 0
	s_andn2_b32 s27, s27, exec_lo
	s_and_b32 s28, vcc_lo, exec_lo
	s_or_b32 s27, s27, s28
	s_or_b32 exec_lo, exec_lo, s13
	s_and_saveexec_b32 s13, s27
	s_cbranch_execnz .LBB6_1381
	s_branch .LBB6_1382
.LBB6_1660:                             ;   in Loop: Header=BB6_130 Depth=2
	s_or_saveexec_b32 s27, s27
	v_mov_b32_e32 v3, 0x7f800001
	s_xor_b32 exec_lo, exec_lo, s27
	s_cbranch_execz .LBB6_1394
.LBB6_1661:                             ;   in Loop: Header=BB6_130 Depth=2
	v_cmp_ne_u16_sdwa s28, v17, v84 src0_sel:BYTE_3 src1_sel:DWORD
	v_mov_b32_e32 v3, 0
	s_andn2_b32 s13, s13, exec_lo
	s_and_b32 s28, s28, exec_lo
	s_or_b32 s13, s13, s28
	s_or_b32 exec_lo, exec_lo, s27
	s_and_saveexec_b32 s27, s13
	s_cbranch_execnz .LBB6_1395
	s_branch .LBB6_1396
.LBB6_1662:                             ;   in Loop: Header=BB6_130 Depth=2
	s_or_saveexec_b32 s27, s27
	v_mov_b32_e32 v17, 0x7f800001
	s_xor_b32 exec_lo, exec_lo, s27
	s_cbranch_execz .LBB6_1400
.LBB6_1663:                             ;   in Loop: Header=BB6_130 Depth=2
	v_cmp_ne_u16_sdwa s28, v13, v84 src0_sel:BYTE_3 src1_sel:DWORD
	v_mov_b32_e32 v17, 0
	s_andn2_b32 s13, s13, exec_lo
	s_and_b32 s28, s28, exec_lo
	s_or_b32 s13, s13, s28
	s_or_b32 exec_lo, exec_lo, s27
	s_and_saveexec_b32 s27, s13
	s_cbranch_execnz .LBB6_1401
	s_branch .LBB6_1402
.LBB6_1664:                             ;   in Loop: Header=BB6_49 Depth=1
	s_or_b32 exec_lo, exec_lo, s26
.LBB6_1665:                             ;   in Loop: Header=BB6_49 Depth=1
	s_or_b32 exec_lo, exec_lo, s14
	v_and_b32_e32 v3, 0x3ffff800, v85
	v_mov_b32_e32 v16, 0
	s_mov_b32 s13, 0
	s_mov_b32 s26, exec_lo
                                        ; implicit-def: $vgpr17
                                        ; implicit-def: $vgpr18
                                        ; implicit-def: $vgpr2
	v_cmpx_ne_u32_e64 v85, v3
	s_cbranch_execz .LBB6_2057
; %bb.1666:                             ;   in Loop: Header=BB6_49 Depth=1
	buffer_load_dword v10, off, s[0:3], s33 offset:200 ; 4-byte Folded Reload
	v_lshlrev_b32_e32 v2, 5, v72
	v_and_b32_e32 v26, 0x1ff, v85
	v_bfe_u32 v12, v85, 9, 2
	s_mov_b32 s27, exec_lo
	v_cmp_lt_u32_e32 vcc_lo, 15, v26
	v_add_co_ci_u32_e64 v12, null, 0, v12, vcc_lo
	s_waitcnt vmcnt(0)
	v_sub_nc_u32_e32 v2, v10, v2
	v_ashrrev_i32_e32 v10, 31, v2
	v_lshrrev_b32_e32 v10, 27, v10
	v_add_nc_u32_e32 v10, v2, v10
	v_and_b32_e32 v11, 0xffffffe0, v10
	v_ashrrev_i32_e32 v10, 5, v10
	v_sub_nc_u32_e32 v24, v2, v11
	v_and_b32_e32 v11, 0x7ff, v85
	v_sub_nc_u32_e32 v25, v12, v10
	v_lshlrev_b32_e32 v2, 4, v24
	v_lshl_add_u32 v2, v10, 9, v2
	v_sub_nc_u32_e32 v27, v11, v2
	v_cmpx_lt_i32_e32 15, v27
	s_cbranch_execz .LBB6_2054
; %bb.1667:                             ;   in Loop: Header=BB6_49 Depth=1
	s_trap 2
	ds_read_b64 v[10:11], v0
	v_add_nc_u32_e32 v2, v2, v3
	s_mov_b32 s28, 0
	v_ashrrev_i32_e32 v3, 31, v2
	v_add_co_u32 v18, s13, v2, v98
	v_add_co_ci_u32_e64 v19, null, v3, v99, s13
	s_waitcnt lgkmcnt(0)
	v_add_co_u32 v20, s13, v10, v2
	v_add_co_ci_u32_e64 v21, null, v11, v3, s13
	v_add_co_u32 v22, s13, v2, v100
	v_add_co_ci_u32_e64 v23, null, v3, v101, s13
	s_branch .LBB6_1671
.LBB6_1668:                             ;   in Loop: Header=BB6_1671 Depth=2
	s_or_b32 exec_lo, exec_lo, s13
	v_lshrrev_b32_e32 v17, 20, v17
	v_min_i32_e32 v37, 15, v13
	v_cmp_gt_i32_e64 s13, 16, v13
	v_and_b32_sdwa v3, v3, v59 dst_sel:DWORD dst_unused:UNUSED_PAD src0_sel:BYTE_3 src1_sel:DWORD
	v_lshlrev_b32_e32 v37, 3, v37
	v_cndmask_b32_e64 v17, 7, v17, s13
	v_and_b32_e32 v37, 0xf8, v37
	v_and_b32_e32 v38, 7, v17
	v_or_b32_e32 v13, v13, v17
	v_or3_b32 v3, v3, v37, v38
	v_cmp_ne_u32_e64 s13, 0, v13
	v_lshlrev_b32_e32 v3, 8, v3
	v_cndmask_b32_e64 v13, 0, v3, s13
.LBB6_1669:                             ;   in Loop: Header=BB6_1671 Depth=2
	s_or_b32 exec_lo, exec_lo, s40
.LBB6_1670:                             ;   in Loop: Header=BB6_1671 Depth=2
	s_or_b32 exec_lo, exec_lo, s29
	v_or_b32_sdwa v3, v11, v34 dst_sel:WORD_1 dst_unused:UNUSED_PAD src0_sel:DWORD src1_sel:DWORD
	v_or_b32_sdwa v10, v10, v32 dst_sel:WORD_1 dst_unused:UNUSED_PAD src0_sel:DWORD src1_sel:DWORD
	;; [unrolled: 1-line block ×4, first 2 shown]
	v_sub_nc_u32_e32 v27, v27, v47
	v_or3_b32 v11, v33, v14, v3
	v_or3_b32 v10, v29, v28, v10
	;; [unrolled: 1-line block ×4, first 2 shown]
	v_add_co_u32 v18, s13, v18, v47
	v_add_co_ci_u32_e64 v19, null, 0, v19, s13
	v_add_co_u32 v20, s13, v20, v47
	global_store_dwordx4 v[22:23], v[10:13], off glc slc
	v_add_co_ci_u32_e64 v21, null, 0, v21, s13
	v_cmp_gt_i32_e64 s13, 16, v27
	v_add_co_u32 v22, s14, v22, v47
	v_add_co_ci_u32_e64 v23, null, 0, v23, s14
	v_sub_nc_u32_e32 v25, v25, v119
	s_or_b32 s28, s13, s28
	s_andn2_b32 exec_lo, exec_lo, s28
	s_cbranch_execz .LBB6_2053
.LBB6_1671:                             ;   Parent Loop BB6_49 Depth=1
                                        ; =>  This Inner Loop Header: Depth=2
	global_load_dwordx4 v[14:17], v[18:19], off slc
	global_load_dwordx4 v[10:13], v[20:21], off slc
	s_mov_b32 s13, 0
	s_waitcnt vmcnt(1)
	v_cmp_gt_i16_sdwa s14, v14, v58 src0_sel:BYTE_0 src1_sel:DWORD
	s_and_saveexec_b32 s29, s14
	s_xor_b32 s14, exec_lo, s29
	s_cbranch_execz .LBB6_1989
; %bb.1672:                             ;   in Loop: Header=BB6_1671 Depth=2
	v_cmp_eq_u16_sdwa s40, v14, v59 src0_sel:BYTE_0 src1_sel:DWORD
	s_mov_b32 s13, -1
	s_and_saveexec_b32 s29, s40
; %bb.1673:                             ;   in Loop: Header=BB6_1671 Depth=2
	s_xor_b32 s13, exec_lo, -1
; %bb.1674:                             ;   in Loop: Header=BB6_1671 Depth=2
	s_or_b32 exec_lo, exec_lo, s29
	s_and_b32 s13, s13, exec_lo
	s_or_saveexec_b32 s14, s14
	v_mov_b32_e32 v2, 0x7f800001
	s_xor_b32 exec_lo, exec_lo, s14
	s_cbranch_execnz .LBB6_1990
.LBB6_1675:                             ;   in Loop: Header=BB6_1671 Depth=2
	s_or_b32 exec_lo, exec_lo, s14
	s_and_saveexec_b32 s14, s13
	s_cbranch_execz .LBB6_1677
.LBB6_1676:                             ;   in Loop: Header=BB6_1671 Depth=2
	v_and_b32_e32 v2, 7, v14
	v_bfe_u32 v29, v14, 3, 4
	v_lshlrev_b32_e32 v30, 24, v14
	v_ffbh_u32_e32 v3, v2
	v_cmp_eq_u32_e64 s13, 0, v29
	v_min_u32_e32 v3, 32, v3
	v_subrev_nc_u32_e32 v28, 28, v3
	v_sub_nc_u32_e32 v3, 29, v3
	v_lshlrev_b32_e32 v28, v28, v14
	v_cndmask_b32_e64 v3, v29, v3, s13
	v_and_b32_e32 v28, 7, v28
	v_lshl_add_u32 v3, v3, 23, 0x3b800000
	v_cndmask_b32_e64 v2, v2, v28, s13
	v_and_b32_e32 v28, 0x80000000, v30
	v_lshlrev_b32_e32 v2, 20, v2
	v_or3_b32 v2, v28, v3, v2
.LBB6_1677:                             ;   in Loop: Header=BB6_1671 Depth=2
	s_or_b32 exec_lo, exec_lo, s14
	s_waitcnt vmcnt(0)
	v_cmp_gt_i16_sdwa s14, v10, v58 src0_sel:BYTE_0 src1_sel:DWORD
	s_mov_b32 s13, 0
	s_and_saveexec_b32 s29, s14
	s_xor_b32 s14, exec_lo, s29
	s_cbranch_execz .LBB6_1991
; %bb.1678:                             ;   in Loop: Header=BB6_1671 Depth=2
	v_cmp_eq_u16_sdwa s40, v10, v59 src0_sel:BYTE_0 src1_sel:DWORD
	s_mov_b32 s13, -1
	s_and_saveexec_b32 s29, s40
; %bb.1679:                             ;   in Loop: Header=BB6_1671 Depth=2
	s_xor_b32 s13, exec_lo, -1
; %bb.1680:                             ;   in Loop: Header=BB6_1671 Depth=2
	s_or_b32 exec_lo, exec_lo, s29
	s_and_b32 s13, s13, exec_lo
	s_or_saveexec_b32 s14, s14
	v_mov_b32_e32 v3, 0x7f800001
	s_xor_b32 exec_lo, exec_lo, s14
	s_cbranch_execnz .LBB6_1992
.LBB6_1681:                             ;   in Loop: Header=BB6_1671 Depth=2
	s_or_b32 exec_lo, exec_lo, s14
	s_and_saveexec_b32 s14, s13
	s_cbranch_execz .LBB6_1683
.LBB6_1682:                             ;   in Loop: Header=BB6_1671 Depth=2
	v_and_b32_e32 v3, 7, v10
	v_bfe_u32 v30, v10, 3, 4
	v_lshlrev_b32_e32 v32, 24, v10
	v_ffbh_u32_e32 v28, v3
	v_cmp_eq_u32_e64 s13, 0, v30
	v_min_u32_e32 v28, 32, v28
	v_subrev_nc_u32_e32 v29, 28, v28
	v_sub_nc_u32_e32 v28, 29, v28
	v_lshlrev_b32_e32 v29, v29, v10
	v_cndmask_b32_e64 v28, v30, v28, s13
	v_and_b32_e32 v29, 7, v29
	v_lshl_add_u32 v28, v28, 23, 0x3b800000
	v_cndmask_b32_e64 v3, v3, v29, s13
	v_and_b32_e32 v29, 0x80000000, v32
	v_lshlrev_b32_e32 v3, 20, v3
	v_or3_b32 v3, v29, v28, v3
.LBB6_1683:                             ;   in Loop: Header=BB6_1671 Depth=2
	s_or_b32 exec_lo, exec_lo, s14
	v_add_f32_e32 v2, v2, v3
	v_mov_b32_e32 v28, 0x80
	s_mov_b32 s29, exec_lo
	v_and_b32_e32 v3, 0x7f800000, v2
	v_cmpx_ne_u32_e32 0x7f800000, v3
	s_cbranch_execz .LBB6_1691
; %bb.1684:                             ;   in Loop: Header=BB6_1671 Depth=2
	v_mov_b32_e32 v28, 0
	s_mov_b32 s40, exec_lo
	v_cmpx_ne_u32_e32 0, v2
	s_cbranch_execz .LBB6_1690
; %bb.1685:                             ;   in Loop: Header=BB6_1671 Depth=2
	v_bfe_u32 v3, v2, 23, 8
	v_and_b32_e32 v28, 0x7fffff, v2
	v_sub_nc_u32_e32 v29, 0x78, v3
	v_cmp_gt_u32_e64 s13, 0x79, v3
	v_or_b32_e32 v30, 0x800000, v28
	v_cndmask_b32_e64 v29, 0, v29, s13
	v_cmp_eq_u32_e64 s13, 0, v3
	v_add_nc_u32_e32 v3, 0xffffff89, v3
	v_cndmask_b32_e64 v29, v29, 0x77, s13
	v_cndmask_b32_e64 v28, v30, v28, s13
	;; [unrolled: 1-line block ×3, first 2 shown]
	v_lshl_add_u32 v30, 0x100000, v29, -1
	v_lshrrev_b32_e32 v32, v29, v28
	v_lshlrev_b32_e64 v34, v29, 0x80000
	v_add_nc_u32_e32 v29, v29, v3
	v_and_b32_e32 v28, v30, v28
	v_bfe_u32 v33, v32, 20, 1
	v_cmp_eq_u32_e64 s14, v28, v34
	v_add_nc_u32_e32 v30, -1, v33
	v_cndmask_b32_e64 v28, 0, v30, s14
	v_lshrrev_b32_e32 v30, 23, v32
	s_mov_b32 s14, exec_lo
	v_add_nc_u32_e32 v28, v28, v32
	v_xor_b32_e32 v30, 1, v30
	v_and_b32_e32 v3, 0xfffff, v28
	v_add_nc_u32_e32 v28, v3, v32
                                        ; implicit-def: $vgpr3
	v_cmpx_ne_u32_e64 v29, v30
	s_xor_b32 s14, exec_lo, s14
; %bb.1686:                             ;   in Loop: Header=BB6_1671 Depth=2
	v_cmp_lt_u32_e64 s13, 0xffffff, v28
	v_sub_nc_u32_e32 v3, v29, v30
	v_cndmask_b32_e64 v29, 0, 1, s13
	v_add_co_ci_u32_e64 v3, null, 0, v3, s13
	v_lshrrev_b32_e32 v28, v29, v28
; %bb.1687:                             ;   in Loop: Header=BB6_1671 Depth=2
	s_andn2_saveexec_b32 s13, s14
; %bb.1688:                             ;   in Loop: Header=BB6_1671 Depth=2
	v_bfe_u32 v3, v28, 23, 1
; %bb.1689:                             ;   in Loop: Header=BB6_1671 Depth=2
	s_or_b32 exec_lo, exec_lo, s13
	v_lshrrev_b32_e32 v28, 20, v28
	v_min_i32_e32 v29, 15, v3
	v_cmp_gt_i32_e64 s13, 16, v3
	v_and_b32_sdwa v2, v2, v59 dst_sel:DWORD dst_unused:UNUSED_PAD src0_sel:BYTE_3 src1_sel:DWORD
	v_lshlrev_b32_e32 v29, 3, v29
	v_cndmask_b32_e64 v28, 7, v28, s13
	v_and_b32_e32 v29, 0xf8, v29
	v_and_b32_e32 v30, 7, v28
	v_or_b32_e32 v3, v3, v28
	v_or3_b32 v2, v29, v2, v30
	v_cmp_ne_u32_e64 s13, 0, v3
	v_cndmask_b32_e64 v28, 0, v2, s13
.LBB6_1690:                             ;   in Loop: Header=BB6_1671 Depth=2
	s_or_b32 exec_lo, exec_lo, s40
.LBB6_1691:                             ;   in Loop: Header=BB6_1671 Depth=2
	s_or_b32 exec_lo, exec_lo, s29
	v_cmp_gt_i16_sdwa s14, v14, v58 src0_sel:BYTE_1 src1_sel:DWORD
	s_mov_b32 s13, 0
	s_and_saveexec_b32 s29, s14
	s_xor_b32 s14, exec_lo, s29
	s_cbranch_execz .LBB6_1993
; %bb.1692:                             ;   in Loop: Header=BB6_1671 Depth=2
	v_cmp_eq_u16_sdwa s40, v14, v59 src0_sel:BYTE_1 src1_sel:DWORD
	s_mov_b32 s13, -1
	s_and_saveexec_b32 s29, s40
; %bb.1693:                             ;   in Loop: Header=BB6_1671 Depth=2
	s_xor_b32 s13, exec_lo, -1
; %bb.1694:                             ;   in Loop: Header=BB6_1671 Depth=2
	s_or_b32 exec_lo, exec_lo, s29
	s_and_b32 s13, s13, exec_lo
	s_or_saveexec_b32 s14, s14
	v_mov_b32_e32 v2, 0x7f800001
	s_xor_b32 exec_lo, exec_lo, s14
	s_cbranch_execnz .LBB6_1994
.LBB6_1695:                             ;   in Loop: Header=BB6_1671 Depth=2
	s_or_b32 exec_lo, exec_lo, s14
	s_and_saveexec_b32 s14, s13
	s_cbranch_execz .LBB6_1697
.LBB6_1696:                             ;   in Loop: Header=BB6_1671 Depth=2
	v_and_b32_sdwa v2, v60, v14 dst_sel:DWORD dst_unused:UNUSED_PAD src0_sel:DWORD src1_sel:BYTE_1
	v_and_b32_e32 v3, 7, v2
	v_bfe_u32 v32, v2, 3, 4
	v_ffbh_u32_e32 v29, v3
	v_cmp_eq_u32_e64 s13, 0, v32
	v_min_u32_e32 v29, 32, v29
	v_subrev_nc_u32_e32 v30, 28, v29
	v_sub_nc_u32_e32 v29, 29, v29
	v_lshlrev_b32_e32 v2, v30, v2
	v_lshlrev_b32_sdwa v30, v61, v14 dst_sel:DWORD dst_unused:UNUSED_PAD src0_sel:DWORD src1_sel:BYTE_1
	v_cndmask_b32_e64 v29, v32, v29, s13
	v_and_b32_e32 v2, 7, v2
	v_lshl_add_u32 v29, v29, 23, 0x3b800000
	v_cndmask_b32_e64 v2, v3, v2, s13
	v_and_b32_e32 v3, 0x80000000, v30
	v_lshlrev_b32_e32 v2, 20, v2
	v_or3_b32 v2, v3, v29, v2
.LBB6_1697:                             ;   in Loop: Header=BB6_1671 Depth=2
	s_or_b32 exec_lo, exec_lo, s14
	v_cmp_gt_i16_sdwa s14, v10, v58 src0_sel:BYTE_1 src1_sel:DWORD
	s_mov_b32 s13, 0
	s_and_saveexec_b32 s29, s14
	s_xor_b32 s14, exec_lo, s29
	s_cbranch_execz .LBB6_1995
; %bb.1698:                             ;   in Loop: Header=BB6_1671 Depth=2
	v_cmp_eq_u16_sdwa s40, v10, v59 src0_sel:BYTE_1 src1_sel:DWORD
	s_mov_b32 s13, -1
	s_and_saveexec_b32 s29, s40
; %bb.1699:                             ;   in Loop: Header=BB6_1671 Depth=2
	s_xor_b32 s13, exec_lo, -1
; %bb.1700:                             ;   in Loop: Header=BB6_1671 Depth=2
	s_or_b32 exec_lo, exec_lo, s29
	s_and_b32 s13, s13, exec_lo
	s_or_saveexec_b32 s14, s14
	v_mov_b32_e32 v3, 0x7f800001
	s_xor_b32 exec_lo, exec_lo, s14
	s_cbranch_execnz .LBB6_1996
.LBB6_1701:                             ;   in Loop: Header=BB6_1671 Depth=2
	s_or_b32 exec_lo, exec_lo, s14
	s_and_saveexec_b32 s14, s13
	s_cbranch_execz .LBB6_1703
.LBB6_1702:                             ;   in Loop: Header=BB6_1671 Depth=2
	v_and_b32_sdwa v3, v60, v10 dst_sel:DWORD dst_unused:UNUSED_PAD src0_sel:DWORD src1_sel:BYTE_1
	v_and_b32_e32 v29, 7, v3
	v_bfe_u32 v33, v3, 3, 4
	v_ffbh_u32_e32 v30, v29
	v_cmp_eq_u32_e64 s13, 0, v33
	v_min_u32_e32 v30, 32, v30
	v_subrev_nc_u32_e32 v32, 28, v30
	v_sub_nc_u32_e32 v30, 29, v30
	v_lshlrev_b32_e32 v3, v32, v3
	v_lshlrev_b32_sdwa v32, v61, v10 dst_sel:DWORD dst_unused:UNUSED_PAD src0_sel:DWORD src1_sel:BYTE_1
	v_cndmask_b32_e64 v30, v33, v30, s13
	v_and_b32_e32 v3, 7, v3
	v_lshl_add_u32 v30, v30, 23, 0x3b800000
	v_cndmask_b32_e64 v3, v29, v3, s13
	v_and_b32_e32 v29, 0x80000000, v32
	v_lshlrev_b32_e32 v3, 20, v3
	v_or3_b32 v3, v29, v30, v3
.LBB6_1703:                             ;   in Loop: Header=BB6_1671 Depth=2
	s_or_b32 exec_lo, exec_lo, s14
	v_add_f32_e32 v2, v2, v3
	v_mov_b32_e32 v29, 0x8000
	s_mov_b32 s29, exec_lo
	v_and_b32_e32 v3, 0x7f800000, v2
	v_cmpx_ne_u32_e32 0x7f800000, v3
	s_cbranch_execz .LBB6_1711
; %bb.1704:                             ;   in Loop: Header=BB6_1671 Depth=2
	v_mov_b32_e32 v29, 0
	s_mov_b32 s40, exec_lo
	v_cmpx_ne_u32_e32 0, v2
	s_cbranch_execz .LBB6_1710
; %bb.1705:                             ;   in Loop: Header=BB6_1671 Depth=2
	v_bfe_u32 v3, v2, 23, 8
	v_and_b32_e32 v29, 0x7fffff, v2
	v_sub_nc_u32_e32 v30, 0x78, v3
	v_cmp_gt_u32_e64 s13, 0x79, v3
	v_or_b32_e32 v32, 0x800000, v29
	v_cndmask_b32_e64 v30, 0, v30, s13
	v_cmp_eq_u32_e64 s13, 0, v3
	v_add_nc_u32_e32 v3, 0xffffff89, v3
	v_cndmask_b32_e64 v30, v30, 0x77, s13
	v_cndmask_b32_e64 v29, v32, v29, s13
	;; [unrolled: 1-line block ×3, first 2 shown]
	v_lshl_add_u32 v32, 0x100000, v30, -1
	v_lshrrev_b32_e32 v33, v30, v29
	v_lshlrev_b32_e64 v35, v30, 0x80000
	v_add_nc_u32_e32 v30, v30, v3
	v_and_b32_e32 v29, v32, v29
	v_bfe_u32 v34, v33, 20, 1
	v_cmp_eq_u32_e64 s14, v29, v35
	v_add_nc_u32_e32 v32, -1, v34
	v_cndmask_b32_e64 v29, 0, v32, s14
	v_lshrrev_b32_e32 v32, 23, v33
	s_mov_b32 s14, exec_lo
	v_add_nc_u32_e32 v29, v29, v33
	v_xor_b32_e32 v32, 1, v32
	v_and_b32_e32 v3, 0xfffff, v29
	v_add_nc_u32_e32 v29, v3, v33
                                        ; implicit-def: $vgpr3
	v_cmpx_ne_u32_e64 v30, v32
	s_xor_b32 s14, exec_lo, s14
; %bb.1706:                             ;   in Loop: Header=BB6_1671 Depth=2
	v_cmp_lt_u32_e64 s13, 0xffffff, v29
	v_sub_nc_u32_e32 v3, v30, v32
	v_cndmask_b32_e64 v30, 0, 1, s13
	v_add_co_ci_u32_e64 v3, null, 0, v3, s13
	v_lshrrev_b32_e32 v29, v30, v29
; %bb.1707:                             ;   in Loop: Header=BB6_1671 Depth=2
	s_andn2_saveexec_b32 s13, s14
; %bb.1708:                             ;   in Loop: Header=BB6_1671 Depth=2
	v_bfe_u32 v3, v29, 23, 1
; %bb.1709:                             ;   in Loop: Header=BB6_1671 Depth=2
	s_or_b32 exec_lo, exec_lo, s13
	v_lshrrev_b32_e32 v29, 20, v29
	v_min_i32_e32 v30, 15, v3
	v_cmp_gt_i32_e64 s13, 16, v3
	v_and_b32_sdwa v2, v2, v59 dst_sel:DWORD dst_unused:UNUSED_PAD src0_sel:BYTE_3 src1_sel:DWORD
	v_lshlrev_b32_e32 v30, 3, v30
	v_cndmask_b32_e64 v29, 7, v29, s13
	v_and_b32_e32 v30, 0xf8, v30
	v_and_b32_e32 v32, 7, v29
	v_or_b32_e32 v3, v3, v29
	v_or3_b32 v2, v2, v30, v32
	v_cmp_ne_u32_e64 s13, 0, v3
	v_lshlrev_b32_e32 v2, 8, v2
	v_cndmask_b32_e64 v29, 0, v2, s13
.LBB6_1710:                             ;   in Loop: Header=BB6_1671 Depth=2
	s_or_b32 exec_lo, exec_lo, s40
.LBB6_1711:                             ;   in Loop: Header=BB6_1671 Depth=2
	s_or_b32 exec_lo, exec_lo, s29
	v_and_b32_sdwa v3, v14, v62 dst_sel:DWORD dst_unused:UNUSED_PAD src0_sel:WORD_1 src1_sel:DWORD
	s_mov_b32 s14, 0
	s_mov_b32 s29, exec_lo
	v_cmpx_lt_i16_e32 0x7f, v3
	s_xor_b32 s29, exec_lo, s29
	s_cbranch_execz .LBB6_1997
; %bb.1712:                             ;   in Loop: Header=BB6_1671 Depth=2
	s_mov_b32 s14, -1
	s_mov_b32 s40, exec_lo
	v_cmpx_eq_u16_e32 0x80, v3
; %bb.1713:                             ;   in Loop: Header=BB6_1671 Depth=2
	s_xor_b32 s14, exec_lo, -1
; %bb.1714:                             ;   in Loop: Header=BB6_1671 Depth=2
	s_or_b32 exec_lo, exec_lo, s40
	s_and_b32 s14, s14, exec_lo
                                        ; implicit-def: $vgpr3
	s_or_saveexec_b32 s29, s29
	v_mov_b32_e32 v2, 0x7f800001
	s_xor_b32 exec_lo, exec_lo, s29
	s_cbranch_execnz .LBB6_1998
.LBB6_1715:                             ;   in Loop: Header=BB6_1671 Depth=2
	s_or_b32 exec_lo, exec_lo, s29
	s_and_saveexec_b32 s29, s14
	s_cbranch_execz .LBB6_1717
.LBB6_1716:                             ;   in Loop: Header=BB6_1671 Depth=2
	v_bfe_u32 v2, v14, 16, 3
	v_bfe_u32 v32, v14, 19, 4
	v_lshlrev_b32_e32 v33, 8, v14
	v_ffbh_u32_e32 v3, v2
	v_cmp_eq_u32_e64 s13, 0, v32
	v_min_u32_e32 v3, 32, v3
	v_subrev_nc_u32_e32 v30, 28, v3
	v_sub_nc_u32_e32 v3, 29, v3
	v_lshlrev_b32_sdwa v30, v30, v14 dst_sel:DWORD dst_unused:UNUSED_PAD src0_sel:DWORD src1_sel:WORD_1
	v_cndmask_b32_e64 v3, v32, v3, s13
	v_and_b32_e32 v30, 7, v30
	v_lshl_add_u32 v3, v3, 23, 0x3b800000
	v_cndmask_b32_e64 v2, v2, v30, s13
	v_and_b32_e32 v30, 0x80000000, v33
	v_lshlrev_b32_e32 v2, 20, v2
	v_or3_b32 v2, v30, v3, v2
.LBB6_1717:                             ;   in Loop: Header=BB6_1671 Depth=2
	s_or_b32 exec_lo, exec_lo, s29
	v_and_b32_sdwa v30, v10, v62 dst_sel:DWORD dst_unused:UNUSED_PAD src0_sel:WORD_1 src1_sel:DWORD
	s_mov_b32 s14, 0
	s_mov_b32 s29, exec_lo
	v_cmpx_lt_i16_e32 0x7f, v30
	s_xor_b32 s29, exec_lo, s29
	s_cbranch_execz .LBB6_1999
; %bb.1718:                             ;   in Loop: Header=BB6_1671 Depth=2
	s_mov_b32 s14, -1
	s_mov_b32 s40, exec_lo
	v_cmpx_eq_u16_e32 0x80, v30
; %bb.1719:                             ;   in Loop: Header=BB6_1671 Depth=2
	s_xor_b32 s14, exec_lo, -1
; %bb.1720:                             ;   in Loop: Header=BB6_1671 Depth=2
	s_or_b32 exec_lo, exec_lo, s40
	s_and_b32 s14, s14, exec_lo
                                        ; implicit-def: $vgpr30
	s_or_saveexec_b32 s29, s29
	v_mov_b32_e32 v3, 0x7f800001
	s_xor_b32 exec_lo, exec_lo, s29
	s_cbranch_execnz .LBB6_2000
.LBB6_1721:                             ;   in Loop: Header=BB6_1671 Depth=2
	s_or_b32 exec_lo, exec_lo, s29
	s_and_saveexec_b32 s29, s14
	s_cbranch_execz .LBB6_1723
.LBB6_1722:                             ;   in Loop: Header=BB6_1671 Depth=2
	v_and_b32_sdwa v3, v10, v63 dst_sel:DWORD dst_unused:UNUSED_PAD src0_sel:WORD_1 src1_sel:DWORD
	v_bfe_u32 v33, v10, 19, 4
	v_lshlrev_b32_sdwa v34, v61, v10 dst_sel:DWORD dst_unused:UNUSED_PAD src0_sel:DWORD src1_sel:WORD_1
	v_ffbh_u32_e32 v30, v3
	v_cmp_eq_u32_e64 s13, 0, v33
	v_min_u32_e32 v30, 32, v30
	v_subrev_nc_u32_e32 v32, 28, v30
	v_sub_nc_u32_e32 v30, 29, v30
	v_lshlrev_b32_sdwa v32, v32, v10 dst_sel:DWORD dst_unused:UNUSED_PAD src0_sel:DWORD src1_sel:WORD_1
	v_cndmask_b32_e64 v30, v33, v30, s13
	v_and_b32_e32 v32, 7, v32
	v_lshl_add_u32 v30, v30, 23, 0x3b800000
	v_cndmask_b32_e64 v3, v3, v32, s13
	v_and_b32_e32 v32, 0x80000000, v34
	v_lshlrev_b32_e32 v3, 20, v3
	v_or3_b32 v3, v32, v30, v3
.LBB6_1723:                             ;   in Loop: Header=BB6_1671 Depth=2
	s_or_b32 exec_lo, exec_lo, s29
	v_add_f32_e32 v2, v2, v3
	v_mov_b32_e32 v32, 0x80
	s_mov_b32 s29, exec_lo
	v_and_b32_e32 v3, 0x7f800000, v2
	v_cmpx_ne_u32_e32 0x7f800000, v3
	s_cbranch_execz .LBB6_1731
; %bb.1724:                             ;   in Loop: Header=BB6_1671 Depth=2
	v_mov_b32_e32 v32, 0
	s_mov_b32 s40, exec_lo
	v_cmpx_ne_u32_e32 0, v2
	s_cbranch_execz .LBB6_1730
; %bb.1725:                             ;   in Loop: Header=BB6_1671 Depth=2
	v_bfe_u32 v3, v2, 23, 8
	v_and_b32_e32 v30, 0x7fffff, v2
	v_sub_nc_u32_e32 v32, 0x78, v3
	v_cmp_gt_u32_e64 s13, 0x79, v3
	v_or_b32_e32 v33, 0x800000, v30
	v_cndmask_b32_e64 v32, 0, v32, s13
	v_cmp_eq_u32_e64 s13, 0, v3
	v_add_nc_u32_e32 v3, 0xffffff89, v3
	v_cndmask_b32_e64 v32, v32, 0x77, s13
	v_cndmask_b32_e64 v30, v33, v30, s13
	;; [unrolled: 1-line block ×3, first 2 shown]
	v_lshl_add_u32 v33, 0x100000, v32, -1
	v_lshrrev_b32_e32 v34, v32, v30
	v_lshlrev_b32_e64 v36, v32, 0x80000
	v_add_nc_u32_e32 v32, v32, v3
	v_and_b32_e32 v30, v33, v30
	v_bfe_u32 v35, v34, 20, 1
	v_cmp_eq_u32_e64 s14, v30, v36
	v_add_nc_u32_e32 v33, -1, v35
	v_cndmask_b32_e64 v30, 0, v33, s14
	v_lshrrev_b32_e32 v33, 23, v34
	s_mov_b32 s14, exec_lo
	v_add_nc_u32_e32 v30, v30, v34
	v_xor_b32_e32 v33, 1, v33
	v_and_b32_e32 v3, 0xfffff, v30
	v_add_nc_u32_e32 v30, v3, v34
                                        ; implicit-def: $vgpr3
	v_cmpx_ne_u32_e64 v32, v33
	s_xor_b32 s14, exec_lo, s14
; %bb.1726:                             ;   in Loop: Header=BB6_1671 Depth=2
	v_cmp_lt_u32_e64 s13, 0xffffff, v30
	v_sub_nc_u32_e32 v3, v32, v33
	v_cndmask_b32_e64 v32, 0, 1, s13
	v_add_co_ci_u32_e64 v3, null, 0, v3, s13
	v_lshrrev_b32_e32 v30, v32, v30
; %bb.1727:                             ;   in Loop: Header=BB6_1671 Depth=2
	s_andn2_saveexec_b32 s13, s14
; %bb.1728:                             ;   in Loop: Header=BB6_1671 Depth=2
	v_bfe_u32 v3, v30, 23, 1
; %bb.1729:                             ;   in Loop: Header=BB6_1671 Depth=2
	s_or_b32 exec_lo, exec_lo, s13
	v_lshrrev_b32_e32 v30, 20, v30
	v_min_i32_e32 v32, 15, v3
	v_cmp_gt_i32_e64 s13, 16, v3
	v_and_b32_sdwa v2, v2, v59 dst_sel:DWORD dst_unused:UNUSED_PAD src0_sel:BYTE_3 src1_sel:DWORD
	v_lshlrev_b32_e32 v32, 3, v32
	v_cndmask_b32_e64 v30, 7, v30, s13
	v_and_b32_e32 v32, 0xf8, v32
	v_and_b32_e32 v33, 7, v30
	v_or_b32_e32 v3, v3, v30
	v_or3_b32 v2, v32, v2, v33
	v_cmp_ne_u32_e64 s13, 0, v3
	v_cndmask_b32_e64 v32, 0, v2, s13
.LBB6_1730:                             ;   in Loop: Header=BB6_1671 Depth=2
	s_or_b32 exec_lo, exec_lo, s40
.LBB6_1731:                             ;   in Loop: Header=BB6_1671 Depth=2
	s_or_b32 exec_lo, exec_lo, s29
	v_cmp_gt_i16_sdwa s14, v14, v58 src0_sel:BYTE_3 src1_sel:DWORD
	s_mov_b32 s13, 0
	s_and_saveexec_b32 s29, s14
	s_xor_b32 s14, exec_lo, s29
	s_cbranch_execz .LBB6_2001
; %bb.1732:                             ;   in Loop: Header=BB6_1671 Depth=2
	v_cmp_eq_u16_sdwa s40, v14, v59 src0_sel:BYTE_3 src1_sel:DWORD
	s_mov_b32 s13, -1
	s_and_saveexec_b32 s29, s40
; %bb.1733:                             ;   in Loop: Header=BB6_1671 Depth=2
	s_xor_b32 s13, exec_lo, -1
; %bb.1734:                             ;   in Loop: Header=BB6_1671 Depth=2
	s_or_b32 exec_lo, exec_lo, s29
	s_and_b32 s13, s13, exec_lo
	s_or_saveexec_b32 s14, s14
	v_mov_b32_e32 v2, 0x7f800001
	s_xor_b32 exec_lo, exec_lo, s14
	s_cbranch_execnz .LBB6_2002
.LBB6_1735:                             ;   in Loop: Header=BB6_1671 Depth=2
	s_or_b32 exec_lo, exec_lo, s14
	s_and_saveexec_b32 s14, s13
	s_cbranch_execz .LBB6_1737
.LBB6_1736:                             ;   in Loop: Header=BB6_1671 Depth=2
	v_bfe_u32 v2, v14, 24, 3
	v_bfe_u32 v33, v14, 27, 4
	v_ffbh_u32_e32 v3, v2
	v_cmp_eq_u32_e64 s13, 0, v33
	v_min_u32_e32 v3, 32, v3
	v_subrev_nc_u32_e32 v30, 28, v3
	v_sub_nc_u32_e32 v3, 29, v3
	v_lshlrev_b32_sdwa v30, v30, v14 dst_sel:DWORD dst_unused:UNUSED_PAD src0_sel:DWORD src1_sel:BYTE_3
	v_cndmask_b32_e64 v3, v33, v3, s13
	v_and_b32_e32 v14, 0x80000000, v14
	v_and_b32_e32 v30, 7, v30
	v_lshl_add_u32 v3, v3, 23, 0x3b800000
	v_cndmask_b32_e64 v2, v2, v30, s13
	v_lshlrev_b32_e32 v2, 20, v2
	v_or3_b32 v2, v14, v3, v2
.LBB6_1737:                             ;   in Loop: Header=BB6_1671 Depth=2
	s_or_b32 exec_lo, exec_lo, s14
	v_cmp_gt_i16_sdwa s14, v10, v58 src0_sel:BYTE_3 src1_sel:DWORD
	s_mov_b32 s13, 0
	s_and_saveexec_b32 s29, s14
	s_xor_b32 s14, exec_lo, s29
	s_cbranch_execz .LBB6_2003
; %bb.1738:                             ;   in Loop: Header=BB6_1671 Depth=2
	v_cmp_eq_u16_sdwa s40, v10, v59 src0_sel:BYTE_3 src1_sel:DWORD
	s_mov_b32 s13, -1
	s_and_saveexec_b32 s29, s40
; %bb.1739:                             ;   in Loop: Header=BB6_1671 Depth=2
	s_xor_b32 s13, exec_lo, -1
; %bb.1740:                             ;   in Loop: Header=BB6_1671 Depth=2
	s_or_b32 exec_lo, exec_lo, s29
	s_and_b32 s13, s13, exec_lo
	s_or_saveexec_b32 s14, s14
	v_mov_b32_e32 v3, 0x7f800001
	s_xor_b32 exec_lo, exec_lo, s14
	s_cbranch_execnz .LBB6_2004
.LBB6_1741:                             ;   in Loop: Header=BB6_1671 Depth=2
	s_or_b32 exec_lo, exec_lo, s14
	s_and_saveexec_b32 s14, s13
	s_cbranch_execz .LBB6_1743
.LBB6_1742:                             ;   in Loop: Header=BB6_1671 Depth=2
	v_and_b32_sdwa v3, v10, v63 dst_sel:DWORD dst_unused:UNUSED_PAD src0_sel:BYTE_3 src1_sel:DWORD
	v_bfe_u32 v33, v10, 27, 4
	v_ffbh_u32_e32 v14, v3
	v_cmp_eq_u32_e64 s13, 0, v33
	v_min_u32_e32 v14, 32, v14
	v_subrev_nc_u32_e32 v30, 28, v14
	v_sub_nc_u32_e32 v14, 29, v14
	v_lshlrev_b32_sdwa v30, v30, v10 dst_sel:DWORD dst_unused:UNUSED_PAD src0_sel:DWORD src1_sel:BYTE_3
	v_cndmask_b32_e64 v14, v33, v14, s13
	v_and_b32_e32 v10, 0x80000000, v10
	v_and_b32_e32 v30, 7, v30
	v_lshl_add_u32 v14, v14, 23, 0x3b800000
	v_cndmask_b32_e64 v3, v3, v30, s13
	v_lshlrev_b32_e32 v3, 20, v3
	v_or3_b32 v3, v10, v14, v3
.LBB6_1743:                             ;   in Loop: Header=BB6_1671 Depth=2
	s_or_b32 exec_lo, exec_lo, s14
	v_add_f32_e32 v2, v2, v3
	v_mov_b32_e32 v10, 0x8000
	s_mov_b32 s29, exec_lo
	v_and_b32_e32 v3, 0x7f800000, v2
	v_cmpx_ne_u32_e32 0x7f800000, v3
	s_cbranch_execz .LBB6_1751
; %bb.1744:                             ;   in Loop: Header=BB6_1671 Depth=2
	v_mov_b32_e32 v10, 0
	s_mov_b32 s40, exec_lo
	v_cmpx_ne_u32_e32 0, v2
	s_cbranch_execz .LBB6_1750
; %bb.1745:                             ;   in Loop: Header=BB6_1671 Depth=2
	v_bfe_u32 v3, v2, 23, 8
	v_and_b32_e32 v10, 0x7fffff, v2
	v_sub_nc_u32_e32 v14, 0x78, v3
	v_cmp_gt_u32_e64 s13, 0x79, v3
	v_or_b32_e32 v30, 0x800000, v10
	v_cndmask_b32_e64 v14, 0, v14, s13
	v_cmp_eq_u32_e64 s13, 0, v3
	v_add_nc_u32_e32 v3, 0xffffff89, v3
	v_cndmask_b32_e64 v14, v14, 0x77, s13
	v_cndmask_b32_e64 v10, v30, v10, s13
	;; [unrolled: 1-line block ×3, first 2 shown]
	v_lshl_add_u32 v30, 0x100000, v14, -1
	v_lshrrev_b32_e32 v33, v14, v10
	v_lshlrev_b32_e64 v35, v14, 0x80000
	v_add_nc_u32_e32 v14, v14, v3
	v_and_b32_e32 v10, v30, v10
	v_bfe_u32 v34, v33, 20, 1
	v_cmp_eq_u32_e64 s14, v10, v35
	v_add_nc_u32_e32 v30, -1, v34
	v_cndmask_b32_e64 v10, 0, v30, s14
	v_lshrrev_b32_e32 v30, 23, v33
	s_mov_b32 s14, exec_lo
	v_add_nc_u32_e32 v10, v10, v33
	v_xor_b32_e32 v30, 1, v30
	v_and_b32_e32 v3, 0xfffff, v10
	v_add_nc_u32_e32 v10, v3, v33
                                        ; implicit-def: $vgpr3
	v_cmpx_ne_u32_e64 v14, v30
	s_xor_b32 s14, exec_lo, s14
; %bb.1746:                             ;   in Loop: Header=BB6_1671 Depth=2
	v_cmp_lt_u32_e64 s13, 0xffffff, v10
	v_sub_nc_u32_e32 v3, v14, v30
	v_cndmask_b32_e64 v14, 0, 1, s13
	v_add_co_ci_u32_e64 v3, null, 0, v3, s13
	v_lshrrev_b32_e32 v10, v14, v10
; %bb.1747:                             ;   in Loop: Header=BB6_1671 Depth=2
	s_andn2_saveexec_b32 s13, s14
; %bb.1748:                             ;   in Loop: Header=BB6_1671 Depth=2
	v_bfe_u32 v3, v10, 23, 1
; %bb.1749:                             ;   in Loop: Header=BB6_1671 Depth=2
	s_or_b32 exec_lo, exec_lo, s13
	v_lshrrev_b32_e32 v10, 20, v10
	v_min_i32_e32 v14, 15, v3
	v_cmp_gt_i32_e64 s13, 16, v3
	v_and_b32_sdwa v2, v2, v59 dst_sel:DWORD dst_unused:UNUSED_PAD src0_sel:BYTE_3 src1_sel:DWORD
	v_lshlrev_b32_e32 v14, 3, v14
	v_cndmask_b32_e64 v10, 7, v10, s13
	v_and_b32_e32 v14, 0xf8, v14
	v_and_b32_e32 v30, 7, v10
	v_or_b32_e32 v3, v3, v10
	v_or3_b32 v2, v2, v14, v30
	v_cmp_ne_u32_e64 s13, 0, v3
	v_lshlrev_b32_e32 v2, 8, v2
	v_cndmask_b32_e64 v10, 0, v2, s13
.LBB6_1750:                             ;   in Loop: Header=BB6_1671 Depth=2
	s_or_b32 exec_lo, exec_lo, s40
.LBB6_1751:                             ;   in Loop: Header=BB6_1671 Depth=2
	s_or_b32 exec_lo, exec_lo, s29
	v_cmp_gt_i16_sdwa s14, v15, v58 src0_sel:BYTE_0 src1_sel:DWORD
	s_mov_b32 s13, 0
	s_and_saveexec_b32 s29, s14
	s_xor_b32 s14, exec_lo, s29
	s_cbranch_execz .LBB6_2005
; %bb.1752:                             ;   in Loop: Header=BB6_1671 Depth=2
	v_cmp_eq_u16_sdwa s40, v15, v59 src0_sel:BYTE_0 src1_sel:DWORD
	s_mov_b32 s13, -1
	s_and_saveexec_b32 s29, s40
; %bb.1753:                             ;   in Loop: Header=BB6_1671 Depth=2
	s_xor_b32 s13, exec_lo, -1
; %bb.1754:                             ;   in Loop: Header=BB6_1671 Depth=2
	s_or_b32 exec_lo, exec_lo, s29
	s_and_b32 s13, s13, exec_lo
	s_or_saveexec_b32 s14, s14
	v_mov_b32_e32 v2, 0x7f800001
	s_xor_b32 exec_lo, exec_lo, s14
	s_cbranch_execnz .LBB6_2006
.LBB6_1755:                             ;   in Loop: Header=BB6_1671 Depth=2
	s_or_b32 exec_lo, exec_lo, s14
	s_and_saveexec_b32 s14, s13
	s_cbranch_execz .LBB6_1757
.LBB6_1756:                             ;   in Loop: Header=BB6_1671 Depth=2
	v_and_b32_e32 v2, 7, v15
	v_bfe_u32 v30, v15, 3, 4
	v_lshlrev_b32_e32 v33, 24, v15
	v_ffbh_u32_e32 v3, v2
	v_cmp_eq_u32_e64 s13, 0, v30
	v_min_u32_e32 v3, 32, v3
	v_subrev_nc_u32_e32 v14, 28, v3
	v_sub_nc_u32_e32 v3, 29, v3
	v_lshlrev_b32_e32 v14, v14, v15
	v_cndmask_b32_e64 v3, v30, v3, s13
	v_and_b32_e32 v14, 7, v14
	v_lshl_add_u32 v3, v3, 23, 0x3b800000
	v_cndmask_b32_e64 v2, v2, v14, s13
	v_and_b32_e32 v14, 0x80000000, v33
	v_lshlrev_b32_e32 v2, 20, v2
	v_or3_b32 v2, v14, v3, v2
.LBB6_1757:                             ;   in Loop: Header=BB6_1671 Depth=2
	s_or_b32 exec_lo, exec_lo, s14
	v_cmp_gt_i16_sdwa s14, v11, v58 src0_sel:BYTE_0 src1_sel:DWORD
	s_mov_b32 s13, 0
	s_and_saveexec_b32 s29, s14
	s_xor_b32 s14, exec_lo, s29
	s_cbranch_execz .LBB6_2007
; %bb.1758:                             ;   in Loop: Header=BB6_1671 Depth=2
	v_cmp_eq_u16_sdwa s40, v11, v59 src0_sel:BYTE_0 src1_sel:DWORD
	s_mov_b32 s13, -1
	s_and_saveexec_b32 s29, s40
; %bb.1759:                             ;   in Loop: Header=BB6_1671 Depth=2
	s_xor_b32 s13, exec_lo, -1
; %bb.1760:                             ;   in Loop: Header=BB6_1671 Depth=2
	s_or_b32 exec_lo, exec_lo, s29
	s_and_b32 s13, s13, exec_lo
	s_or_saveexec_b32 s14, s14
	v_mov_b32_e32 v3, 0x7f800001
	s_xor_b32 exec_lo, exec_lo, s14
	s_cbranch_execnz .LBB6_2008
.LBB6_1761:                             ;   in Loop: Header=BB6_1671 Depth=2
	s_or_b32 exec_lo, exec_lo, s14
	s_and_saveexec_b32 s14, s13
	s_cbranch_execz .LBB6_1763
.LBB6_1762:                             ;   in Loop: Header=BB6_1671 Depth=2
	v_and_b32_e32 v3, 7, v11
	v_bfe_u32 v33, v11, 3, 4
	v_lshlrev_b32_e32 v34, 24, v11
	v_ffbh_u32_e32 v14, v3
	v_cmp_eq_u32_e64 s13, 0, v33
	v_min_u32_e32 v14, 32, v14
	v_subrev_nc_u32_e32 v30, 28, v14
	v_sub_nc_u32_e32 v14, 29, v14
	v_lshlrev_b32_e32 v30, v30, v11
	v_cndmask_b32_e64 v14, v33, v14, s13
	v_and_b32_e32 v30, 7, v30
	v_lshl_add_u32 v14, v14, 23, 0x3b800000
	v_cndmask_b32_e64 v3, v3, v30, s13
	v_and_b32_e32 v30, 0x80000000, v34
	v_lshlrev_b32_e32 v3, 20, v3
	v_or3_b32 v3, v30, v14, v3
.LBB6_1763:                             ;   in Loop: Header=BB6_1671 Depth=2
	s_or_b32 exec_lo, exec_lo, s14
	v_add_f32_e32 v2, v2, v3
	v_mov_b32_e32 v14, 0x80
	s_mov_b32 s29, exec_lo
	v_and_b32_e32 v3, 0x7f800000, v2
	v_cmpx_ne_u32_e32 0x7f800000, v3
	s_cbranch_execz .LBB6_1771
; %bb.1764:                             ;   in Loop: Header=BB6_1671 Depth=2
	v_mov_b32_e32 v14, 0
	s_mov_b32 s40, exec_lo
	v_cmpx_ne_u32_e32 0, v2
	s_cbranch_execz .LBB6_1770
; %bb.1765:                             ;   in Loop: Header=BB6_1671 Depth=2
	v_bfe_u32 v3, v2, 23, 8
	v_and_b32_e32 v14, 0x7fffff, v2
	v_sub_nc_u32_e32 v30, 0x78, v3
	v_cmp_gt_u32_e64 s13, 0x79, v3
	v_or_b32_e32 v33, 0x800000, v14
	v_cndmask_b32_e64 v30, 0, v30, s13
	v_cmp_eq_u32_e64 s13, 0, v3
	v_add_nc_u32_e32 v3, 0xffffff89, v3
	v_cndmask_b32_e64 v30, v30, 0x77, s13
	v_cndmask_b32_e64 v14, v33, v14, s13
	;; [unrolled: 1-line block ×3, first 2 shown]
	v_lshl_add_u32 v33, 0x100000, v30, -1
	v_lshrrev_b32_e32 v34, v30, v14
	v_lshlrev_b32_e64 v36, v30, 0x80000
	v_add_nc_u32_e32 v30, v30, v3
	v_and_b32_e32 v14, v33, v14
	v_bfe_u32 v35, v34, 20, 1
	v_cmp_eq_u32_e64 s14, v14, v36
	v_add_nc_u32_e32 v33, -1, v35
	v_cndmask_b32_e64 v14, 0, v33, s14
	v_lshrrev_b32_e32 v33, 23, v34
	s_mov_b32 s14, exec_lo
	v_add_nc_u32_e32 v14, v14, v34
	v_xor_b32_e32 v33, 1, v33
	v_and_b32_e32 v3, 0xfffff, v14
	v_add_nc_u32_e32 v14, v3, v34
                                        ; implicit-def: $vgpr3
	v_cmpx_ne_u32_e64 v30, v33
	s_xor_b32 s14, exec_lo, s14
; %bb.1766:                             ;   in Loop: Header=BB6_1671 Depth=2
	v_cmp_lt_u32_e64 s13, 0xffffff, v14
	v_sub_nc_u32_e32 v3, v30, v33
	v_cndmask_b32_e64 v30, 0, 1, s13
	v_add_co_ci_u32_e64 v3, null, 0, v3, s13
	v_lshrrev_b32_e32 v14, v30, v14
; %bb.1767:                             ;   in Loop: Header=BB6_1671 Depth=2
	s_andn2_saveexec_b32 s13, s14
; %bb.1768:                             ;   in Loop: Header=BB6_1671 Depth=2
	v_bfe_u32 v3, v14, 23, 1
; %bb.1769:                             ;   in Loop: Header=BB6_1671 Depth=2
	s_or_b32 exec_lo, exec_lo, s13
	v_lshrrev_b32_e32 v14, 20, v14
	v_min_i32_e32 v30, 15, v3
	v_cmp_gt_i32_e64 s13, 16, v3
	v_and_b32_sdwa v2, v2, v59 dst_sel:DWORD dst_unused:UNUSED_PAD src0_sel:BYTE_3 src1_sel:DWORD
	v_lshlrev_b32_e32 v30, 3, v30
	v_cndmask_b32_e64 v14, 7, v14, s13
	v_and_b32_e32 v30, 0xf8, v30
	v_and_b32_e32 v33, 7, v14
	v_or_b32_e32 v3, v3, v14
	v_or3_b32 v2, v30, v2, v33
	v_cmp_ne_u32_e64 s13, 0, v3
	v_cndmask_b32_e64 v14, 0, v2, s13
.LBB6_1770:                             ;   in Loop: Header=BB6_1671 Depth=2
	s_or_b32 exec_lo, exec_lo, s40
.LBB6_1771:                             ;   in Loop: Header=BB6_1671 Depth=2
	s_or_b32 exec_lo, exec_lo, s29
	v_cmp_gt_i16_sdwa s14, v15, v58 src0_sel:BYTE_1 src1_sel:DWORD
	s_mov_b32 s13, 0
	s_and_saveexec_b32 s29, s14
	s_xor_b32 s14, exec_lo, s29
	s_cbranch_execz .LBB6_2009
; %bb.1772:                             ;   in Loop: Header=BB6_1671 Depth=2
	v_cmp_eq_u16_sdwa s40, v15, v59 src0_sel:BYTE_1 src1_sel:DWORD
	s_mov_b32 s13, -1
	s_and_saveexec_b32 s29, s40
; %bb.1773:                             ;   in Loop: Header=BB6_1671 Depth=2
	s_xor_b32 s13, exec_lo, -1
; %bb.1774:                             ;   in Loop: Header=BB6_1671 Depth=2
	s_or_b32 exec_lo, exec_lo, s29
	s_and_b32 s13, s13, exec_lo
	s_or_saveexec_b32 s14, s14
	v_mov_b32_e32 v2, 0x7f800001
	s_xor_b32 exec_lo, exec_lo, s14
	s_cbranch_execnz .LBB6_2010
.LBB6_1775:                             ;   in Loop: Header=BB6_1671 Depth=2
	s_or_b32 exec_lo, exec_lo, s14
	s_and_saveexec_b32 s14, s13
	s_cbranch_execz .LBB6_1777
.LBB6_1776:                             ;   in Loop: Header=BB6_1671 Depth=2
	v_and_b32_sdwa v2, v60, v15 dst_sel:DWORD dst_unused:UNUSED_PAD src0_sel:DWORD src1_sel:BYTE_1
	v_and_b32_e32 v3, 7, v2
	v_bfe_u32 v34, v2, 3, 4
	v_ffbh_u32_e32 v30, v3
	v_cmp_eq_u32_e64 s13, 0, v34
	v_min_u32_e32 v30, 32, v30
	v_subrev_nc_u32_e32 v33, 28, v30
	v_sub_nc_u32_e32 v30, 29, v30
	v_lshlrev_b32_e32 v2, v33, v2
	v_lshlrev_b32_sdwa v33, v61, v15 dst_sel:DWORD dst_unused:UNUSED_PAD src0_sel:DWORD src1_sel:BYTE_1
	v_cndmask_b32_e64 v30, v34, v30, s13
	v_and_b32_e32 v2, 7, v2
	v_lshl_add_u32 v30, v30, 23, 0x3b800000
	v_cndmask_b32_e64 v2, v3, v2, s13
	v_and_b32_e32 v3, 0x80000000, v33
	v_lshlrev_b32_e32 v2, 20, v2
	v_or3_b32 v2, v3, v30, v2
.LBB6_1777:                             ;   in Loop: Header=BB6_1671 Depth=2
	s_or_b32 exec_lo, exec_lo, s14
	v_cmp_gt_i16_sdwa s14, v11, v58 src0_sel:BYTE_1 src1_sel:DWORD
	s_mov_b32 s13, 0
	s_and_saveexec_b32 s29, s14
	s_xor_b32 s14, exec_lo, s29
	s_cbranch_execz .LBB6_2011
; %bb.1778:                             ;   in Loop: Header=BB6_1671 Depth=2
	v_cmp_eq_u16_sdwa s40, v11, v59 src0_sel:BYTE_1 src1_sel:DWORD
	s_mov_b32 s13, -1
	s_and_saveexec_b32 s29, s40
; %bb.1779:                             ;   in Loop: Header=BB6_1671 Depth=2
	s_xor_b32 s13, exec_lo, -1
; %bb.1780:                             ;   in Loop: Header=BB6_1671 Depth=2
	s_or_b32 exec_lo, exec_lo, s29
	s_and_b32 s13, s13, exec_lo
	s_or_saveexec_b32 s14, s14
	v_mov_b32_e32 v3, 0x7f800001
	s_xor_b32 exec_lo, exec_lo, s14
	s_cbranch_execnz .LBB6_2012
.LBB6_1781:                             ;   in Loop: Header=BB6_1671 Depth=2
	s_or_b32 exec_lo, exec_lo, s14
	s_and_saveexec_b32 s14, s13
	s_cbranch_execz .LBB6_1783
.LBB6_1782:                             ;   in Loop: Header=BB6_1671 Depth=2
	v_and_b32_sdwa v3, v60, v11 dst_sel:DWORD dst_unused:UNUSED_PAD src0_sel:DWORD src1_sel:BYTE_1
	v_and_b32_e32 v30, 7, v3
	v_bfe_u32 v35, v3, 3, 4
	v_ffbh_u32_e32 v33, v30
	v_cmp_eq_u32_e64 s13, 0, v35
	v_min_u32_e32 v33, 32, v33
	v_subrev_nc_u32_e32 v34, 28, v33
	v_sub_nc_u32_e32 v33, 29, v33
	v_lshlrev_b32_e32 v3, v34, v3
	v_lshlrev_b32_sdwa v34, v61, v11 dst_sel:DWORD dst_unused:UNUSED_PAD src0_sel:DWORD src1_sel:BYTE_1
	v_cndmask_b32_e64 v33, v35, v33, s13
	v_and_b32_e32 v3, 7, v3
	v_lshl_add_u32 v33, v33, 23, 0x3b800000
	v_cndmask_b32_e64 v3, v30, v3, s13
	v_and_b32_e32 v30, 0x80000000, v34
	v_lshlrev_b32_e32 v3, 20, v3
	v_or3_b32 v3, v30, v33, v3
.LBB6_1783:                             ;   in Loop: Header=BB6_1671 Depth=2
	s_or_b32 exec_lo, exec_lo, s14
	v_add_f32_e32 v2, v2, v3
	v_mov_b32_e32 v33, 0x8000
	s_mov_b32 s29, exec_lo
	v_and_b32_e32 v3, 0x7f800000, v2
	v_cmpx_ne_u32_e32 0x7f800000, v3
	s_cbranch_execz .LBB6_1791
; %bb.1784:                             ;   in Loop: Header=BB6_1671 Depth=2
	v_mov_b32_e32 v33, 0
	s_mov_b32 s40, exec_lo
	v_cmpx_ne_u32_e32 0, v2
	s_cbranch_execz .LBB6_1790
; %bb.1785:                             ;   in Loop: Header=BB6_1671 Depth=2
	v_bfe_u32 v3, v2, 23, 8
	v_and_b32_e32 v30, 0x7fffff, v2
	v_sub_nc_u32_e32 v33, 0x78, v3
	v_cmp_gt_u32_e64 s13, 0x79, v3
	v_or_b32_e32 v34, 0x800000, v30
	v_cndmask_b32_e64 v33, 0, v33, s13
	v_cmp_eq_u32_e64 s13, 0, v3
	v_add_nc_u32_e32 v3, 0xffffff89, v3
	v_cndmask_b32_e64 v33, v33, 0x77, s13
	v_cndmask_b32_e64 v30, v34, v30, s13
	;; [unrolled: 1-line block ×3, first 2 shown]
	v_lshl_add_u32 v34, 0x100000, v33, -1
	v_lshrrev_b32_e32 v35, v33, v30
	v_lshlrev_b32_e64 v37, v33, 0x80000
	v_add_nc_u32_e32 v33, v33, v3
	v_and_b32_e32 v30, v34, v30
	v_bfe_u32 v36, v35, 20, 1
	v_cmp_eq_u32_e64 s14, v30, v37
	v_add_nc_u32_e32 v34, -1, v36
	v_cndmask_b32_e64 v30, 0, v34, s14
	v_lshrrev_b32_e32 v34, 23, v35
	s_mov_b32 s14, exec_lo
	v_add_nc_u32_e32 v30, v30, v35
	v_xor_b32_e32 v34, 1, v34
	v_and_b32_e32 v3, 0xfffff, v30
	v_add_nc_u32_e32 v30, v3, v35
                                        ; implicit-def: $vgpr3
	v_cmpx_ne_u32_e64 v33, v34
	s_xor_b32 s14, exec_lo, s14
; %bb.1786:                             ;   in Loop: Header=BB6_1671 Depth=2
	v_cmp_lt_u32_e64 s13, 0xffffff, v30
	v_sub_nc_u32_e32 v3, v33, v34
	v_cndmask_b32_e64 v33, 0, 1, s13
	v_add_co_ci_u32_e64 v3, null, 0, v3, s13
	v_lshrrev_b32_e32 v30, v33, v30
; %bb.1787:                             ;   in Loop: Header=BB6_1671 Depth=2
	s_andn2_saveexec_b32 s13, s14
; %bb.1788:                             ;   in Loop: Header=BB6_1671 Depth=2
	v_bfe_u32 v3, v30, 23, 1
; %bb.1789:                             ;   in Loop: Header=BB6_1671 Depth=2
	s_or_b32 exec_lo, exec_lo, s13
	v_lshrrev_b32_e32 v30, 20, v30
	v_min_i32_e32 v33, 15, v3
	v_cmp_gt_i32_e64 s13, 16, v3
	v_and_b32_sdwa v2, v2, v59 dst_sel:DWORD dst_unused:UNUSED_PAD src0_sel:BYTE_3 src1_sel:DWORD
	v_lshlrev_b32_e32 v33, 3, v33
	v_cndmask_b32_e64 v30, 7, v30, s13
	v_and_b32_e32 v33, 0xf8, v33
	v_and_b32_e32 v34, 7, v30
	v_or_b32_e32 v3, v3, v30
	v_or3_b32 v2, v2, v33, v34
	v_cmp_ne_u32_e64 s13, 0, v3
	v_lshlrev_b32_e32 v2, 8, v2
	v_cndmask_b32_e64 v33, 0, v2, s13
.LBB6_1790:                             ;   in Loop: Header=BB6_1671 Depth=2
	s_or_b32 exec_lo, exec_lo, s40
.LBB6_1791:                             ;   in Loop: Header=BB6_1671 Depth=2
	s_or_b32 exec_lo, exec_lo, s29
	v_and_b32_sdwa v3, v15, v62 dst_sel:DWORD dst_unused:UNUSED_PAD src0_sel:WORD_1 src1_sel:DWORD
	s_mov_b32 s14, 0
	s_mov_b32 s29, exec_lo
	v_cmpx_lt_i16_e32 0x7f, v3
	s_xor_b32 s29, exec_lo, s29
	s_cbranch_execz .LBB6_2013
; %bb.1792:                             ;   in Loop: Header=BB6_1671 Depth=2
	s_mov_b32 s14, -1
	s_mov_b32 s40, exec_lo
	v_cmpx_eq_u16_e32 0x80, v3
; %bb.1793:                             ;   in Loop: Header=BB6_1671 Depth=2
	s_xor_b32 s14, exec_lo, -1
; %bb.1794:                             ;   in Loop: Header=BB6_1671 Depth=2
	s_or_b32 exec_lo, exec_lo, s40
	s_and_b32 s14, s14, exec_lo
                                        ; implicit-def: $vgpr3
	s_or_saveexec_b32 s29, s29
	v_mov_b32_e32 v2, 0x7f800001
	s_xor_b32 exec_lo, exec_lo, s29
	s_cbranch_execnz .LBB6_2014
.LBB6_1795:                             ;   in Loop: Header=BB6_1671 Depth=2
	s_or_b32 exec_lo, exec_lo, s29
	s_and_saveexec_b32 s29, s14
	s_cbranch_execz .LBB6_1797
.LBB6_1796:                             ;   in Loop: Header=BB6_1671 Depth=2
	v_bfe_u32 v2, v15, 16, 3
	v_bfe_u32 v34, v15, 19, 4
	v_lshlrev_b32_e32 v35, 8, v15
	v_ffbh_u32_e32 v3, v2
	v_cmp_eq_u32_e64 s13, 0, v34
	v_min_u32_e32 v3, 32, v3
	v_subrev_nc_u32_e32 v30, 28, v3
	v_sub_nc_u32_e32 v3, 29, v3
	v_lshlrev_b32_sdwa v30, v30, v15 dst_sel:DWORD dst_unused:UNUSED_PAD src0_sel:DWORD src1_sel:WORD_1
	v_cndmask_b32_e64 v3, v34, v3, s13
	v_and_b32_e32 v30, 7, v30
	v_lshl_add_u32 v3, v3, 23, 0x3b800000
	v_cndmask_b32_e64 v2, v2, v30, s13
	v_and_b32_e32 v30, 0x80000000, v35
	v_lshlrev_b32_e32 v2, 20, v2
	v_or3_b32 v2, v30, v3, v2
.LBB6_1797:                             ;   in Loop: Header=BB6_1671 Depth=2
	s_or_b32 exec_lo, exec_lo, s29
	v_and_b32_sdwa v30, v11, v62 dst_sel:DWORD dst_unused:UNUSED_PAD src0_sel:WORD_1 src1_sel:DWORD
	s_mov_b32 s14, 0
	s_mov_b32 s29, exec_lo
	v_cmpx_lt_i16_e32 0x7f, v30
	s_xor_b32 s29, exec_lo, s29
	s_cbranch_execz .LBB6_2015
; %bb.1798:                             ;   in Loop: Header=BB6_1671 Depth=2
	s_mov_b32 s14, -1
	s_mov_b32 s40, exec_lo
	v_cmpx_eq_u16_e32 0x80, v30
; %bb.1799:                             ;   in Loop: Header=BB6_1671 Depth=2
	s_xor_b32 s14, exec_lo, -1
; %bb.1800:                             ;   in Loop: Header=BB6_1671 Depth=2
	s_or_b32 exec_lo, exec_lo, s40
	s_and_b32 s14, s14, exec_lo
                                        ; implicit-def: $vgpr30
	s_or_saveexec_b32 s29, s29
	v_mov_b32_e32 v3, 0x7f800001
	s_xor_b32 exec_lo, exec_lo, s29
	s_cbranch_execnz .LBB6_2016
.LBB6_1801:                             ;   in Loop: Header=BB6_1671 Depth=2
	s_or_b32 exec_lo, exec_lo, s29
	s_and_saveexec_b32 s29, s14
	s_cbranch_execz .LBB6_1803
.LBB6_1802:                             ;   in Loop: Header=BB6_1671 Depth=2
	v_and_b32_sdwa v3, v11, v63 dst_sel:DWORD dst_unused:UNUSED_PAD src0_sel:WORD_1 src1_sel:DWORD
	v_bfe_u32 v35, v11, 19, 4
	v_lshlrev_b32_sdwa v36, v61, v11 dst_sel:DWORD dst_unused:UNUSED_PAD src0_sel:DWORD src1_sel:WORD_1
	v_ffbh_u32_e32 v30, v3
	v_cmp_eq_u32_e64 s13, 0, v35
	v_min_u32_e32 v30, 32, v30
	v_subrev_nc_u32_e32 v34, 28, v30
	v_sub_nc_u32_e32 v30, 29, v30
	v_lshlrev_b32_sdwa v34, v34, v11 dst_sel:DWORD dst_unused:UNUSED_PAD src0_sel:DWORD src1_sel:WORD_1
	v_cndmask_b32_e64 v30, v35, v30, s13
	v_and_b32_e32 v34, 7, v34
	v_lshl_add_u32 v30, v30, 23, 0x3b800000
	v_cndmask_b32_e64 v3, v3, v34, s13
	v_and_b32_e32 v34, 0x80000000, v36
	v_lshlrev_b32_e32 v3, 20, v3
	v_or3_b32 v3, v34, v30, v3
.LBB6_1803:                             ;   in Loop: Header=BB6_1671 Depth=2
	s_or_b32 exec_lo, exec_lo, s29
	v_add_f32_e32 v2, v2, v3
	v_mov_b32_e32 v34, 0x80
	s_mov_b32 s29, exec_lo
	v_and_b32_e32 v3, 0x7f800000, v2
	v_cmpx_ne_u32_e32 0x7f800000, v3
	s_cbranch_execz .LBB6_1811
; %bb.1804:                             ;   in Loop: Header=BB6_1671 Depth=2
	v_mov_b32_e32 v34, 0
	s_mov_b32 s40, exec_lo
	v_cmpx_ne_u32_e32 0, v2
	s_cbranch_execz .LBB6_1810
; %bb.1805:                             ;   in Loop: Header=BB6_1671 Depth=2
	v_bfe_u32 v3, v2, 23, 8
	v_and_b32_e32 v30, 0x7fffff, v2
	v_sub_nc_u32_e32 v34, 0x78, v3
	v_cmp_gt_u32_e64 s13, 0x79, v3
	v_or_b32_e32 v35, 0x800000, v30
	v_cndmask_b32_e64 v34, 0, v34, s13
	v_cmp_eq_u32_e64 s13, 0, v3
	v_add_nc_u32_e32 v3, 0xffffff89, v3
	v_cndmask_b32_e64 v34, v34, 0x77, s13
	v_cndmask_b32_e64 v30, v35, v30, s13
	;; [unrolled: 1-line block ×3, first 2 shown]
	v_lshl_add_u32 v35, 0x100000, v34, -1
	v_lshrrev_b32_e32 v36, v34, v30
	v_lshlrev_b32_e64 v38, v34, 0x80000
	v_add_nc_u32_e32 v34, v34, v3
	v_and_b32_e32 v30, v35, v30
	v_bfe_u32 v37, v36, 20, 1
	v_cmp_eq_u32_e64 s14, v30, v38
	v_add_nc_u32_e32 v35, -1, v37
	v_cndmask_b32_e64 v30, 0, v35, s14
	v_lshrrev_b32_e32 v35, 23, v36
	s_mov_b32 s14, exec_lo
	v_add_nc_u32_e32 v30, v30, v36
	v_xor_b32_e32 v35, 1, v35
	v_and_b32_e32 v3, 0xfffff, v30
	v_add_nc_u32_e32 v30, v3, v36
                                        ; implicit-def: $vgpr3
	v_cmpx_ne_u32_e64 v34, v35
	s_xor_b32 s14, exec_lo, s14
; %bb.1806:                             ;   in Loop: Header=BB6_1671 Depth=2
	v_cmp_lt_u32_e64 s13, 0xffffff, v30
	v_sub_nc_u32_e32 v3, v34, v35
	v_cndmask_b32_e64 v34, 0, 1, s13
	v_add_co_ci_u32_e64 v3, null, 0, v3, s13
	v_lshrrev_b32_e32 v30, v34, v30
; %bb.1807:                             ;   in Loop: Header=BB6_1671 Depth=2
	s_andn2_saveexec_b32 s13, s14
; %bb.1808:                             ;   in Loop: Header=BB6_1671 Depth=2
	v_bfe_u32 v3, v30, 23, 1
; %bb.1809:                             ;   in Loop: Header=BB6_1671 Depth=2
	s_or_b32 exec_lo, exec_lo, s13
	v_lshrrev_b32_e32 v30, 20, v30
	v_min_i32_e32 v34, 15, v3
	v_cmp_gt_i32_e64 s13, 16, v3
	v_and_b32_sdwa v2, v2, v59 dst_sel:DWORD dst_unused:UNUSED_PAD src0_sel:BYTE_3 src1_sel:DWORD
	v_lshlrev_b32_e32 v34, 3, v34
	v_cndmask_b32_e64 v30, 7, v30, s13
	v_and_b32_e32 v34, 0xf8, v34
	v_and_b32_e32 v35, 7, v30
	v_or_b32_e32 v3, v3, v30
	v_or3_b32 v2, v34, v2, v35
	v_cmp_ne_u32_e64 s13, 0, v3
	v_cndmask_b32_e64 v34, 0, v2, s13
.LBB6_1810:                             ;   in Loop: Header=BB6_1671 Depth=2
	s_or_b32 exec_lo, exec_lo, s40
.LBB6_1811:                             ;   in Loop: Header=BB6_1671 Depth=2
	s_or_b32 exec_lo, exec_lo, s29
	v_cmp_gt_i16_sdwa s14, v15, v58 src0_sel:BYTE_3 src1_sel:DWORD
	s_mov_b32 s13, 0
	s_and_saveexec_b32 s29, s14
	s_xor_b32 s14, exec_lo, s29
	s_cbranch_execz .LBB6_2017
; %bb.1812:                             ;   in Loop: Header=BB6_1671 Depth=2
	v_cmp_eq_u16_sdwa s40, v15, v59 src0_sel:BYTE_3 src1_sel:DWORD
	s_mov_b32 s13, -1
	s_and_saveexec_b32 s29, s40
; %bb.1813:                             ;   in Loop: Header=BB6_1671 Depth=2
	s_xor_b32 s13, exec_lo, -1
; %bb.1814:                             ;   in Loop: Header=BB6_1671 Depth=2
	s_or_b32 exec_lo, exec_lo, s29
	s_and_b32 s13, s13, exec_lo
	s_or_saveexec_b32 s14, s14
	v_mov_b32_e32 v2, 0x7f800001
	s_xor_b32 exec_lo, exec_lo, s14
	s_cbranch_execnz .LBB6_2018
.LBB6_1815:                             ;   in Loop: Header=BB6_1671 Depth=2
	s_or_b32 exec_lo, exec_lo, s14
	s_and_saveexec_b32 s14, s13
	s_cbranch_execz .LBB6_1817
.LBB6_1816:                             ;   in Loop: Header=BB6_1671 Depth=2
	v_bfe_u32 v2, v15, 24, 3
	v_bfe_u32 v35, v15, 27, 4
	v_ffbh_u32_e32 v3, v2
	v_cmp_eq_u32_e64 s13, 0, v35
	v_min_u32_e32 v3, 32, v3
	v_subrev_nc_u32_e32 v30, 28, v3
	v_sub_nc_u32_e32 v3, 29, v3
	v_lshlrev_b32_sdwa v30, v30, v15 dst_sel:DWORD dst_unused:UNUSED_PAD src0_sel:DWORD src1_sel:BYTE_3
	v_cndmask_b32_e64 v3, v35, v3, s13
	v_and_b32_e32 v15, 0x80000000, v15
	v_and_b32_e32 v30, 7, v30
	v_lshl_add_u32 v3, v3, 23, 0x3b800000
	v_cndmask_b32_e64 v2, v2, v30, s13
	v_lshlrev_b32_e32 v2, 20, v2
	v_or3_b32 v2, v15, v3, v2
.LBB6_1817:                             ;   in Loop: Header=BB6_1671 Depth=2
	s_or_b32 exec_lo, exec_lo, s14
	v_cmp_gt_i16_sdwa s14, v11, v58 src0_sel:BYTE_3 src1_sel:DWORD
	s_mov_b32 s13, 0
	s_and_saveexec_b32 s29, s14
	s_xor_b32 s14, exec_lo, s29
	s_cbranch_execz .LBB6_2019
; %bb.1818:                             ;   in Loop: Header=BB6_1671 Depth=2
	v_cmp_eq_u16_sdwa s40, v11, v59 src0_sel:BYTE_3 src1_sel:DWORD
	s_mov_b32 s13, -1
	s_and_saveexec_b32 s29, s40
; %bb.1819:                             ;   in Loop: Header=BB6_1671 Depth=2
	s_xor_b32 s13, exec_lo, -1
; %bb.1820:                             ;   in Loop: Header=BB6_1671 Depth=2
	s_or_b32 exec_lo, exec_lo, s29
	s_and_b32 s13, s13, exec_lo
	s_or_saveexec_b32 s14, s14
	v_mov_b32_e32 v3, 0x7f800001
	s_xor_b32 exec_lo, exec_lo, s14
	s_cbranch_execnz .LBB6_2020
.LBB6_1821:                             ;   in Loop: Header=BB6_1671 Depth=2
	s_or_b32 exec_lo, exec_lo, s14
	s_and_saveexec_b32 s14, s13
	s_cbranch_execz .LBB6_1823
.LBB6_1822:                             ;   in Loop: Header=BB6_1671 Depth=2
	v_and_b32_sdwa v3, v11, v63 dst_sel:DWORD dst_unused:UNUSED_PAD src0_sel:BYTE_3 src1_sel:DWORD
	v_bfe_u32 v35, v11, 27, 4
	v_ffbh_u32_e32 v15, v3
	v_cmp_eq_u32_e64 s13, 0, v35
	v_min_u32_e32 v15, 32, v15
	v_subrev_nc_u32_e32 v30, 28, v15
	v_sub_nc_u32_e32 v15, 29, v15
	v_lshlrev_b32_sdwa v30, v30, v11 dst_sel:DWORD dst_unused:UNUSED_PAD src0_sel:DWORD src1_sel:BYTE_3
	v_cndmask_b32_e64 v15, v35, v15, s13
	v_and_b32_e32 v11, 0x80000000, v11
	v_and_b32_e32 v30, 7, v30
	v_lshl_add_u32 v15, v15, 23, 0x3b800000
	v_cndmask_b32_e64 v3, v3, v30, s13
	v_lshlrev_b32_e32 v3, 20, v3
	v_or3_b32 v3, v11, v15, v3
.LBB6_1823:                             ;   in Loop: Header=BB6_1671 Depth=2
	s_or_b32 exec_lo, exec_lo, s14
	v_add_f32_e32 v2, v2, v3
	v_mov_b32_e32 v11, 0x8000
	s_mov_b32 s29, exec_lo
	v_and_b32_e32 v3, 0x7f800000, v2
	v_cmpx_ne_u32_e32 0x7f800000, v3
	s_cbranch_execz .LBB6_1831
; %bb.1824:                             ;   in Loop: Header=BB6_1671 Depth=2
	v_mov_b32_e32 v11, 0
	s_mov_b32 s40, exec_lo
	v_cmpx_ne_u32_e32 0, v2
	s_cbranch_execz .LBB6_1830
; %bb.1825:                             ;   in Loop: Header=BB6_1671 Depth=2
	v_bfe_u32 v3, v2, 23, 8
	v_and_b32_e32 v11, 0x7fffff, v2
	v_sub_nc_u32_e32 v15, 0x78, v3
	v_cmp_gt_u32_e64 s13, 0x79, v3
	v_or_b32_e32 v30, 0x800000, v11
	v_cndmask_b32_e64 v15, 0, v15, s13
	v_cmp_eq_u32_e64 s13, 0, v3
	v_add_nc_u32_e32 v3, 0xffffff89, v3
	v_cndmask_b32_e64 v15, v15, 0x77, s13
	v_cndmask_b32_e64 v11, v30, v11, s13
	;; [unrolled: 1-line block ×3, first 2 shown]
	v_lshl_add_u32 v30, 0x100000, v15, -1
	v_lshrrev_b32_e32 v35, v15, v11
	v_lshlrev_b32_e64 v37, v15, 0x80000
	v_add_nc_u32_e32 v15, v15, v3
	v_and_b32_e32 v11, v30, v11
	v_bfe_u32 v36, v35, 20, 1
	v_cmp_eq_u32_e64 s14, v11, v37
	v_add_nc_u32_e32 v30, -1, v36
	v_cndmask_b32_e64 v11, 0, v30, s14
	v_lshrrev_b32_e32 v30, 23, v35
	s_mov_b32 s14, exec_lo
	v_add_nc_u32_e32 v11, v11, v35
	v_xor_b32_e32 v30, 1, v30
	v_and_b32_e32 v3, 0xfffff, v11
	v_add_nc_u32_e32 v11, v3, v35
                                        ; implicit-def: $vgpr3
	v_cmpx_ne_u32_e64 v15, v30
	s_xor_b32 s14, exec_lo, s14
; %bb.1826:                             ;   in Loop: Header=BB6_1671 Depth=2
	v_cmp_lt_u32_e64 s13, 0xffffff, v11
	v_sub_nc_u32_e32 v3, v15, v30
	v_cndmask_b32_e64 v15, 0, 1, s13
	v_add_co_ci_u32_e64 v3, null, 0, v3, s13
	v_lshrrev_b32_e32 v11, v15, v11
; %bb.1827:                             ;   in Loop: Header=BB6_1671 Depth=2
	s_andn2_saveexec_b32 s13, s14
; %bb.1828:                             ;   in Loop: Header=BB6_1671 Depth=2
	v_bfe_u32 v3, v11, 23, 1
; %bb.1829:                             ;   in Loop: Header=BB6_1671 Depth=2
	s_or_b32 exec_lo, exec_lo, s13
	v_lshrrev_b32_e32 v11, 20, v11
	v_min_i32_e32 v15, 15, v3
	v_cmp_gt_i32_e64 s13, 16, v3
	v_and_b32_sdwa v2, v2, v59 dst_sel:DWORD dst_unused:UNUSED_PAD src0_sel:BYTE_3 src1_sel:DWORD
	v_lshlrev_b32_e32 v15, 3, v15
	v_cndmask_b32_e64 v11, 7, v11, s13
	v_and_b32_e32 v15, 0xf8, v15
	v_and_b32_e32 v30, 7, v11
	v_or_b32_e32 v3, v3, v11
	v_or3_b32 v2, v2, v15, v30
	v_cmp_ne_u32_e64 s13, 0, v3
	v_lshlrev_b32_e32 v2, 8, v2
	v_cndmask_b32_e64 v11, 0, v2, s13
.LBB6_1830:                             ;   in Loop: Header=BB6_1671 Depth=2
	s_or_b32 exec_lo, exec_lo, s40
.LBB6_1831:                             ;   in Loop: Header=BB6_1671 Depth=2
	s_or_b32 exec_lo, exec_lo, s29
	v_cmp_gt_i16_sdwa s14, v16, v58 src0_sel:BYTE_0 src1_sel:DWORD
	s_mov_b32 s13, 0
	s_and_saveexec_b32 s29, s14
	s_xor_b32 s14, exec_lo, s29
	s_cbranch_execz .LBB6_2021
; %bb.1832:                             ;   in Loop: Header=BB6_1671 Depth=2
	v_cmp_eq_u16_sdwa s40, v16, v59 src0_sel:BYTE_0 src1_sel:DWORD
	s_mov_b32 s13, -1
	s_and_saveexec_b32 s29, s40
; %bb.1833:                             ;   in Loop: Header=BB6_1671 Depth=2
	s_xor_b32 s13, exec_lo, -1
; %bb.1834:                             ;   in Loop: Header=BB6_1671 Depth=2
	s_or_b32 exec_lo, exec_lo, s29
	s_and_b32 s13, s13, exec_lo
	s_or_saveexec_b32 s14, s14
	v_mov_b32_e32 v2, 0x7f800001
	s_xor_b32 exec_lo, exec_lo, s14
	s_cbranch_execnz .LBB6_2022
.LBB6_1835:                             ;   in Loop: Header=BB6_1671 Depth=2
	s_or_b32 exec_lo, exec_lo, s14
	s_and_saveexec_b32 s14, s13
	s_cbranch_execz .LBB6_1837
.LBB6_1836:                             ;   in Loop: Header=BB6_1671 Depth=2
	v_and_b32_e32 v2, 7, v16
	v_bfe_u32 v30, v16, 3, 4
	v_lshlrev_b32_e32 v35, 24, v16
	v_ffbh_u32_e32 v3, v2
	v_cmp_eq_u32_e64 s13, 0, v30
	v_min_u32_e32 v3, 32, v3
	v_subrev_nc_u32_e32 v15, 28, v3
	v_sub_nc_u32_e32 v3, 29, v3
	v_lshlrev_b32_e32 v15, v15, v16
	v_cndmask_b32_e64 v3, v30, v3, s13
	v_and_b32_e32 v15, 7, v15
	v_lshl_add_u32 v3, v3, 23, 0x3b800000
	v_cndmask_b32_e64 v2, v2, v15, s13
	v_and_b32_e32 v15, 0x80000000, v35
	v_lshlrev_b32_e32 v2, 20, v2
	v_or3_b32 v2, v15, v3, v2
.LBB6_1837:                             ;   in Loop: Header=BB6_1671 Depth=2
	s_or_b32 exec_lo, exec_lo, s14
	v_cmp_gt_i16_sdwa s14, v12, v58 src0_sel:BYTE_0 src1_sel:DWORD
	s_mov_b32 s13, 0
	s_and_saveexec_b32 s29, s14
	s_xor_b32 s14, exec_lo, s29
	s_cbranch_execz .LBB6_2023
; %bb.1838:                             ;   in Loop: Header=BB6_1671 Depth=2
	v_cmp_eq_u16_sdwa s40, v12, v59 src0_sel:BYTE_0 src1_sel:DWORD
	s_mov_b32 s13, -1
	s_and_saveexec_b32 s29, s40
; %bb.1839:                             ;   in Loop: Header=BB6_1671 Depth=2
	s_xor_b32 s13, exec_lo, -1
; %bb.1840:                             ;   in Loop: Header=BB6_1671 Depth=2
	s_or_b32 exec_lo, exec_lo, s29
	s_and_b32 s13, s13, exec_lo
	s_or_saveexec_b32 s14, s14
	v_mov_b32_e32 v3, 0x7f800001
	s_xor_b32 exec_lo, exec_lo, s14
	s_cbranch_execnz .LBB6_2024
.LBB6_1841:                             ;   in Loop: Header=BB6_1671 Depth=2
	s_or_b32 exec_lo, exec_lo, s14
	s_and_saveexec_b32 s14, s13
	s_cbranch_execz .LBB6_1843
.LBB6_1842:                             ;   in Loop: Header=BB6_1671 Depth=2
	v_and_b32_e32 v3, 7, v12
	v_bfe_u32 v35, v12, 3, 4
	v_lshlrev_b32_e32 v36, 24, v12
	v_ffbh_u32_e32 v15, v3
	v_cmp_eq_u32_e64 s13, 0, v35
	v_min_u32_e32 v15, 32, v15
	v_subrev_nc_u32_e32 v30, 28, v15
	v_sub_nc_u32_e32 v15, 29, v15
	v_lshlrev_b32_e32 v30, v30, v12
	v_cndmask_b32_e64 v15, v35, v15, s13
	v_and_b32_e32 v30, 7, v30
	v_lshl_add_u32 v15, v15, 23, 0x3b800000
	v_cndmask_b32_e64 v3, v3, v30, s13
	v_and_b32_e32 v30, 0x80000000, v36
	v_lshlrev_b32_e32 v3, 20, v3
	v_or3_b32 v3, v30, v15, v3
.LBB6_1843:                             ;   in Loop: Header=BB6_1671 Depth=2
	s_or_b32 exec_lo, exec_lo, s14
	v_add_f32_e32 v2, v2, v3
	v_mov_b32_e32 v15, 0x80
	s_mov_b32 s29, exec_lo
	v_and_b32_e32 v3, 0x7f800000, v2
	v_cmpx_ne_u32_e32 0x7f800000, v3
	s_cbranch_execz .LBB6_1851
; %bb.1844:                             ;   in Loop: Header=BB6_1671 Depth=2
	v_mov_b32_e32 v15, 0
	s_mov_b32 s40, exec_lo
	v_cmpx_ne_u32_e32 0, v2
	s_cbranch_execz .LBB6_1850
; %bb.1845:                             ;   in Loop: Header=BB6_1671 Depth=2
	v_bfe_u32 v3, v2, 23, 8
	v_and_b32_e32 v15, 0x7fffff, v2
	v_sub_nc_u32_e32 v30, 0x78, v3
	v_cmp_gt_u32_e64 s13, 0x79, v3
	v_or_b32_e32 v35, 0x800000, v15
	v_cndmask_b32_e64 v30, 0, v30, s13
	v_cmp_eq_u32_e64 s13, 0, v3
	v_add_nc_u32_e32 v3, 0xffffff89, v3
	v_cndmask_b32_e64 v30, v30, 0x77, s13
	v_cndmask_b32_e64 v15, v35, v15, s13
	v_cndmask_b32_e64 v3, v3, 0xffffff8a, s13
	v_lshl_add_u32 v35, 0x100000, v30, -1
	v_lshrrev_b32_e32 v36, v30, v15
	v_lshlrev_b32_e64 v38, v30, 0x80000
	v_add_nc_u32_e32 v30, v30, v3
	v_and_b32_e32 v15, v35, v15
	v_bfe_u32 v37, v36, 20, 1
	v_cmp_eq_u32_e64 s14, v15, v38
	v_add_nc_u32_e32 v35, -1, v37
	v_cndmask_b32_e64 v15, 0, v35, s14
	v_lshrrev_b32_e32 v35, 23, v36
	s_mov_b32 s14, exec_lo
	v_add_nc_u32_e32 v15, v15, v36
	v_xor_b32_e32 v35, 1, v35
	v_and_b32_e32 v3, 0xfffff, v15
	v_add_nc_u32_e32 v15, v3, v36
                                        ; implicit-def: $vgpr3
	v_cmpx_ne_u32_e64 v30, v35
	s_xor_b32 s14, exec_lo, s14
; %bb.1846:                             ;   in Loop: Header=BB6_1671 Depth=2
	v_cmp_lt_u32_e64 s13, 0xffffff, v15
	v_sub_nc_u32_e32 v3, v30, v35
	v_cndmask_b32_e64 v30, 0, 1, s13
	v_add_co_ci_u32_e64 v3, null, 0, v3, s13
	v_lshrrev_b32_e32 v15, v30, v15
; %bb.1847:                             ;   in Loop: Header=BB6_1671 Depth=2
	s_andn2_saveexec_b32 s13, s14
; %bb.1848:                             ;   in Loop: Header=BB6_1671 Depth=2
	v_bfe_u32 v3, v15, 23, 1
; %bb.1849:                             ;   in Loop: Header=BB6_1671 Depth=2
	s_or_b32 exec_lo, exec_lo, s13
	v_lshrrev_b32_e32 v15, 20, v15
	v_min_i32_e32 v30, 15, v3
	v_cmp_gt_i32_e64 s13, 16, v3
	v_and_b32_sdwa v2, v2, v59 dst_sel:DWORD dst_unused:UNUSED_PAD src0_sel:BYTE_3 src1_sel:DWORD
	v_lshlrev_b32_e32 v30, 3, v30
	v_cndmask_b32_e64 v15, 7, v15, s13
	v_and_b32_e32 v30, 0xf8, v30
	v_and_b32_e32 v35, 7, v15
	v_or_b32_e32 v3, v3, v15
	v_or3_b32 v2, v30, v2, v35
	v_cmp_ne_u32_e64 s13, 0, v3
	v_cndmask_b32_e64 v15, 0, v2, s13
.LBB6_1850:                             ;   in Loop: Header=BB6_1671 Depth=2
	s_or_b32 exec_lo, exec_lo, s40
.LBB6_1851:                             ;   in Loop: Header=BB6_1671 Depth=2
	s_or_b32 exec_lo, exec_lo, s29
	v_cmp_gt_i16_sdwa s14, v16, v58 src0_sel:BYTE_1 src1_sel:DWORD
	s_mov_b32 s13, 0
	s_and_saveexec_b32 s29, s14
	s_xor_b32 s14, exec_lo, s29
	s_cbranch_execz .LBB6_2025
; %bb.1852:                             ;   in Loop: Header=BB6_1671 Depth=2
	v_cmp_eq_u16_sdwa s40, v16, v59 src0_sel:BYTE_1 src1_sel:DWORD
	s_mov_b32 s13, -1
	s_and_saveexec_b32 s29, s40
; %bb.1853:                             ;   in Loop: Header=BB6_1671 Depth=2
	s_xor_b32 s13, exec_lo, -1
; %bb.1854:                             ;   in Loop: Header=BB6_1671 Depth=2
	s_or_b32 exec_lo, exec_lo, s29
	s_and_b32 s13, s13, exec_lo
	s_or_saveexec_b32 s14, s14
	v_mov_b32_e32 v2, 0x7f800001
	s_xor_b32 exec_lo, exec_lo, s14
	s_cbranch_execnz .LBB6_2026
.LBB6_1855:                             ;   in Loop: Header=BB6_1671 Depth=2
	s_or_b32 exec_lo, exec_lo, s14
	s_and_saveexec_b32 s14, s13
	s_cbranch_execz .LBB6_1857
.LBB6_1856:                             ;   in Loop: Header=BB6_1671 Depth=2
	v_and_b32_sdwa v2, v60, v16 dst_sel:DWORD dst_unused:UNUSED_PAD src0_sel:DWORD src1_sel:BYTE_1
	v_and_b32_e32 v3, 7, v2
	v_bfe_u32 v36, v2, 3, 4
	v_ffbh_u32_e32 v30, v3
	v_cmp_eq_u32_e64 s13, 0, v36
	v_min_u32_e32 v30, 32, v30
	v_subrev_nc_u32_e32 v35, 28, v30
	v_sub_nc_u32_e32 v30, 29, v30
	v_lshlrev_b32_e32 v2, v35, v2
	v_lshlrev_b32_sdwa v35, v61, v16 dst_sel:DWORD dst_unused:UNUSED_PAD src0_sel:DWORD src1_sel:BYTE_1
	v_cndmask_b32_e64 v30, v36, v30, s13
	v_and_b32_e32 v2, 7, v2
	v_lshl_add_u32 v30, v30, 23, 0x3b800000
	v_cndmask_b32_e64 v2, v3, v2, s13
	v_and_b32_e32 v3, 0x80000000, v35
	v_lshlrev_b32_e32 v2, 20, v2
	v_or3_b32 v2, v3, v30, v2
.LBB6_1857:                             ;   in Loop: Header=BB6_1671 Depth=2
	s_or_b32 exec_lo, exec_lo, s14
	v_cmp_gt_i16_sdwa s14, v12, v58 src0_sel:BYTE_1 src1_sel:DWORD
	s_mov_b32 s13, 0
	s_and_saveexec_b32 s29, s14
	s_xor_b32 s14, exec_lo, s29
	s_cbranch_execz .LBB6_2027
; %bb.1858:                             ;   in Loop: Header=BB6_1671 Depth=2
	v_cmp_eq_u16_sdwa s40, v12, v59 src0_sel:BYTE_1 src1_sel:DWORD
	s_mov_b32 s13, -1
	s_and_saveexec_b32 s29, s40
; %bb.1859:                             ;   in Loop: Header=BB6_1671 Depth=2
	s_xor_b32 s13, exec_lo, -1
; %bb.1860:                             ;   in Loop: Header=BB6_1671 Depth=2
	s_or_b32 exec_lo, exec_lo, s29
	s_and_b32 s13, s13, exec_lo
	s_or_saveexec_b32 s14, s14
	v_mov_b32_e32 v3, 0x7f800001
	s_xor_b32 exec_lo, exec_lo, s14
	s_cbranch_execnz .LBB6_2028
.LBB6_1861:                             ;   in Loop: Header=BB6_1671 Depth=2
	s_or_b32 exec_lo, exec_lo, s14
	s_and_saveexec_b32 s14, s13
	s_cbranch_execz .LBB6_1863
.LBB6_1862:                             ;   in Loop: Header=BB6_1671 Depth=2
	v_and_b32_sdwa v3, v60, v12 dst_sel:DWORD dst_unused:UNUSED_PAD src0_sel:DWORD src1_sel:BYTE_1
	v_and_b32_e32 v30, 7, v3
	v_bfe_u32 v37, v3, 3, 4
	v_ffbh_u32_e32 v35, v30
	v_cmp_eq_u32_e64 s13, 0, v37
	v_min_u32_e32 v35, 32, v35
	v_subrev_nc_u32_e32 v36, 28, v35
	v_sub_nc_u32_e32 v35, 29, v35
	v_lshlrev_b32_e32 v3, v36, v3
	v_lshlrev_b32_sdwa v36, v61, v12 dst_sel:DWORD dst_unused:UNUSED_PAD src0_sel:DWORD src1_sel:BYTE_1
	v_cndmask_b32_e64 v35, v37, v35, s13
	v_and_b32_e32 v3, 7, v3
	v_lshl_add_u32 v35, v35, 23, 0x3b800000
	v_cndmask_b32_e64 v3, v30, v3, s13
	v_and_b32_e32 v30, 0x80000000, v36
	v_lshlrev_b32_e32 v3, 20, v3
	v_or3_b32 v3, v30, v35, v3
.LBB6_1863:                             ;   in Loop: Header=BB6_1671 Depth=2
	s_or_b32 exec_lo, exec_lo, s14
	v_add_f32_e32 v2, v2, v3
	v_mov_b32_e32 v35, 0x8000
	s_mov_b32 s29, exec_lo
	v_and_b32_e32 v3, 0x7f800000, v2
	v_cmpx_ne_u32_e32 0x7f800000, v3
	s_cbranch_execz .LBB6_1871
; %bb.1864:                             ;   in Loop: Header=BB6_1671 Depth=2
	v_mov_b32_e32 v35, 0
	s_mov_b32 s40, exec_lo
	v_cmpx_ne_u32_e32 0, v2
	s_cbranch_execz .LBB6_1870
; %bb.1865:                             ;   in Loop: Header=BB6_1671 Depth=2
	v_bfe_u32 v3, v2, 23, 8
	v_and_b32_e32 v30, 0x7fffff, v2
	v_sub_nc_u32_e32 v35, 0x78, v3
	v_cmp_gt_u32_e64 s13, 0x79, v3
	v_or_b32_e32 v36, 0x800000, v30
	v_cndmask_b32_e64 v35, 0, v35, s13
	v_cmp_eq_u32_e64 s13, 0, v3
	v_add_nc_u32_e32 v3, 0xffffff89, v3
	v_cndmask_b32_e64 v35, v35, 0x77, s13
	v_cndmask_b32_e64 v30, v36, v30, s13
	;; [unrolled: 1-line block ×3, first 2 shown]
	v_lshl_add_u32 v36, 0x100000, v35, -1
	v_lshrrev_b32_e32 v37, v35, v30
	v_lshlrev_b32_e64 v39, v35, 0x80000
	v_add_nc_u32_e32 v35, v35, v3
	v_and_b32_e32 v30, v36, v30
	v_bfe_u32 v38, v37, 20, 1
	v_cmp_eq_u32_e64 s14, v30, v39
	v_add_nc_u32_e32 v36, -1, v38
	v_cndmask_b32_e64 v30, 0, v36, s14
	v_lshrrev_b32_e32 v36, 23, v37
	s_mov_b32 s14, exec_lo
	v_add_nc_u32_e32 v30, v30, v37
	v_xor_b32_e32 v36, 1, v36
	v_and_b32_e32 v3, 0xfffff, v30
	v_add_nc_u32_e32 v30, v3, v37
                                        ; implicit-def: $vgpr3
	v_cmpx_ne_u32_e64 v35, v36
	s_xor_b32 s14, exec_lo, s14
; %bb.1866:                             ;   in Loop: Header=BB6_1671 Depth=2
	v_cmp_lt_u32_e64 s13, 0xffffff, v30
	v_sub_nc_u32_e32 v3, v35, v36
	v_cndmask_b32_e64 v35, 0, 1, s13
	v_add_co_ci_u32_e64 v3, null, 0, v3, s13
	v_lshrrev_b32_e32 v30, v35, v30
; %bb.1867:                             ;   in Loop: Header=BB6_1671 Depth=2
	s_andn2_saveexec_b32 s13, s14
; %bb.1868:                             ;   in Loop: Header=BB6_1671 Depth=2
	v_bfe_u32 v3, v30, 23, 1
; %bb.1869:                             ;   in Loop: Header=BB6_1671 Depth=2
	s_or_b32 exec_lo, exec_lo, s13
	v_lshrrev_b32_e32 v30, 20, v30
	v_min_i32_e32 v35, 15, v3
	v_cmp_gt_i32_e64 s13, 16, v3
	v_and_b32_sdwa v2, v2, v59 dst_sel:DWORD dst_unused:UNUSED_PAD src0_sel:BYTE_3 src1_sel:DWORD
	v_lshlrev_b32_e32 v35, 3, v35
	v_cndmask_b32_e64 v30, 7, v30, s13
	v_and_b32_e32 v35, 0xf8, v35
	v_and_b32_e32 v36, 7, v30
	v_or_b32_e32 v3, v3, v30
	v_or3_b32 v2, v2, v35, v36
	v_cmp_ne_u32_e64 s13, 0, v3
	v_lshlrev_b32_e32 v2, 8, v2
	v_cndmask_b32_e64 v35, 0, v2, s13
.LBB6_1870:                             ;   in Loop: Header=BB6_1671 Depth=2
	s_or_b32 exec_lo, exec_lo, s40
.LBB6_1871:                             ;   in Loop: Header=BB6_1671 Depth=2
	s_or_b32 exec_lo, exec_lo, s29
	v_and_b32_sdwa v3, v16, v62 dst_sel:DWORD dst_unused:UNUSED_PAD src0_sel:WORD_1 src1_sel:DWORD
	s_mov_b32 s14, 0
	s_mov_b32 s29, exec_lo
	v_cmpx_lt_i16_e32 0x7f, v3
	s_xor_b32 s29, exec_lo, s29
	s_cbranch_execz .LBB6_2029
; %bb.1872:                             ;   in Loop: Header=BB6_1671 Depth=2
	s_mov_b32 s14, -1
	s_mov_b32 s40, exec_lo
	v_cmpx_eq_u16_e32 0x80, v3
; %bb.1873:                             ;   in Loop: Header=BB6_1671 Depth=2
	s_xor_b32 s14, exec_lo, -1
; %bb.1874:                             ;   in Loop: Header=BB6_1671 Depth=2
	s_or_b32 exec_lo, exec_lo, s40
	s_and_b32 s14, s14, exec_lo
                                        ; implicit-def: $vgpr3
	s_or_saveexec_b32 s29, s29
	v_mov_b32_e32 v2, 0x7f800001
	s_xor_b32 exec_lo, exec_lo, s29
	s_cbranch_execnz .LBB6_2030
.LBB6_1875:                             ;   in Loop: Header=BB6_1671 Depth=2
	s_or_b32 exec_lo, exec_lo, s29
	s_and_saveexec_b32 s29, s14
	s_cbranch_execz .LBB6_1877
.LBB6_1876:                             ;   in Loop: Header=BB6_1671 Depth=2
	v_bfe_u32 v2, v16, 16, 3
	v_bfe_u32 v36, v16, 19, 4
	v_lshlrev_b32_e32 v37, 8, v16
	v_ffbh_u32_e32 v3, v2
	v_cmp_eq_u32_e64 s13, 0, v36
	v_min_u32_e32 v3, 32, v3
	v_subrev_nc_u32_e32 v30, 28, v3
	v_sub_nc_u32_e32 v3, 29, v3
	v_lshlrev_b32_sdwa v30, v30, v16 dst_sel:DWORD dst_unused:UNUSED_PAD src0_sel:DWORD src1_sel:WORD_1
	v_cndmask_b32_e64 v3, v36, v3, s13
	v_and_b32_e32 v30, 7, v30
	v_lshl_add_u32 v3, v3, 23, 0x3b800000
	v_cndmask_b32_e64 v2, v2, v30, s13
	v_and_b32_e32 v30, 0x80000000, v37
	v_lshlrev_b32_e32 v2, 20, v2
	v_or3_b32 v2, v30, v3, v2
.LBB6_1877:                             ;   in Loop: Header=BB6_1671 Depth=2
	s_or_b32 exec_lo, exec_lo, s29
	v_and_b32_sdwa v30, v12, v62 dst_sel:DWORD dst_unused:UNUSED_PAD src0_sel:WORD_1 src1_sel:DWORD
	s_mov_b32 s14, 0
	s_mov_b32 s29, exec_lo
	v_cmpx_lt_i16_e32 0x7f, v30
	s_xor_b32 s29, exec_lo, s29
	s_cbranch_execz .LBB6_2031
; %bb.1878:                             ;   in Loop: Header=BB6_1671 Depth=2
	s_mov_b32 s14, -1
	s_mov_b32 s40, exec_lo
	v_cmpx_eq_u16_e32 0x80, v30
; %bb.1879:                             ;   in Loop: Header=BB6_1671 Depth=2
	s_xor_b32 s14, exec_lo, -1
; %bb.1880:                             ;   in Loop: Header=BB6_1671 Depth=2
	s_or_b32 exec_lo, exec_lo, s40
	s_and_b32 s14, s14, exec_lo
                                        ; implicit-def: $vgpr30
	s_or_saveexec_b32 s29, s29
	v_mov_b32_e32 v3, 0x7f800001
	s_xor_b32 exec_lo, exec_lo, s29
	s_cbranch_execnz .LBB6_2032
.LBB6_1881:                             ;   in Loop: Header=BB6_1671 Depth=2
	s_or_b32 exec_lo, exec_lo, s29
	s_and_saveexec_b32 s29, s14
	s_cbranch_execz .LBB6_1883
.LBB6_1882:                             ;   in Loop: Header=BB6_1671 Depth=2
	v_and_b32_sdwa v3, v12, v63 dst_sel:DWORD dst_unused:UNUSED_PAD src0_sel:WORD_1 src1_sel:DWORD
	v_bfe_u32 v37, v12, 19, 4
	v_lshlrev_b32_sdwa v38, v61, v12 dst_sel:DWORD dst_unused:UNUSED_PAD src0_sel:DWORD src1_sel:WORD_1
	v_ffbh_u32_e32 v30, v3
	v_cmp_eq_u32_e64 s13, 0, v37
	v_min_u32_e32 v30, 32, v30
	v_subrev_nc_u32_e32 v36, 28, v30
	v_sub_nc_u32_e32 v30, 29, v30
	v_lshlrev_b32_sdwa v36, v36, v12 dst_sel:DWORD dst_unused:UNUSED_PAD src0_sel:DWORD src1_sel:WORD_1
	v_cndmask_b32_e64 v30, v37, v30, s13
	v_and_b32_e32 v36, 7, v36
	v_lshl_add_u32 v30, v30, 23, 0x3b800000
	v_cndmask_b32_e64 v3, v3, v36, s13
	v_and_b32_e32 v36, 0x80000000, v38
	v_lshlrev_b32_e32 v3, 20, v3
	v_or3_b32 v3, v36, v30, v3
.LBB6_1883:                             ;   in Loop: Header=BB6_1671 Depth=2
	s_or_b32 exec_lo, exec_lo, s29
	v_add_f32_e32 v2, v2, v3
	v_mov_b32_e32 v36, 0x80
	s_mov_b32 s29, exec_lo
	v_and_b32_e32 v3, 0x7f800000, v2
	v_cmpx_ne_u32_e32 0x7f800000, v3
	s_cbranch_execz .LBB6_1891
; %bb.1884:                             ;   in Loop: Header=BB6_1671 Depth=2
	v_mov_b32_e32 v36, 0
	s_mov_b32 s40, exec_lo
	v_cmpx_ne_u32_e32 0, v2
	s_cbranch_execz .LBB6_1890
; %bb.1885:                             ;   in Loop: Header=BB6_1671 Depth=2
	v_bfe_u32 v3, v2, 23, 8
	v_and_b32_e32 v30, 0x7fffff, v2
	v_sub_nc_u32_e32 v36, 0x78, v3
	v_cmp_gt_u32_e64 s13, 0x79, v3
	v_or_b32_e32 v37, 0x800000, v30
	v_cndmask_b32_e64 v36, 0, v36, s13
	v_cmp_eq_u32_e64 s13, 0, v3
	v_add_nc_u32_e32 v3, 0xffffff89, v3
	v_cndmask_b32_e64 v36, v36, 0x77, s13
	v_cndmask_b32_e64 v30, v37, v30, s13
	;; [unrolled: 1-line block ×3, first 2 shown]
	v_lshl_add_u32 v37, 0x100000, v36, -1
	v_lshrrev_b32_e32 v38, v36, v30
	v_lshlrev_b32_e64 v48, v36, 0x80000
	v_add_nc_u32_e32 v36, v36, v3
	v_and_b32_e32 v30, v37, v30
	v_bfe_u32 v39, v38, 20, 1
	v_cmp_eq_u32_e64 s14, v30, v48
	v_add_nc_u32_e32 v37, -1, v39
	v_cndmask_b32_e64 v30, 0, v37, s14
	v_lshrrev_b32_e32 v37, 23, v38
	s_mov_b32 s14, exec_lo
	v_add_nc_u32_e32 v30, v30, v38
	v_xor_b32_e32 v37, 1, v37
	v_and_b32_e32 v3, 0xfffff, v30
	v_add_nc_u32_e32 v30, v3, v38
                                        ; implicit-def: $vgpr3
	v_cmpx_ne_u32_e64 v36, v37
	s_xor_b32 s14, exec_lo, s14
; %bb.1886:                             ;   in Loop: Header=BB6_1671 Depth=2
	v_cmp_lt_u32_e64 s13, 0xffffff, v30
	v_sub_nc_u32_e32 v3, v36, v37
	v_cndmask_b32_e64 v36, 0, 1, s13
	v_add_co_ci_u32_e64 v3, null, 0, v3, s13
	v_lshrrev_b32_e32 v30, v36, v30
; %bb.1887:                             ;   in Loop: Header=BB6_1671 Depth=2
	s_andn2_saveexec_b32 s13, s14
; %bb.1888:                             ;   in Loop: Header=BB6_1671 Depth=2
	v_bfe_u32 v3, v30, 23, 1
; %bb.1889:                             ;   in Loop: Header=BB6_1671 Depth=2
	s_or_b32 exec_lo, exec_lo, s13
	v_lshrrev_b32_e32 v30, 20, v30
	v_min_i32_e32 v36, 15, v3
	v_cmp_gt_i32_e64 s13, 16, v3
	v_and_b32_sdwa v2, v2, v59 dst_sel:DWORD dst_unused:UNUSED_PAD src0_sel:BYTE_3 src1_sel:DWORD
	v_lshlrev_b32_e32 v36, 3, v36
	v_cndmask_b32_e64 v30, 7, v30, s13
	v_and_b32_e32 v36, 0xf8, v36
	v_and_b32_e32 v37, 7, v30
	v_or_b32_e32 v3, v3, v30
	v_or3_b32 v2, v36, v2, v37
	v_cmp_ne_u32_e64 s13, 0, v3
	v_cndmask_b32_e64 v36, 0, v2, s13
.LBB6_1890:                             ;   in Loop: Header=BB6_1671 Depth=2
	s_or_b32 exec_lo, exec_lo, s40
.LBB6_1891:                             ;   in Loop: Header=BB6_1671 Depth=2
	s_or_b32 exec_lo, exec_lo, s29
	v_cmp_gt_i16_sdwa s14, v16, v58 src0_sel:BYTE_3 src1_sel:DWORD
	s_mov_b32 s13, 0
	s_and_saveexec_b32 s29, s14
	s_xor_b32 s14, exec_lo, s29
	s_cbranch_execz .LBB6_2033
; %bb.1892:                             ;   in Loop: Header=BB6_1671 Depth=2
	v_cmp_eq_u16_sdwa s40, v16, v59 src0_sel:BYTE_3 src1_sel:DWORD
	s_mov_b32 s13, -1
	s_and_saveexec_b32 s29, s40
; %bb.1893:                             ;   in Loop: Header=BB6_1671 Depth=2
	s_xor_b32 s13, exec_lo, -1
; %bb.1894:                             ;   in Loop: Header=BB6_1671 Depth=2
	s_or_b32 exec_lo, exec_lo, s29
	s_and_b32 s13, s13, exec_lo
	s_or_saveexec_b32 s14, s14
	v_mov_b32_e32 v2, 0x7f800001
	s_xor_b32 exec_lo, exec_lo, s14
	s_cbranch_execnz .LBB6_2034
.LBB6_1895:                             ;   in Loop: Header=BB6_1671 Depth=2
	s_or_b32 exec_lo, exec_lo, s14
	s_and_saveexec_b32 s14, s13
	s_cbranch_execz .LBB6_1897
.LBB6_1896:                             ;   in Loop: Header=BB6_1671 Depth=2
	v_bfe_u32 v2, v16, 24, 3
	v_bfe_u32 v37, v16, 27, 4
	v_ffbh_u32_e32 v3, v2
	v_cmp_eq_u32_e64 s13, 0, v37
	v_min_u32_e32 v3, 32, v3
	v_subrev_nc_u32_e32 v30, 28, v3
	v_sub_nc_u32_e32 v3, 29, v3
	v_lshlrev_b32_sdwa v30, v30, v16 dst_sel:DWORD dst_unused:UNUSED_PAD src0_sel:DWORD src1_sel:BYTE_3
	v_cndmask_b32_e64 v3, v37, v3, s13
	v_and_b32_e32 v16, 0x80000000, v16
	v_and_b32_e32 v30, 7, v30
	v_lshl_add_u32 v3, v3, 23, 0x3b800000
	v_cndmask_b32_e64 v2, v2, v30, s13
	v_lshlrev_b32_e32 v2, 20, v2
	v_or3_b32 v2, v16, v3, v2
.LBB6_1897:                             ;   in Loop: Header=BB6_1671 Depth=2
	s_or_b32 exec_lo, exec_lo, s14
	v_cmp_gt_i16_sdwa s14, v12, v58 src0_sel:BYTE_3 src1_sel:DWORD
	s_mov_b32 s13, 0
	s_and_saveexec_b32 s29, s14
	s_xor_b32 s14, exec_lo, s29
	s_cbranch_execz .LBB6_2035
; %bb.1898:                             ;   in Loop: Header=BB6_1671 Depth=2
	v_cmp_eq_u16_sdwa s40, v12, v59 src0_sel:BYTE_3 src1_sel:DWORD
	s_mov_b32 s13, -1
	s_and_saveexec_b32 s29, s40
; %bb.1899:                             ;   in Loop: Header=BB6_1671 Depth=2
	s_xor_b32 s13, exec_lo, -1
; %bb.1900:                             ;   in Loop: Header=BB6_1671 Depth=2
	s_or_b32 exec_lo, exec_lo, s29
	s_and_b32 s13, s13, exec_lo
	s_or_saveexec_b32 s14, s14
	v_mov_b32_e32 v3, 0x7f800001
	s_xor_b32 exec_lo, exec_lo, s14
	s_cbranch_execnz .LBB6_2036
.LBB6_1901:                             ;   in Loop: Header=BB6_1671 Depth=2
	s_or_b32 exec_lo, exec_lo, s14
	s_and_saveexec_b32 s14, s13
	s_cbranch_execz .LBB6_1903
.LBB6_1902:                             ;   in Loop: Header=BB6_1671 Depth=2
	v_and_b32_sdwa v3, v12, v63 dst_sel:DWORD dst_unused:UNUSED_PAD src0_sel:BYTE_3 src1_sel:DWORD
	v_bfe_u32 v37, v12, 27, 4
	v_ffbh_u32_e32 v16, v3
	v_cmp_eq_u32_e64 s13, 0, v37
	v_min_u32_e32 v16, 32, v16
	v_subrev_nc_u32_e32 v30, 28, v16
	v_sub_nc_u32_e32 v16, 29, v16
	v_lshlrev_b32_sdwa v30, v30, v12 dst_sel:DWORD dst_unused:UNUSED_PAD src0_sel:DWORD src1_sel:BYTE_3
	v_cndmask_b32_e64 v16, v37, v16, s13
	v_and_b32_e32 v12, 0x80000000, v12
	v_and_b32_e32 v30, 7, v30
	v_lshl_add_u32 v16, v16, 23, 0x3b800000
	v_cndmask_b32_e64 v3, v3, v30, s13
	v_lshlrev_b32_e32 v3, 20, v3
	v_or3_b32 v3, v12, v16, v3
.LBB6_1903:                             ;   in Loop: Header=BB6_1671 Depth=2
	s_or_b32 exec_lo, exec_lo, s14
	v_add_f32_e32 v2, v2, v3
	v_mov_b32_e32 v12, 0x8000
	s_mov_b32 s29, exec_lo
	v_and_b32_e32 v3, 0x7f800000, v2
	v_cmpx_ne_u32_e32 0x7f800000, v3
	s_cbranch_execz .LBB6_1911
; %bb.1904:                             ;   in Loop: Header=BB6_1671 Depth=2
	v_mov_b32_e32 v12, 0
	s_mov_b32 s40, exec_lo
	v_cmpx_ne_u32_e32 0, v2
	s_cbranch_execz .LBB6_1910
; %bb.1905:                             ;   in Loop: Header=BB6_1671 Depth=2
	v_bfe_u32 v3, v2, 23, 8
	v_and_b32_e32 v12, 0x7fffff, v2
	v_sub_nc_u32_e32 v16, 0x78, v3
	v_cmp_gt_u32_e64 s13, 0x79, v3
	v_or_b32_e32 v30, 0x800000, v12
	v_cndmask_b32_e64 v16, 0, v16, s13
	v_cmp_eq_u32_e64 s13, 0, v3
	v_add_nc_u32_e32 v3, 0xffffff89, v3
	v_cndmask_b32_e64 v16, v16, 0x77, s13
	v_cndmask_b32_e64 v12, v30, v12, s13
	;; [unrolled: 1-line block ×3, first 2 shown]
	v_lshl_add_u32 v30, 0x100000, v16, -1
	v_lshrrev_b32_e32 v37, v16, v12
	v_lshlrev_b32_e64 v39, v16, 0x80000
	v_add_nc_u32_e32 v16, v16, v3
	v_and_b32_e32 v12, v30, v12
	v_bfe_u32 v38, v37, 20, 1
	v_cmp_eq_u32_e64 s14, v12, v39
	v_add_nc_u32_e32 v30, -1, v38
	v_cndmask_b32_e64 v12, 0, v30, s14
	v_lshrrev_b32_e32 v30, 23, v37
	s_mov_b32 s14, exec_lo
	v_add_nc_u32_e32 v12, v12, v37
	v_xor_b32_e32 v30, 1, v30
	v_and_b32_e32 v3, 0xfffff, v12
	v_add_nc_u32_e32 v12, v3, v37
                                        ; implicit-def: $vgpr3
	v_cmpx_ne_u32_e64 v16, v30
	s_xor_b32 s14, exec_lo, s14
; %bb.1906:                             ;   in Loop: Header=BB6_1671 Depth=2
	v_cmp_lt_u32_e64 s13, 0xffffff, v12
	v_sub_nc_u32_e32 v3, v16, v30
	v_cndmask_b32_e64 v16, 0, 1, s13
	v_add_co_ci_u32_e64 v3, null, 0, v3, s13
	v_lshrrev_b32_e32 v12, v16, v12
; %bb.1907:                             ;   in Loop: Header=BB6_1671 Depth=2
	s_andn2_saveexec_b32 s13, s14
; %bb.1908:                             ;   in Loop: Header=BB6_1671 Depth=2
	v_bfe_u32 v3, v12, 23, 1
; %bb.1909:                             ;   in Loop: Header=BB6_1671 Depth=2
	s_or_b32 exec_lo, exec_lo, s13
	v_lshrrev_b32_e32 v12, 20, v12
	v_min_i32_e32 v16, 15, v3
	v_cmp_gt_i32_e64 s13, 16, v3
	v_and_b32_sdwa v2, v2, v59 dst_sel:DWORD dst_unused:UNUSED_PAD src0_sel:BYTE_3 src1_sel:DWORD
	v_lshlrev_b32_e32 v16, 3, v16
	v_cndmask_b32_e64 v12, 7, v12, s13
	v_and_b32_e32 v16, 0xf8, v16
	v_and_b32_e32 v30, 7, v12
	v_or_b32_e32 v3, v3, v12
	v_or3_b32 v2, v2, v16, v30
	v_cmp_ne_u32_e64 s13, 0, v3
	v_lshlrev_b32_e32 v2, 8, v2
	v_cndmask_b32_e64 v12, 0, v2, s13
.LBB6_1910:                             ;   in Loop: Header=BB6_1671 Depth=2
	s_or_b32 exec_lo, exec_lo, s40
.LBB6_1911:                             ;   in Loop: Header=BB6_1671 Depth=2
	s_or_b32 exec_lo, exec_lo, s29
	v_cmp_gt_i16_sdwa s14, v17, v58 src0_sel:BYTE_0 src1_sel:DWORD
	s_mov_b32 s13, 0
	s_and_saveexec_b32 s29, s14
	s_xor_b32 s14, exec_lo, s29
	s_cbranch_execz .LBB6_2037
; %bb.1912:                             ;   in Loop: Header=BB6_1671 Depth=2
	v_cmp_eq_u16_sdwa s40, v17, v59 src0_sel:BYTE_0 src1_sel:DWORD
	s_mov_b32 s13, -1
	s_and_saveexec_b32 s29, s40
; %bb.1913:                             ;   in Loop: Header=BB6_1671 Depth=2
	s_xor_b32 s13, exec_lo, -1
; %bb.1914:                             ;   in Loop: Header=BB6_1671 Depth=2
	s_or_b32 exec_lo, exec_lo, s29
	s_and_b32 s13, s13, exec_lo
	s_or_saveexec_b32 s14, s14
	v_mov_b32_e32 v2, 0x7f800001
	s_xor_b32 exec_lo, exec_lo, s14
	s_cbranch_execnz .LBB6_2038
.LBB6_1915:                             ;   in Loop: Header=BB6_1671 Depth=2
	s_or_b32 exec_lo, exec_lo, s14
	s_and_saveexec_b32 s14, s13
	s_cbranch_execz .LBB6_1917
.LBB6_1916:                             ;   in Loop: Header=BB6_1671 Depth=2
	v_and_b32_e32 v2, 7, v17
	v_bfe_u32 v30, v17, 3, 4
	v_lshlrev_b32_e32 v37, 24, v17
	v_ffbh_u32_e32 v3, v2
	v_cmp_eq_u32_e64 s13, 0, v30
	v_min_u32_e32 v3, 32, v3
	v_subrev_nc_u32_e32 v16, 28, v3
	v_sub_nc_u32_e32 v3, 29, v3
	v_lshlrev_b32_e32 v16, v16, v17
	v_cndmask_b32_e64 v3, v30, v3, s13
	v_and_b32_e32 v16, 7, v16
	v_lshl_add_u32 v3, v3, 23, 0x3b800000
	v_cndmask_b32_e64 v2, v2, v16, s13
	v_and_b32_e32 v16, 0x80000000, v37
	v_lshlrev_b32_e32 v2, 20, v2
	v_or3_b32 v2, v16, v3, v2
.LBB6_1917:                             ;   in Loop: Header=BB6_1671 Depth=2
	s_or_b32 exec_lo, exec_lo, s14
	v_cmp_gt_i16_sdwa s14, v13, v58 src0_sel:BYTE_0 src1_sel:DWORD
	s_mov_b32 s13, 0
	s_and_saveexec_b32 s29, s14
	s_xor_b32 s14, exec_lo, s29
	s_cbranch_execz .LBB6_2039
; %bb.1918:                             ;   in Loop: Header=BB6_1671 Depth=2
	v_cmp_eq_u16_sdwa s40, v13, v59 src0_sel:BYTE_0 src1_sel:DWORD
	s_mov_b32 s13, -1
	s_and_saveexec_b32 s29, s40
; %bb.1919:                             ;   in Loop: Header=BB6_1671 Depth=2
	s_xor_b32 s13, exec_lo, -1
; %bb.1920:                             ;   in Loop: Header=BB6_1671 Depth=2
	s_or_b32 exec_lo, exec_lo, s29
	s_and_b32 s13, s13, exec_lo
	s_or_saveexec_b32 s14, s14
	v_mov_b32_e32 v3, 0x7f800001
	s_xor_b32 exec_lo, exec_lo, s14
	s_cbranch_execnz .LBB6_2040
.LBB6_1921:                             ;   in Loop: Header=BB6_1671 Depth=2
	s_or_b32 exec_lo, exec_lo, s14
	s_and_saveexec_b32 s14, s13
	s_cbranch_execz .LBB6_1923
.LBB6_1922:                             ;   in Loop: Header=BB6_1671 Depth=2
	v_and_b32_e32 v3, 7, v13
	v_bfe_u32 v37, v13, 3, 4
	v_lshlrev_b32_e32 v38, 24, v13
	v_ffbh_u32_e32 v16, v3
	v_cmp_eq_u32_e64 s13, 0, v37
	v_min_u32_e32 v16, 32, v16
	v_subrev_nc_u32_e32 v30, 28, v16
	v_sub_nc_u32_e32 v16, 29, v16
	v_lshlrev_b32_e32 v30, v30, v13
	v_cndmask_b32_e64 v16, v37, v16, s13
	v_and_b32_e32 v30, 7, v30
	v_lshl_add_u32 v16, v16, 23, 0x3b800000
	v_cndmask_b32_e64 v3, v3, v30, s13
	v_and_b32_e32 v30, 0x80000000, v38
	v_lshlrev_b32_e32 v3, 20, v3
	v_or3_b32 v3, v30, v16, v3
.LBB6_1923:                             ;   in Loop: Header=BB6_1671 Depth=2
	s_or_b32 exec_lo, exec_lo, s14
	v_add_f32_e32 v2, v2, v3
	v_mov_b32_e32 v16, 0x80
	s_mov_b32 s29, exec_lo
	v_and_b32_e32 v3, 0x7f800000, v2
	v_cmpx_ne_u32_e32 0x7f800000, v3
	s_cbranch_execz .LBB6_1931
; %bb.1924:                             ;   in Loop: Header=BB6_1671 Depth=2
	v_mov_b32_e32 v16, 0
	s_mov_b32 s40, exec_lo
	v_cmpx_ne_u32_e32 0, v2
	s_cbranch_execz .LBB6_1930
; %bb.1925:                             ;   in Loop: Header=BB6_1671 Depth=2
	v_bfe_u32 v3, v2, 23, 8
	v_and_b32_e32 v16, 0x7fffff, v2
	v_sub_nc_u32_e32 v30, 0x78, v3
	v_cmp_gt_u32_e64 s13, 0x79, v3
	v_or_b32_e32 v37, 0x800000, v16
	v_cndmask_b32_e64 v30, 0, v30, s13
	v_cmp_eq_u32_e64 s13, 0, v3
	v_add_nc_u32_e32 v3, 0xffffff89, v3
	v_cndmask_b32_e64 v30, v30, 0x77, s13
	v_cndmask_b32_e64 v16, v37, v16, s13
	;; [unrolled: 1-line block ×3, first 2 shown]
	v_lshl_add_u32 v37, 0x100000, v30, -1
	v_lshrrev_b32_e32 v38, v30, v16
	v_lshlrev_b32_e64 v48, v30, 0x80000
	v_add_nc_u32_e32 v30, v30, v3
	v_and_b32_e32 v16, v37, v16
	v_bfe_u32 v39, v38, 20, 1
	v_cmp_eq_u32_e64 s14, v16, v48
	v_add_nc_u32_e32 v37, -1, v39
	v_cndmask_b32_e64 v16, 0, v37, s14
	v_lshrrev_b32_e32 v37, 23, v38
	s_mov_b32 s14, exec_lo
	v_add_nc_u32_e32 v16, v16, v38
	v_xor_b32_e32 v37, 1, v37
	v_and_b32_e32 v3, 0xfffff, v16
	v_add_nc_u32_e32 v16, v3, v38
                                        ; implicit-def: $vgpr3
	v_cmpx_ne_u32_e64 v30, v37
	s_xor_b32 s14, exec_lo, s14
; %bb.1926:                             ;   in Loop: Header=BB6_1671 Depth=2
	v_cmp_lt_u32_e64 s13, 0xffffff, v16
	v_sub_nc_u32_e32 v3, v30, v37
	v_cndmask_b32_e64 v30, 0, 1, s13
	v_add_co_ci_u32_e64 v3, null, 0, v3, s13
	v_lshrrev_b32_e32 v16, v30, v16
; %bb.1927:                             ;   in Loop: Header=BB6_1671 Depth=2
	s_andn2_saveexec_b32 s13, s14
; %bb.1928:                             ;   in Loop: Header=BB6_1671 Depth=2
	v_bfe_u32 v3, v16, 23, 1
; %bb.1929:                             ;   in Loop: Header=BB6_1671 Depth=2
	s_or_b32 exec_lo, exec_lo, s13
	v_lshrrev_b32_e32 v16, 20, v16
	v_min_i32_e32 v30, 15, v3
	v_cmp_gt_i32_e64 s13, 16, v3
	v_and_b32_sdwa v2, v2, v59 dst_sel:DWORD dst_unused:UNUSED_PAD src0_sel:BYTE_3 src1_sel:DWORD
	v_lshlrev_b32_e32 v30, 3, v30
	v_cndmask_b32_e64 v16, 7, v16, s13
	v_and_b32_e32 v30, 0xf8, v30
	v_and_b32_e32 v37, 7, v16
	v_or_b32_e32 v3, v3, v16
	v_or3_b32 v2, v30, v2, v37
	v_cmp_ne_u32_e64 s13, 0, v3
	v_cndmask_b32_e64 v16, 0, v2, s13
.LBB6_1930:                             ;   in Loop: Header=BB6_1671 Depth=2
	s_or_b32 exec_lo, exec_lo, s40
.LBB6_1931:                             ;   in Loop: Header=BB6_1671 Depth=2
	s_or_b32 exec_lo, exec_lo, s29
	v_cmp_gt_i16_sdwa s14, v17, v58 src0_sel:BYTE_1 src1_sel:DWORD
	s_mov_b32 s13, 0
	s_and_saveexec_b32 s29, s14
	s_xor_b32 s14, exec_lo, s29
	s_cbranch_execz .LBB6_2041
; %bb.1932:                             ;   in Loop: Header=BB6_1671 Depth=2
	v_cmp_eq_u16_sdwa s40, v17, v59 src0_sel:BYTE_1 src1_sel:DWORD
	s_mov_b32 s13, -1
	s_and_saveexec_b32 s29, s40
; %bb.1933:                             ;   in Loop: Header=BB6_1671 Depth=2
	s_xor_b32 s13, exec_lo, -1
; %bb.1934:                             ;   in Loop: Header=BB6_1671 Depth=2
	s_or_b32 exec_lo, exec_lo, s29
	s_and_b32 s13, s13, exec_lo
	s_or_saveexec_b32 s14, s14
	v_mov_b32_e32 v2, 0x7f800001
	s_xor_b32 exec_lo, exec_lo, s14
	s_cbranch_execnz .LBB6_2042
.LBB6_1935:                             ;   in Loop: Header=BB6_1671 Depth=2
	s_or_b32 exec_lo, exec_lo, s14
	s_and_saveexec_b32 s14, s13
	s_cbranch_execz .LBB6_1937
.LBB6_1936:                             ;   in Loop: Header=BB6_1671 Depth=2
	v_and_b32_sdwa v2, v60, v17 dst_sel:DWORD dst_unused:UNUSED_PAD src0_sel:DWORD src1_sel:BYTE_1
	v_and_b32_e32 v3, 7, v2
	v_bfe_u32 v38, v2, 3, 4
	v_ffbh_u32_e32 v30, v3
	v_cmp_eq_u32_e64 s13, 0, v38
	v_min_u32_e32 v30, 32, v30
	v_subrev_nc_u32_e32 v37, 28, v30
	v_sub_nc_u32_e32 v30, 29, v30
	v_lshlrev_b32_e32 v2, v37, v2
	v_lshlrev_b32_sdwa v37, v61, v17 dst_sel:DWORD dst_unused:UNUSED_PAD src0_sel:DWORD src1_sel:BYTE_1
	v_cndmask_b32_e64 v30, v38, v30, s13
	v_and_b32_e32 v2, 7, v2
	v_lshl_add_u32 v30, v30, 23, 0x3b800000
	v_cndmask_b32_e64 v2, v3, v2, s13
	v_and_b32_e32 v3, 0x80000000, v37
	v_lshlrev_b32_e32 v2, 20, v2
	v_or3_b32 v2, v3, v30, v2
.LBB6_1937:                             ;   in Loop: Header=BB6_1671 Depth=2
	s_or_b32 exec_lo, exec_lo, s14
	v_cmp_gt_i16_sdwa s14, v13, v58 src0_sel:BYTE_1 src1_sel:DWORD
	s_mov_b32 s13, 0
	s_and_saveexec_b32 s29, s14
	s_xor_b32 s14, exec_lo, s29
	s_cbranch_execz .LBB6_2043
; %bb.1938:                             ;   in Loop: Header=BB6_1671 Depth=2
	v_cmp_eq_u16_sdwa s40, v13, v59 src0_sel:BYTE_1 src1_sel:DWORD
	s_mov_b32 s13, -1
	s_and_saveexec_b32 s29, s40
; %bb.1939:                             ;   in Loop: Header=BB6_1671 Depth=2
	s_xor_b32 s13, exec_lo, -1
; %bb.1940:                             ;   in Loop: Header=BB6_1671 Depth=2
	s_or_b32 exec_lo, exec_lo, s29
	s_and_b32 s13, s13, exec_lo
	s_or_saveexec_b32 s14, s14
	v_mov_b32_e32 v3, 0x7f800001
	s_xor_b32 exec_lo, exec_lo, s14
	s_cbranch_execnz .LBB6_2044
.LBB6_1941:                             ;   in Loop: Header=BB6_1671 Depth=2
	s_or_b32 exec_lo, exec_lo, s14
	s_and_saveexec_b32 s14, s13
	s_cbranch_execz .LBB6_1943
.LBB6_1942:                             ;   in Loop: Header=BB6_1671 Depth=2
	v_and_b32_sdwa v3, v60, v13 dst_sel:DWORD dst_unused:UNUSED_PAD src0_sel:DWORD src1_sel:BYTE_1
	v_and_b32_e32 v30, 7, v3
	v_bfe_u32 v39, v3, 3, 4
	v_ffbh_u32_e32 v37, v30
	v_cmp_eq_u32_e64 s13, 0, v39
	v_min_u32_e32 v37, 32, v37
	v_subrev_nc_u32_e32 v38, 28, v37
	v_sub_nc_u32_e32 v37, 29, v37
	v_lshlrev_b32_e32 v3, v38, v3
	v_lshlrev_b32_sdwa v38, v61, v13 dst_sel:DWORD dst_unused:UNUSED_PAD src0_sel:DWORD src1_sel:BYTE_1
	v_cndmask_b32_e64 v37, v39, v37, s13
	v_and_b32_e32 v3, 7, v3
	v_lshl_add_u32 v37, v37, 23, 0x3b800000
	v_cndmask_b32_e64 v3, v30, v3, s13
	v_and_b32_e32 v30, 0x80000000, v38
	v_lshlrev_b32_e32 v3, 20, v3
	v_or3_b32 v3, v30, v37, v3
.LBB6_1943:                             ;   in Loop: Header=BB6_1671 Depth=2
	s_or_b32 exec_lo, exec_lo, s14
	v_add_f32_e32 v2, v2, v3
	v_mov_b32_e32 v30, 0x8000
	s_mov_b32 s29, exec_lo
	v_and_b32_e32 v3, 0x7f800000, v2
	v_cmpx_ne_u32_e32 0x7f800000, v3
	s_cbranch_execz .LBB6_1951
; %bb.1944:                             ;   in Loop: Header=BB6_1671 Depth=2
	v_mov_b32_e32 v30, 0
	s_mov_b32 s40, exec_lo
	v_cmpx_ne_u32_e32 0, v2
	s_cbranch_execz .LBB6_1950
; %bb.1945:                             ;   in Loop: Header=BB6_1671 Depth=2
	v_bfe_u32 v3, v2, 23, 8
	v_and_b32_e32 v30, 0x7fffff, v2
	v_sub_nc_u32_e32 v37, 0x78, v3
	v_cmp_gt_u32_e64 s13, 0x79, v3
	v_or_b32_e32 v38, 0x800000, v30
	v_cndmask_b32_e64 v37, 0, v37, s13
	v_cmp_eq_u32_e64 s13, 0, v3
	v_add_nc_u32_e32 v3, 0xffffff89, v3
	v_cndmask_b32_e64 v37, v37, 0x77, s13
	v_cndmask_b32_e64 v30, v38, v30, s13
	v_cndmask_b32_e64 v3, v3, 0xffffff8a, s13
	v_lshl_add_u32 v38, 0x100000, v37, -1
	v_lshrrev_b32_e32 v39, v37, v30
	v_lshlrev_b32_e64 v49, v37, 0x80000
	v_add_nc_u32_e32 v37, v37, v3
	v_and_b32_e32 v30, v38, v30
	v_bfe_u32 v48, v39, 20, 1
	v_cmp_eq_u32_e64 s14, v30, v49
	v_add_nc_u32_e32 v38, -1, v48
	v_cndmask_b32_e64 v30, 0, v38, s14
	v_lshrrev_b32_e32 v38, 23, v39
	s_mov_b32 s14, exec_lo
	v_add_nc_u32_e32 v30, v30, v39
	v_xor_b32_e32 v38, 1, v38
	v_and_b32_e32 v3, 0xfffff, v30
	v_add_nc_u32_e32 v30, v3, v39
                                        ; implicit-def: $vgpr3
	v_cmpx_ne_u32_e64 v37, v38
	s_xor_b32 s14, exec_lo, s14
; %bb.1946:                             ;   in Loop: Header=BB6_1671 Depth=2
	v_cmp_lt_u32_e64 s13, 0xffffff, v30
	v_sub_nc_u32_e32 v3, v37, v38
	v_cndmask_b32_e64 v37, 0, 1, s13
	v_add_co_ci_u32_e64 v3, null, 0, v3, s13
	v_lshrrev_b32_e32 v30, v37, v30
; %bb.1947:                             ;   in Loop: Header=BB6_1671 Depth=2
	s_andn2_saveexec_b32 s13, s14
; %bb.1948:                             ;   in Loop: Header=BB6_1671 Depth=2
	v_bfe_u32 v3, v30, 23, 1
; %bb.1949:                             ;   in Loop: Header=BB6_1671 Depth=2
	s_or_b32 exec_lo, exec_lo, s13
	v_lshrrev_b32_e32 v30, 20, v30
	v_min_i32_e32 v37, 15, v3
	v_cmp_gt_i32_e64 s13, 16, v3
	v_and_b32_sdwa v2, v2, v59 dst_sel:DWORD dst_unused:UNUSED_PAD src0_sel:BYTE_3 src1_sel:DWORD
	v_lshlrev_b32_e32 v37, 3, v37
	v_cndmask_b32_e64 v30, 7, v30, s13
	v_and_b32_e32 v37, 0xf8, v37
	v_and_b32_e32 v38, 7, v30
	v_or_b32_e32 v3, v3, v30
	v_or3_b32 v2, v2, v37, v38
	v_cmp_ne_u32_e64 s13, 0, v3
	v_lshlrev_b32_e32 v2, 8, v2
	v_cndmask_b32_e64 v30, 0, v2, s13
.LBB6_1950:                             ;   in Loop: Header=BB6_1671 Depth=2
	s_or_b32 exec_lo, exec_lo, s40
.LBB6_1951:                             ;   in Loop: Header=BB6_1671 Depth=2
	s_or_b32 exec_lo, exec_lo, s29
	v_and_b32_sdwa v3, v17, v62 dst_sel:DWORD dst_unused:UNUSED_PAD src0_sel:WORD_1 src1_sel:DWORD
	s_mov_b32 s14, 0
	s_mov_b32 s29, exec_lo
	v_cmpx_lt_i16_e32 0x7f, v3
	s_xor_b32 s29, exec_lo, s29
	s_cbranch_execz .LBB6_2045
; %bb.1952:                             ;   in Loop: Header=BB6_1671 Depth=2
	s_mov_b32 s14, -1
	s_mov_b32 s40, exec_lo
	v_cmpx_eq_u16_e32 0x80, v3
; %bb.1953:                             ;   in Loop: Header=BB6_1671 Depth=2
	s_xor_b32 s14, exec_lo, -1
; %bb.1954:                             ;   in Loop: Header=BB6_1671 Depth=2
	s_or_b32 exec_lo, exec_lo, s40
	s_and_b32 s14, s14, exec_lo
                                        ; implicit-def: $vgpr3
	s_or_saveexec_b32 s29, s29
	v_mov_b32_e32 v2, 0x7f800001
	s_xor_b32 exec_lo, exec_lo, s29
	s_cbranch_execnz .LBB6_2046
.LBB6_1955:                             ;   in Loop: Header=BB6_1671 Depth=2
	s_or_b32 exec_lo, exec_lo, s29
	s_and_saveexec_b32 s29, s14
	s_cbranch_execz .LBB6_1957
.LBB6_1956:                             ;   in Loop: Header=BB6_1671 Depth=2
	v_bfe_u32 v2, v17, 16, 3
	v_bfe_u32 v38, v17, 19, 4
	v_lshlrev_b32_e32 v39, 8, v17
	v_ffbh_u32_e32 v3, v2
	v_cmp_eq_u32_e64 s13, 0, v38
	v_min_u32_e32 v3, 32, v3
	v_subrev_nc_u32_e32 v37, 28, v3
	v_sub_nc_u32_e32 v3, 29, v3
	v_lshlrev_b32_sdwa v37, v37, v17 dst_sel:DWORD dst_unused:UNUSED_PAD src0_sel:DWORD src1_sel:WORD_1
	v_cndmask_b32_e64 v3, v38, v3, s13
	v_and_b32_e32 v37, 7, v37
	v_lshl_add_u32 v3, v3, 23, 0x3b800000
	v_cndmask_b32_e64 v2, v2, v37, s13
	v_and_b32_e32 v37, 0x80000000, v39
	v_lshlrev_b32_e32 v2, 20, v2
	v_or3_b32 v2, v37, v3, v2
.LBB6_1957:                             ;   in Loop: Header=BB6_1671 Depth=2
	s_or_b32 exec_lo, exec_lo, s29
	v_and_b32_sdwa v37, v13, v62 dst_sel:DWORD dst_unused:UNUSED_PAD src0_sel:WORD_1 src1_sel:DWORD
	s_mov_b32 s14, 0
	s_mov_b32 s29, exec_lo
	v_cmpx_lt_i16_e32 0x7f, v37
	s_xor_b32 s29, exec_lo, s29
	s_cbranch_execz .LBB6_2047
; %bb.1958:                             ;   in Loop: Header=BB6_1671 Depth=2
	s_mov_b32 s14, -1
	s_mov_b32 s40, exec_lo
	v_cmpx_eq_u16_e32 0x80, v37
; %bb.1959:                             ;   in Loop: Header=BB6_1671 Depth=2
	s_xor_b32 s14, exec_lo, -1
; %bb.1960:                             ;   in Loop: Header=BB6_1671 Depth=2
	s_or_b32 exec_lo, exec_lo, s40
	s_and_b32 s14, s14, exec_lo
                                        ; implicit-def: $vgpr37
	s_or_saveexec_b32 s29, s29
	v_mov_b32_e32 v3, 0x7f800001
	s_xor_b32 exec_lo, exec_lo, s29
	s_cbranch_execnz .LBB6_2048
.LBB6_1961:                             ;   in Loop: Header=BB6_1671 Depth=2
	s_or_b32 exec_lo, exec_lo, s29
	s_and_saveexec_b32 s29, s14
	s_cbranch_execz .LBB6_1963
.LBB6_1962:                             ;   in Loop: Header=BB6_1671 Depth=2
	v_and_b32_sdwa v3, v13, v63 dst_sel:DWORD dst_unused:UNUSED_PAD src0_sel:WORD_1 src1_sel:DWORD
	v_bfe_u32 v39, v13, 19, 4
	v_lshlrev_b32_sdwa v48, v61, v13 dst_sel:DWORD dst_unused:UNUSED_PAD src0_sel:DWORD src1_sel:WORD_1
	v_ffbh_u32_e32 v37, v3
	v_cmp_eq_u32_e64 s13, 0, v39
	v_min_u32_e32 v37, 32, v37
	v_subrev_nc_u32_e32 v38, 28, v37
	v_sub_nc_u32_e32 v37, 29, v37
	v_lshlrev_b32_sdwa v38, v38, v13 dst_sel:DWORD dst_unused:UNUSED_PAD src0_sel:DWORD src1_sel:WORD_1
	v_cndmask_b32_e64 v37, v39, v37, s13
	v_and_b32_e32 v38, 7, v38
	v_lshl_add_u32 v37, v37, 23, 0x3b800000
	v_cndmask_b32_e64 v3, v3, v38, s13
	v_and_b32_e32 v38, 0x80000000, v48
	v_lshlrev_b32_e32 v3, 20, v3
	v_or3_b32 v3, v38, v37, v3
.LBB6_1963:                             ;   in Loop: Header=BB6_1671 Depth=2
	s_or_b32 exec_lo, exec_lo, s29
	v_add_f32_e32 v3, v2, v3
	v_and_b32_e32 v2, 0x7f800000, v3
	v_cmp_ne_u32_e64 s13, 0x7f800000, v2
	v_mov_b32_e32 v2, 0x80
	s_and_saveexec_b32 s29, s13
	s_cbranch_execz .LBB6_1971
; %bb.1964:                             ;   in Loop: Header=BB6_1671 Depth=2
	v_mov_b32_e32 v2, 0
	s_mov_b32 s40, exec_lo
	v_cmpx_ne_u32_e32 0, v3
	s_cbranch_execz .LBB6_1970
; %bb.1965:                             ;   in Loop: Header=BB6_1671 Depth=2
	v_bfe_u32 v2, v3, 23, 8
	v_and_b32_e32 v37, 0x7fffff, v3
	v_sub_nc_u32_e32 v38, 0x78, v2
	v_cmp_gt_u32_e64 s13, 0x79, v2
	v_or_b32_e32 v39, 0x800000, v37
	v_cndmask_b32_e64 v38, 0, v38, s13
	v_cmp_eq_u32_e64 s13, 0, v2
	v_add_nc_u32_e32 v2, 0xffffff89, v2
	v_cndmask_b32_e64 v38, v38, 0x77, s13
	v_cndmask_b32_e64 v37, v39, v37, s13
	;; [unrolled: 1-line block ×3, first 2 shown]
	v_lshl_add_u32 v39, 0x100000, v38, -1
	v_lshrrev_b32_e32 v48, v38, v37
	v_lshlrev_b32_e64 v50, v38, 0x80000
	v_add_nc_u32_e32 v38, v38, v2
	v_and_b32_e32 v37, v39, v37
	v_bfe_u32 v49, v48, 20, 1
	v_cmp_eq_u32_e64 s14, v37, v50
	v_add_nc_u32_e32 v39, -1, v49
	v_cndmask_b32_e64 v37, 0, v39, s14
	v_lshrrev_b32_e32 v39, 23, v48
	s_mov_b32 s14, exec_lo
	v_add_nc_u32_e32 v37, v37, v48
	v_xor_b32_e32 v39, 1, v39
	v_and_b32_e32 v2, 0xfffff, v37
	v_add_nc_u32_e32 v37, v2, v48
                                        ; implicit-def: $vgpr2
	v_cmpx_ne_u32_e64 v38, v39
	s_xor_b32 s14, exec_lo, s14
; %bb.1966:                             ;   in Loop: Header=BB6_1671 Depth=2
	v_cmp_lt_u32_e64 s13, 0xffffff, v37
	v_sub_nc_u32_e32 v2, v38, v39
	v_cndmask_b32_e64 v38, 0, 1, s13
	v_add_co_ci_u32_e64 v2, null, 0, v2, s13
	v_lshrrev_b32_e32 v37, v38, v37
; %bb.1967:                             ;   in Loop: Header=BB6_1671 Depth=2
	s_andn2_saveexec_b32 s13, s14
; %bb.1968:                             ;   in Loop: Header=BB6_1671 Depth=2
	v_bfe_u32 v2, v37, 23, 1
; %bb.1969:                             ;   in Loop: Header=BB6_1671 Depth=2
	s_or_b32 exec_lo, exec_lo, s13
	v_lshrrev_b32_e32 v37, 20, v37
	v_min_i32_e32 v38, 15, v2
	v_cmp_gt_i32_e64 s13, 16, v2
	v_and_b32_sdwa v3, v3, v59 dst_sel:DWORD dst_unused:UNUSED_PAD src0_sel:BYTE_3 src1_sel:DWORD
	v_lshlrev_b32_e32 v38, 3, v38
	v_cndmask_b32_e64 v37, 7, v37, s13
	v_and_b32_e32 v38, 0xf8, v38
	v_and_b32_e32 v39, 7, v37
	v_or_b32_e32 v2, v2, v37
	v_or3_b32 v3, v38, v3, v39
	v_cmp_ne_u32_e64 s13, 0, v2
	v_cndmask_b32_e64 v2, 0, v3, s13
.LBB6_1970:                             ;   in Loop: Header=BB6_1671 Depth=2
	s_or_b32 exec_lo, exec_lo, s40
.LBB6_1971:                             ;   in Loop: Header=BB6_1671 Depth=2
	s_or_b32 exec_lo, exec_lo, s29
	v_cmp_gt_i16_sdwa s14, v17, v58 src0_sel:BYTE_3 src1_sel:DWORD
	s_mov_b32 s13, 0
	s_and_saveexec_b32 s29, s14
	s_xor_b32 s14, exec_lo, s29
	s_cbranch_execz .LBB6_2049
; %bb.1972:                             ;   in Loop: Header=BB6_1671 Depth=2
	v_cmp_eq_u16_sdwa s40, v17, v59 src0_sel:BYTE_3 src1_sel:DWORD
	s_mov_b32 s13, -1
	s_and_saveexec_b32 s29, s40
; %bb.1973:                             ;   in Loop: Header=BB6_1671 Depth=2
	s_xor_b32 s13, exec_lo, -1
; %bb.1974:                             ;   in Loop: Header=BB6_1671 Depth=2
	s_or_b32 exec_lo, exec_lo, s29
	s_and_b32 s13, s13, exec_lo
	s_or_saveexec_b32 s14, s14
	v_mov_b32_e32 v3, 0x7f800001
	s_xor_b32 exec_lo, exec_lo, s14
	s_cbranch_execnz .LBB6_2050
.LBB6_1975:                             ;   in Loop: Header=BB6_1671 Depth=2
	s_or_b32 exec_lo, exec_lo, s14
	s_and_saveexec_b32 s14, s13
	s_cbranch_execz .LBB6_1977
.LBB6_1976:                             ;   in Loop: Header=BB6_1671 Depth=2
	v_bfe_u32 v3, v17, 24, 3
	v_bfe_u32 v39, v17, 27, 4
	v_ffbh_u32_e32 v37, v3
	v_cmp_eq_u32_e64 s13, 0, v39
	v_min_u32_e32 v37, 32, v37
	v_subrev_nc_u32_e32 v38, 28, v37
	v_sub_nc_u32_e32 v37, 29, v37
	v_lshlrev_b32_sdwa v38, v38, v17 dst_sel:DWORD dst_unused:UNUSED_PAD src0_sel:DWORD src1_sel:BYTE_3
	v_cndmask_b32_e64 v37, v39, v37, s13
	v_and_b32_e32 v17, 0x80000000, v17
	v_and_b32_e32 v38, 7, v38
	v_lshl_add_u32 v37, v37, 23, 0x3b800000
	v_cndmask_b32_e64 v3, v3, v38, s13
	v_lshlrev_b32_e32 v3, 20, v3
	v_or3_b32 v3, v17, v37, v3
.LBB6_1977:                             ;   in Loop: Header=BB6_1671 Depth=2
	s_or_b32 exec_lo, exec_lo, s14
	v_cmp_gt_i16_sdwa s14, v13, v58 src0_sel:BYTE_3 src1_sel:DWORD
	s_mov_b32 s13, 0
	s_and_saveexec_b32 s29, s14
	s_xor_b32 s14, exec_lo, s29
	s_cbranch_execz .LBB6_2051
; %bb.1978:                             ;   in Loop: Header=BB6_1671 Depth=2
	v_cmp_eq_u16_sdwa s40, v13, v59 src0_sel:BYTE_3 src1_sel:DWORD
	s_mov_b32 s13, -1
	s_and_saveexec_b32 s29, s40
; %bb.1979:                             ;   in Loop: Header=BB6_1671 Depth=2
	s_xor_b32 s13, exec_lo, -1
; %bb.1980:                             ;   in Loop: Header=BB6_1671 Depth=2
	s_or_b32 exec_lo, exec_lo, s29
	s_and_b32 s13, s13, exec_lo
	s_or_saveexec_b32 s14, s14
	v_mov_b32_e32 v17, 0x7f800001
	s_xor_b32 exec_lo, exec_lo, s14
	s_cbranch_execnz .LBB6_2052
.LBB6_1981:                             ;   in Loop: Header=BB6_1671 Depth=2
	s_or_b32 exec_lo, exec_lo, s14
	s_and_saveexec_b32 s14, s13
	s_cbranch_execz .LBB6_1983
.LBB6_1982:                             ;   in Loop: Header=BB6_1671 Depth=2
	v_and_b32_sdwa v17, v13, v63 dst_sel:DWORD dst_unused:UNUSED_PAD src0_sel:BYTE_3 src1_sel:DWORD
	v_bfe_u32 v39, v13, 27, 4
	v_ffbh_u32_e32 v37, v17
	v_cmp_eq_u32_e64 s13, 0, v39
	v_min_u32_e32 v37, 32, v37
	v_subrev_nc_u32_e32 v38, 28, v37
	v_sub_nc_u32_e32 v37, 29, v37
	v_lshlrev_b32_sdwa v38, v38, v13 dst_sel:DWORD dst_unused:UNUSED_PAD src0_sel:DWORD src1_sel:BYTE_3
	v_cndmask_b32_e64 v37, v39, v37, s13
	v_and_b32_e32 v13, 0x80000000, v13
	v_and_b32_e32 v38, 7, v38
	v_lshl_add_u32 v37, v37, 23, 0x3b800000
	v_cndmask_b32_e64 v17, v17, v38, s13
	v_lshlrev_b32_e32 v17, 20, v17
	v_or3_b32 v17, v13, v37, v17
.LBB6_1983:                             ;   in Loop: Header=BB6_1671 Depth=2
	s_or_b32 exec_lo, exec_lo, s14
	v_add_f32_e32 v3, v3, v17
	v_and_b32_e32 v13, 0x7f800000, v3
	v_cmp_ne_u32_e64 s13, 0x7f800000, v13
	v_mov_b32_e32 v13, 0x8000
	s_and_saveexec_b32 s29, s13
	s_cbranch_execz .LBB6_1670
; %bb.1984:                             ;   in Loop: Header=BB6_1671 Depth=2
	v_mov_b32_e32 v13, 0
	s_mov_b32 s40, exec_lo
	v_cmpx_ne_u32_e32 0, v3
	s_cbranch_execz .LBB6_1669
; %bb.1985:                             ;   in Loop: Header=BB6_1671 Depth=2
	v_bfe_u32 v13, v3, 23, 8
	v_and_b32_e32 v17, 0x7fffff, v3
	v_sub_nc_u32_e32 v37, 0x78, v13
	v_cmp_gt_u32_e64 s13, 0x79, v13
	v_or_b32_e32 v38, 0x800000, v17
	v_cndmask_b32_e64 v37, 0, v37, s13
	v_cmp_eq_u32_e64 s13, 0, v13
	v_add_nc_u32_e32 v13, 0xffffff89, v13
	v_cndmask_b32_e64 v37, v37, 0x77, s13
	v_cndmask_b32_e64 v17, v38, v17, s13
	;; [unrolled: 1-line block ×3, first 2 shown]
	v_lshl_add_u32 v38, 0x100000, v37, -1
	v_lshrrev_b32_e32 v39, v37, v17
	v_lshlrev_b32_e64 v49, v37, 0x80000
	v_add_nc_u32_e32 v37, v37, v13
	v_and_b32_e32 v17, v38, v17
	v_bfe_u32 v48, v39, 20, 1
	v_cmp_eq_u32_e64 s14, v17, v49
	v_add_nc_u32_e32 v38, -1, v48
	v_cndmask_b32_e64 v17, 0, v38, s14
	v_lshrrev_b32_e32 v38, 23, v39
	s_mov_b32 s14, exec_lo
	v_add_nc_u32_e32 v17, v17, v39
	v_xor_b32_e32 v38, 1, v38
	v_and_b32_e32 v13, 0xfffff, v17
	v_add_nc_u32_e32 v17, v13, v39
                                        ; implicit-def: $vgpr13
	v_cmpx_ne_u32_e64 v37, v38
	s_xor_b32 s14, exec_lo, s14
; %bb.1986:                             ;   in Loop: Header=BB6_1671 Depth=2
	v_cmp_lt_u32_e64 s13, 0xffffff, v17
	v_sub_nc_u32_e32 v13, v37, v38
	v_cndmask_b32_e64 v37, 0, 1, s13
	v_add_co_ci_u32_e64 v13, null, 0, v13, s13
	v_lshrrev_b32_e32 v17, v37, v17
; %bb.1987:                             ;   in Loop: Header=BB6_1671 Depth=2
	s_andn2_saveexec_b32 s13, s14
	s_cbranch_execz .LBB6_1668
; %bb.1988:                             ;   in Loop: Header=BB6_1671 Depth=2
	v_bfe_u32 v13, v17, 23, 1
	s_branch .LBB6_1668
.LBB6_1989:                             ;   in Loop: Header=BB6_1671 Depth=2
	s_or_saveexec_b32 s14, s14
	v_mov_b32_e32 v2, 0x7f800001
	s_xor_b32 exec_lo, exec_lo, s14
	s_cbranch_execz .LBB6_1675
.LBB6_1990:                             ;   in Loop: Header=BB6_1671 Depth=2
	v_cmp_ne_u16_sdwa s29, v14, v84 src0_sel:BYTE_0 src1_sel:DWORD
	v_mov_b32_e32 v2, 0
	s_andn2_b32 s13, s13, exec_lo
	s_and_b32 s29, s29, exec_lo
	s_or_b32 s13, s13, s29
	s_or_b32 exec_lo, exec_lo, s14
	s_and_saveexec_b32 s14, s13
	s_cbranch_execnz .LBB6_1676
	s_branch .LBB6_1677
.LBB6_1991:                             ;   in Loop: Header=BB6_1671 Depth=2
	s_or_saveexec_b32 s14, s14
	v_mov_b32_e32 v3, 0x7f800001
	s_xor_b32 exec_lo, exec_lo, s14
	s_cbranch_execz .LBB6_1681
.LBB6_1992:                             ;   in Loop: Header=BB6_1671 Depth=2
	v_cmp_ne_u16_sdwa s29, v10, v84 src0_sel:BYTE_0 src1_sel:DWORD
	v_mov_b32_e32 v3, 0
	s_andn2_b32 s13, s13, exec_lo
	s_and_b32 s29, s29, exec_lo
	s_or_b32 s13, s13, s29
	s_or_b32 exec_lo, exec_lo, s14
	s_and_saveexec_b32 s14, s13
	s_cbranch_execnz .LBB6_1682
	s_branch .LBB6_1683
.LBB6_1993:                             ;   in Loop: Header=BB6_1671 Depth=2
	s_or_saveexec_b32 s14, s14
	v_mov_b32_e32 v2, 0x7f800001
	s_xor_b32 exec_lo, exec_lo, s14
	s_cbranch_execz .LBB6_1695
.LBB6_1994:                             ;   in Loop: Header=BB6_1671 Depth=2
	v_cmp_ne_u16_sdwa s29, v14, v84 src0_sel:BYTE_1 src1_sel:DWORD
	v_mov_b32_e32 v2, 0
	s_andn2_b32 s13, s13, exec_lo
	s_and_b32 s29, s29, exec_lo
	s_or_b32 s13, s13, s29
	s_or_b32 exec_lo, exec_lo, s14
	s_and_saveexec_b32 s14, s13
	s_cbranch_execnz .LBB6_1696
	s_branch .LBB6_1697
.LBB6_1995:                             ;   in Loop: Header=BB6_1671 Depth=2
	s_or_saveexec_b32 s14, s14
	v_mov_b32_e32 v3, 0x7f800001
	s_xor_b32 exec_lo, exec_lo, s14
	s_cbranch_execz .LBB6_1701
.LBB6_1996:                             ;   in Loop: Header=BB6_1671 Depth=2
	v_cmp_ne_u16_sdwa s29, v10, v84 src0_sel:BYTE_1 src1_sel:DWORD
	v_mov_b32_e32 v3, 0
	s_andn2_b32 s13, s13, exec_lo
	s_and_b32 s29, s29, exec_lo
	s_or_b32 s13, s13, s29
	s_or_b32 exec_lo, exec_lo, s14
	s_and_saveexec_b32 s14, s13
	s_cbranch_execnz .LBB6_1702
	s_branch .LBB6_1703
.LBB6_1997:                             ;   in Loop: Header=BB6_1671 Depth=2
	s_or_saveexec_b32 s29, s29
	v_mov_b32_e32 v2, 0x7f800001
	s_xor_b32 exec_lo, exec_lo, s29
	s_cbranch_execz .LBB6_1715
.LBB6_1998:                             ;   in Loop: Header=BB6_1671 Depth=2
	v_cmp_ne_u16_e64 s13, 0, v3
	v_mov_b32_e32 v2, 0
	s_andn2_b32 s14, s14, exec_lo
	s_and_b32 s13, s13, exec_lo
	s_or_b32 s14, s14, s13
	s_or_b32 exec_lo, exec_lo, s29
	s_and_saveexec_b32 s29, s14
	s_cbranch_execnz .LBB6_1716
	s_branch .LBB6_1717
.LBB6_1999:                             ;   in Loop: Header=BB6_1671 Depth=2
	s_or_saveexec_b32 s29, s29
	v_mov_b32_e32 v3, 0x7f800001
	s_xor_b32 exec_lo, exec_lo, s29
	s_cbranch_execz .LBB6_1721
.LBB6_2000:                             ;   in Loop: Header=BB6_1671 Depth=2
	v_cmp_ne_u16_e64 s13, 0, v30
	v_mov_b32_e32 v3, 0
	s_andn2_b32 s14, s14, exec_lo
	s_and_b32 s13, s13, exec_lo
	s_or_b32 s14, s14, s13
	s_or_b32 exec_lo, exec_lo, s29
	s_and_saveexec_b32 s29, s14
	s_cbranch_execnz .LBB6_1722
	s_branch .LBB6_1723
.LBB6_2001:                             ;   in Loop: Header=BB6_1671 Depth=2
	s_or_saveexec_b32 s14, s14
	v_mov_b32_e32 v2, 0x7f800001
	s_xor_b32 exec_lo, exec_lo, s14
	s_cbranch_execz .LBB6_1735
.LBB6_2002:                             ;   in Loop: Header=BB6_1671 Depth=2
	v_cmp_ne_u16_sdwa s29, v14, v84 src0_sel:BYTE_3 src1_sel:DWORD
	v_mov_b32_e32 v2, 0
	s_andn2_b32 s13, s13, exec_lo
	s_and_b32 s29, s29, exec_lo
	s_or_b32 s13, s13, s29
	s_or_b32 exec_lo, exec_lo, s14
	s_and_saveexec_b32 s14, s13
	s_cbranch_execnz .LBB6_1736
	s_branch .LBB6_1737
.LBB6_2003:                             ;   in Loop: Header=BB6_1671 Depth=2
	s_or_saveexec_b32 s14, s14
	v_mov_b32_e32 v3, 0x7f800001
	s_xor_b32 exec_lo, exec_lo, s14
	s_cbranch_execz .LBB6_1741
.LBB6_2004:                             ;   in Loop: Header=BB6_1671 Depth=2
	v_cmp_ne_u16_sdwa s29, v10, v84 src0_sel:BYTE_3 src1_sel:DWORD
	v_mov_b32_e32 v3, 0
	s_andn2_b32 s13, s13, exec_lo
	s_and_b32 s29, s29, exec_lo
	s_or_b32 s13, s13, s29
	s_or_b32 exec_lo, exec_lo, s14
	s_and_saveexec_b32 s14, s13
	s_cbranch_execnz .LBB6_1742
	s_branch .LBB6_1743
.LBB6_2005:                             ;   in Loop: Header=BB6_1671 Depth=2
	s_or_saveexec_b32 s14, s14
	v_mov_b32_e32 v2, 0x7f800001
	s_xor_b32 exec_lo, exec_lo, s14
	s_cbranch_execz .LBB6_1755
.LBB6_2006:                             ;   in Loop: Header=BB6_1671 Depth=2
	v_cmp_ne_u16_sdwa s29, v15, v84 src0_sel:BYTE_0 src1_sel:DWORD
	v_mov_b32_e32 v2, 0
	s_andn2_b32 s13, s13, exec_lo
	s_and_b32 s29, s29, exec_lo
	s_or_b32 s13, s13, s29
	s_or_b32 exec_lo, exec_lo, s14
	s_and_saveexec_b32 s14, s13
	s_cbranch_execnz .LBB6_1756
	s_branch .LBB6_1757
.LBB6_2007:                             ;   in Loop: Header=BB6_1671 Depth=2
	s_or_saveexec_b32 s14, s14
	v_mov_b32_e32 v3, 0x7f800001
	s_xor_b32 exec_lo, exec_lo, s14
	s_cbranch_execz .LBB6_1761
.LBB6_2008:                             ;   in Loop: Header=BB6_1671 Depth=2
	v_cmp_ne_u16_sdwa s29, v11, v84 src0_sel:BYTE_0 src1_sel:DWORD
	v_mov_b32_e32 v3, 0
	s_andn2_b32 s13, s13, exec_lo
	s_and_b32 s29, s29, exec_lo
	s_or_b32 s13, s13, s29
	s_or_b32 exec_lo, exec_lo, s14
	s_and_saveexec_b32 s14, s13
	s_cbranch_execnz .LBB6_1762
	s_branch .LBB6_1763
.LBB6_2009:                             ;   in Loop: Header=BB6_1671 Depth=2
	s_or_saveexec_b32 s14, s14
	v_mov_b32_e32 v2, 0x7f800001
	s_xor_b32 exec_lo, exec_lo, s14
	s_cbranch_execz .LBB6_1775
.LBB6_2010:                             ;   in Loop: Header=BB6_1671 Depth=2
	v_cmp_ne_u16_sdwa s29, v15, v84 src0_sel:BYTE_1 src1_sel:DWORD
	v_mov_b32_e32 v2, 0
	s_andn2_b32 s13, s13, exec_lo
	s_and_b32 s29, s29, exec_lo
	s_or_b32 s13, s13, s29
	s_or_b32 exec_lo, exec_lo, s14
	s_and_saveexec_b32 s14, s13
	s_cbranch_execnz .LBB6_1776
	s_branch .LBB6_1777
.LBB6_2011:                             ;   in Loop: Header=BB6_1671 Depth=2
	s_or_saveexec_b32 s14, s14
	v_mov_b32_e32 v3, 0x7f800001
	s_xor_b32 exec_lo, exec_lo, s14
	s_cbranch_execz .LBB6_1781
.LBB6_2012:                             ;   in Loop: Header=BB6_1671 Depth=2
	v_cmp_ne_u16_sdwa s29, v11, v84 src0_sel:BYTE_1 src1_sel:DWORD
	v_mov_b32_e32 v3, 0
	s_andn2_b32 s13, s13, exec_lo
	s_and_b32 s29, s29, exec_lo
	s_or_b32 s13, s13, s29
	s_or_b32 exec_lo, exec_lo, s14
	s_and_saveexec_b32 s14, s13
	s_cbranch_execnz .LBB6_1782
	s_branch .LBB6_1783
.LBB6_2013:                             ;   in Loop: Header=BB6_1671 Depth=2
	s_or_saveexec_b32 s29, s29
	v_mov_b32_e32 v2, 0x7f800001
	s_xor_b32 exec_lo, exec_lo, s29
	s_cbranch_execz .LBB6_1795
.LBB6_2014:                             ;   in Loop: Header=BB6_1671 Depth=2
	v_cmp_ne_u16_e64 s13, 0, v3
	v_mov_b32_e32 v2, 0
	s_andn2_b32 s14, s14, exec_lo
	s_and_b32 s13, s13, exec_lo
	s_or_b32 s14, s14, s13
	s_or_b32 exec_lo, exec_lo, s29
	s_and_saveexec_b32 s29, s14
	s_cbranch_execnz .LBB6_1796
	s_branch .LBB6_1797
.LBB6_2015:                             ;   in Loop: Header=BB6_1671 Depth=2
	s_or_saveexec_b32 s29, s29
	v_mov_b32_e32 v3, 0x7f800001
	s_xor_b32 exec_lo, exec_lo, s29
	s_cbranch_execz .LBB6_1801
.LBB6_2016:                             ;   in Loop: Header=BB6_1671 Depth=2
	v_cmp_ne_u16_e64 s13, 0, v30
	v_mov_b32_e32 v3, 0
	s_andn2_b32 s14, s14, exec_lo
	s_and_b32 s13, s13, exec_lo
	s_or_b32 s14, s14, s13
	s_or_b32 exec_lo, exec_lo, s29
	s_and_saveexec_b32 s29, s14
	s_cbranch_execnz .LBB6_1802
	s_branch .LBB6_1803
.LBB6_2017:                             ;   in Loop: Header=BB6_1671 Depth=2
	s_or_saveexec_b32 s14, s14
	v_mov_b32_e32 v2, 0x7f800001
	s_xor_b32 exec_lo, exec_lo, s14
	s_cbranch_execz .LBB6_1815
.LBB6_2018:                             ;   in Loop: Header=BB6_1671 Depth=2
	v_cmp_ne_u16_sdwa s29, v15, v84 src0_sel:BYTE_3 src1_sel:DWORD
	v_mov_b32_e32 v2, 0
	s_andn2_b32 s13, s13, exec_lo
	s_and_b32 s29, s29, exec_lo
	s_or_b32 s13, s13, s29
	s_or_b32 exec_lo, exec_lo, s14
	s_and_saveexec_b32 s14, s13
	s_cbranch_execnz .LBB6_1816
	s_branch .LBB6_1817
.LBB6_2019:                             ;   in Loop: Header=BB6_1671 Depth=2
	s_or_saveexec_b32 s14, s14
	v_mov_b32_e32 v3, 0x7f800001
	s_xor_b32 exec_lo, exec_lo, s14
	s_cbranch_execz .LBB6_1821
.LBB6_2020:                             ;   in Loop: Header=BB6_1671 Depth=2
	v_cmp_ne_u16_sdwa s29, v11, v84 src0_sel:BYTE_3 src1_sel:DWORD
	v_mov_b32_e32 v3, 0
	s_andn2_b32 s13, s13, exec_lo
	s_and_b32 s29, s29, exec_lo
	s_or_b32 s13, s13, s29
	s_or_b32 exec_lo, exec_lo, s14
	s_and_saveexec_b32 s14, s13
	s_cbranch_execnz .LBB6_1822
	s_branch .LBB6_1823
.LBB6_2021:                             ;   in Loop: Header=BB6_1671 Depth=2
	s_or_saveexec_b32 s14, s14
	v_mov_b32_e32 v2, 0x7f800001
	s_xor_b32 exec_lo, exec_lo, s14
	s_cbranch_execz .LBB6_1835
.LBB6_2022:                             ;   in Loop: Header=BB6_1671 Depth=2
	v_cmp_ne_u16_sdwa s29, v16, v84 src0_sel:BYTE_0 src1_sel:DWORD
	v_mov_b32_e32 v2, 0
	s_andn2_b32 s13, s13, exec_lo
	s_and_b32 s29, s29, exec_lo
	s_or_b32 s13, s13, s29
	s_or_b32 exec_lo, exec_lo, s14
	s_and_saveexec_b32 s14, s13
	s_cbranch_execnz .LBB6_1836
	s_branch .LBB6_1837
.LBB6_2023:                             ;   in Loop: Header=BB6_1671 Depth=2
	s_or_saveexec_b32 s14, s14
	v_mov_b32_e32 v3, 0x7f800001
	s_xor_b32 exec_lo, exec_lo, s14
	s_cbranch_execz .LBB6_1841
.LBB6_2024:                             ;   in Loop: Header=BB6_1671 Depth=2
	v_cmp_ne_u16_sdwa s29, v12, v84 src0_sel:BYTE_0 src1_sel:DWORD
	v_mov_b32_e32 v3, 0
	s_andn2_b32 s13, s13, exec_lo
	s_and_b32 s29, s29, exec_lo
	s_or_b32 s13, s13, s29
	s_or_b32 exec_lo, exec_lo, s14
	s_and_saveexec_b32 s14, s13
	s_cbranch_execnz .LBB6_1842
	s_branch .LBB6_1843
.LBB6_2025:                             ;   in Loop: Header=BB6_1671 Depth=2
	s_or_saveexec_b32 s14, s14
	v_mov_b32_e32 v2, 0x7f800001
	s_xor_b32 exec_lo, exec_lo, s14
	s_cbranch_execz .LBB6_1855
.LBB6_2026:                             ;   in Loop: Header=BB6_1671 Depth=2
	v_cmp_ne_u16_sdwa s29, v16, v84 src0_sel:BYTE_1 src1_sel:DWORD
	v_mov_b32_e32 v2, 0
	s_andn2_b32 s13, s13, exec_lo
	s_and_b32 s29, s29, exec_lo
	s_or_b32 s13, s13, s29
	s_or_b32 exec_lo, exec_lo, s14
	s_and_saveexec_b32 s14, s13
	s_cbranch_execnz .LBB6_1856
	s_branch .LBB6_1857
.LBB6_2027:                             ;   in Loop: Header=BB6_1671 Depth=2
	s_or_saveexec_b32 s14, s14
	v_mov_b32_e32 v3, 0x7f800001
	s_xor_b32 exec_lo, exec_lo, s14
	s_cbranch_execz .LBB6_1861
.LBB6_2028:                             ;   in Loop: Header=BB6_1671 Depth=2
	v_cmp_ne_u16_sdwa s29, v12, v84 src0_sel:BYTE_1 src1_sel:DWORD
	v_mov_b32_e32 v3, 0
	s_andn2_b32 s13, s13, exec_lo
	s_and_b32 s29, s29, exec_lo
	s_or_b32 s13, s13, s29
	s_or_b32 exec_lo, exec_lo, s14
	s_and_saveexec_b32 s14, s13
	s_cbranch_execnz .LBB6_1862
	s_branch .LBB6_1863
.LBB6_2029:                             ;   in Loop: Header=BB6_1671 Depth=2
	s_or_saveexec_b32 s29, s29
	v_mov_b32_e32 v2, 0x7f800001
	s_xor_b32 exec_lo, exec_lo, s29
	s_cbranch_execz .LBB6_1875
.LBB6_2030:                             ;   in Loop: Header=BB6_1671 Depth=2
	v_cmp_ne_u16_e64 s13, 0, v3
	v_mov_b32_e32 v2, 0
	s_andn2_b32 s14, s14, exec_lo
	s_and_b32 s13, s13, exec_lo
	s_or_b32 s14, s14, s13
	s_or_b32 exec_lo, exec_lo, s29
	s_and_saveexec_b32 s29, s14
	s_cbranch_execnz .LBB6_1876
	s_branch .LBB6_1877
.LBB6_2031:                             ;   in Loop: Header=BB6_1671 Depth=2
	s_or_saveexec_b32 s29, s29
	v_mov_b32_e32 v3, 0x7f800001
	s_xor_b32 exec_lo, exec_lo, s29
	s_cbranch_execz .LBB6_1881
.LBB6_2032:                             ;   in Loop: Header=BB6_1671 Depth=2
	v_cmp_ne_u16_e64 s13, 0, v30
	v_mov_b32_e32 v3, 0
	s_andn2_b32 s14, s14, exec_lo
	s_and_b32 s13, s13, exec_lo
	s_or_b32 s14, s14, s13
	s_or_b32 exec_lo, exec_lo, s29
	s_and_saveexec_b32 s29, s14
	s_cbranch_execnz .LBB6_1882
	s_branch .LBB6_1883
.LBB6_2033:                             ;   in Loop: Header=BB6_1671 Depth=2
	s_or_saveexec_b32 s14, s14
	v_mov_b32_e32 v2, 0x7f800001
	s_xor_b32 exec_lo, exec_lo, s14
	s_cbranch_execz .LBB6_1895
.LBB6_2034:                             ;   in Loop: Header=BB6_1671 Depth=2
	v_cmp_ne_u16_sdwa s29, v16, v84 src0_sel:BYTE_3 src1_sel:DWORD
	v_mov_b32_e32 v2, 0
	s_andn2_b32 s13, s13, exec_lo
	s_and_b32 s29, s29, exec_lo
	s_or_b32 s13, s13, s29
	s_or_b32 exec_lo, exec_lo, s14
	s_and_saveexec_b32 s14, s13
	s_cbranch_execnz .LBB6_1896
	s_branch .LBB6_1897
.LBB6_2035:                             ;   in Loop: Header=BB6_1671 Depth=2
	s_or_saveexec_b32 s14, s14
	v_mov_b32_e32 v3, 0x7f800001
	s_xor_b32 exec_lo, exec_lo, s14
	s_cbranch_execz .LBB6_1901
.LBB6_2036:                             ;   in Loop: Header=BB6_1671 Depth=2
	v_cmp_ne_u16_sdwa s29, v12, v84 src0_sel:BYTE_3 src1_sel:DWORD
	v_mov_b32_e32 v3, 0
	s_andn2_b32 s13, s13, exec_lo
	s_and_b32 s29, s29, exec_lo
	s_or_b32 s13, s13, s29
	s_or_b32 exec_lo, exec_lo, s14
	s_and_saveexec_b32 s14, s13
	s_cbranch_execnz .LBB6_1902
	s_branch .LBB6_1903
.LBB6_2037:                             ;   in Loop: Header=BB6_1671 Depth=2
	s_or_saveexec_b32 s14, s14
	v_mov_b32_e32 v2, 0x7f800001
	s_xor_b32 exec_lo, exec_lo, s14
	s_cbranch_execz .LBB6_1915
.LBB6_2038:                             ;   in Loop: Header=BB6_1671 Depth=2
	v_cmp_ne_u16_sdwa s29, v17, v84 src0_sel:BYTE_0 src1_sel:DWORD
	v_mov_b32_e32 v2, 0
	s_andn2_b32 s13, s13, exec_lo
	s_and_b32 s29, s29, exec_lo
	s_or_b32 s13, s13, s29
	s_or_b32 exec_lo, exec_lo, s14
	s_and_saveexec_b32 s14, s13
	s_cbranch_execnz .LBB6_1916
	s_branch .LBB6_1917
.LBB6_2039:                             ;   in Loop: Header=BB6_1671 Depth=2
	s_or_saveexec_b32 s14, s14
	v_mov_b32_e32 v3, 0x7f800001
	s_xor_b32 exec_lo, exec_lo, s14
	s_cbranch_execz .LBB6_1921
.LBB6_2040:                             ;   in Loop: Header=BB6_1671 Depth=2
	v_cmp_ne_u16_sdwa s29, v13, v84 src0_sel:BYTE_0 src1_sel:DWORD
	v_mov_b32_e32 v3, 0
	s_andn2_b32 s13, s13, exec_lo
	s_and_b32 s29, s29, exec_lo
	s_or_b32 s13, s13, s29
	s_or_b32 exec_lo, exec_lo, s14
	s_and_saveexec_b32 s14, s13
	s_cbranch_execnz .LBB6_1922
	s_branch .LBB6_1923
.LBB6_2041:                             ;   in Loop: Header=BB6_1671 Depth=2
	s_or_saveexec_b32 s14, s14
	v_mov_b32_e32 v2, 0x7f800001
	s_xor_b32 exec_lo, exec_lo, s14
	s_cbranch_execz .LBB6_1935
.LBB6_2042:                             ;   in Loop: Header=BB6_1671 Depth=2
	v_cmp_ne_u16_sdwa s29, v17, v84 src0_sel:BYTE_1 src1_sel:DWORD
	v_mov_b32_e32 v2, 0
	s_andn2_b32 s13, s13, exec_lo
	s_and_b32 s29, s29, exec_lo
	s_or_b32 s13, s13, s29
	s_or_b32 exec_lo, exec_lo, s14
	s_and_saveexec_b32 s14, s13
	s_cbranch_execnz .LBB6_1936
	s_branch .LBB6_1937
.LBB6_2043:                             ;   in Loop: Header=BB6_1671 Depth=2
	s_or_saveexec_b32 s14, s14
	v_mov_b32_e32 v3, 0x7f800001
	s_xor_b32 exec_lo, exec_lo, s14
	s_cbranch_execz .LBB6_1941
.LBB6_2044:                             ;   in Loop: Header=BB6_1671 Depth=2
	v_cmp_ne_u16_sdwa s29, v13, v84 src0_sel:BYTE_1 src1_sel:DWORD
	v_mov_b32_e32 v3, 0
	s_andn2_b32 s13, s13, exec_lo
	s_and_b32 s29, s29, exec_lo
	s_or_b32 s13, s13, s29
	s_or_b32 exec_lo, exec_lo, s14
	s_and_saveexec_b32 s14, s13
	s_cbranch_execnz .LBB6_1942
	s_branch .LBB6_1943
.LBB6_2045:                             ;   in Loop: Header=BB6_1671 Depth=2
	s_or_saveexec_b32 s29, s29
	v_mov_b32_e32 v2, 0x7f800001
	s_xor_b32 exec_lo, exec_lo, s29
	s_cbranch_execz .LBB6_1955
.LBB6_2046:                             ;   in Loop: Header=BB6_1671 Depth=2
	v_cmp_ne_u16_e64 s13, 0, v3
	v_mov_b32_e32 v2, 0
	s_andn2_b32 s14, s14, exec_lo
	s_and_b32 s13, s13, exec_lo
	s_or_b32 s14, s14, s13
	s_or_b32 exec_lo, exec_lo, s29
	s_and_saveexec_b32 s29, s14
	s_cbranch_execnz .LBB6_1956
	s_branch .LBB6_1957
.LBB6_2047:                             ;   in Loop: Header=BB6_1671 Depth=2
	s_or_saveexec_b32 s29, s29
	v_mov_b32_e32 v3, 0x7f800001
	s_xor_b32 exec_lo, exec_lo, s29
	s_cbranch_execz .LBB6_1961
.LBB6_2048:                             ;   in Loop: Header=BB6_1671 Depth=2
	v_cmp_ne_u16_e64 s13, 0, v37
	v_mov_b32_e32 v3, 0
	s_andn2_b32 s14, s14, exec_lo
	s_and_b32 s13, s13, exec_lo
	s_or_b32 s14, s14, s13
	s_or_b32 exec_lo, exec_lo, s29
	s_and_saveexec_b32 s29, s14
	s_cbranch_execnz .LBB6_1962
	s_branch .LBB6_1963
.LBB6_2049:                             ;   in Loop: Header=BB6_1671 Depth=2
	s_or_saveexec_b32 s14, s14
	v_mov_b32_e32 v3, 0x7f800001
	s_xor_b32 exec_lo, exec_lo, s14
	s_cbranch_execz .LBB6_1975
.LBB6_2050:                             ;   in Loop: Header=BB6_1671 Depth=2
	v_cmp_ne_u16_sdwa s29, v17, v84 src0_sel:BYTE_3 src1_sel:DWORD
	v_mov_b32_e32 v3, 0
	s_andn2_b32 s13, s13, exec_lo
	s_and_b32 s29, s29, exec_lo
	s_or_b32 s13, s13, s29
	s_or_b32 exec_lo, exec_lo, s14
	s_and_saveexec_b32 s14, s13
	s_cbranch_execnz .LBB6_1976
	s_branch .LBB6_1977
.LBB6_2051:                             ;   in Loop: Header=BB6_1671 Depth=2
	s_or_saveexec_b32 s14, s14
	v_mov_b32_e32 v17, 0x7f800001
	s_xor_b32 exec_lo, exec_lo, s14
	s_cbranch_execz .LBB6_1981
.LBB6_2052:                             ;   in Loop: Header=BB6_1671 Depth=2
	v_cmp_ne_u16_sdwa s29, v13, v84 src0_sel:BYTE_3 src1_sel:DWORD
	v_mov_b32_e32 v17, 0
	s_andn2_b32 s13, s13, exec_lo
	s_and_b32 s29, s29, exec_lo
	s_or_b32 s13, s13, s29
	s_or_b32 exec_lo, exec_lo, s14
	s_and_saveexec_b32 s14, s13
	s_cbranch_execnz .LBB6_1982
	s_branch .LBB6_1983
.LBB6_2053:                             ;   in Loop: Header=BB6_49 Depth=1
	s_or_b32 exec_lo, exec_lo, s28
.LBB6_2054:                             ;   in Loop: Header=BB6_49 Depth=1
	s_or_b32 exec_lo, exec_lo, s27
	v_and_b32_e32 v2, 15, v85
	v_mov_b32_e32 v16, 0
	s_mov_b32 s14, 0
	s_mov_b32 s27, exec_lo
                                        ; implicit-def: $vgpr18
	v_cndmask_b32_e32 v17, v26, v2, vcc_lo
                                        ; implicit-def: $vgpr2
	v_cmpx_ne_u32_e32 0, v17
	s_cbranch_execz .LBB6_2056
; %bb.2055:                             ;   in Loop: Header=BB6_49 Depth=1
	v_cmp_lt_i32_e64 s13, 0, v25
	v_and_b32_e32 v3, 0x1f0, v85
	s_mov_b32 s14, exec_lo
	v_cndmask_b32_e64 v2, 0, v119, s13
	v_cndmask_b32_e32 v3, 0, v3, vcc_lo
	v_sub_nc_u32_e32 v2, v2, v25
	v_and_or_b32 v16, 0x3ffffe00, v85, v3
	v_lshl_add_u32 v18, v2, 5, v24
	v_ashrrev_i32_e32 v2, 31, v18
	v_lshrrev_b32_e32 v2, 27, v2
	v_add_nc_u32_e32 v2, v18, v2
	v_ashrrev_i32_e32 v2, 5, v2
.LBB6_2056:                             ;   in Loop: Header=BB6_49 Depth=1
	s_or_b32 exec_lo, exec_lo, s27
	s_and_b32 s13, s14, exec_lo
.LBB6_2057:                             ;   in Loop: Header=BB6_49 Depth=1
	s_or_b32 exec_lo, exec_lo, s26
	s_and_saveexec_b32 s14, s13
	s_cbranch_execz .LBB6_2858
.LBB6_2058:                             ;   in Loop: Header=BB6_49 Depth=1
	v_lshrrev_b32_e32 v3, 10, v17
	s_mov_b32 s26, exec_lo
	v_sub_nc_u32_e32 v19, v3, v2
	v_ashrrev_i32_e32 v3, 31, v18
	v_lshrrev_b32_e32 v20, 27, v3
	v_cmpx_lt_i32_e32 0, v19
	s_cbranch_execz .LBB6_2830
; %bb.2059:                             ;   in Loop: Header=BB6_49 Depth=1
	v_add_nc_u32_e32 v3, v18, v20
	v_lshlrev_b32_e32 v11, 10, v2
	s_trap 2
	v_add_co_u32 v21, vcc_lo, 0x3e0, v100
	v_and_b32_e32 v10, 0xffffffe0, v3
	ds_read_b64 v[2:3], v0
	v_add_co_ci_u32_e64 v22, null, 0, v101, vcc_lo
	s_mov_b32 s27, 0
	v_sub_nc_u32_e32 v10, v18, v10
	v_add3_u32 v14, v16, v10, v11
	v_ashrrev_i32_e32 v15, 31, v14
	v_add_co_u32 v10, vcc_lo, v14, v98
	v_add_co_ci_u32_e64 v11, null, v15, v99, vcc_lo
	s_waitcnt lgkmcnt(0)
	v_add_co_u32 v12, vcc_lo, v2, v14
	v_add_co_ci_u32_e64 v13, null, v3, v15, vcc_lo
	v_add_co_u32 v14, vcc_lo, v21, v14
	v_add_co_ci_u32_e64 v15, null, v22, v15, vcc_lo
	s_branch .LBB6_2063
.LBB6_2060:                             ;   in Loop: Header=BB6_2063 Depth=2
	s_or_b32 exec_lo, exec_lo, s13
	v_lshrrev_b32_e32 v21, 20, v21
	v_cmp_gt_i32_e32 vcc_lo, 16, v2
	v_min_i32_e32 v22, 15, v2
	v_and_b32_sdwa v3, v3, v59 dst_sel:DWORD dst_unused:UNUSED_PAD src0_sel:BYTE_3 src1_sel:DWORD
	v_cndmask_b32_e32 v21, 7, v21, vcc_lo
	v_lshlrev_b32_e32 v22, 3, v22
	v_and_b32_e32 v25, 7, v21
	v_or_b32_e32 v2, v2, v21
	v_or3_b32 v3, v22, v3, v25
	v_cmp_ne_u32_e32 vcc_lo, 0, v2
	v_cndmask_b32_e32 v2, 0, v3, vcc_lo
.LBB6_2061:                             ;   in Loop: Header=BB6_2063 Depth=2
	s_or_b32 exec_lo, exec_lo, s29
.LBB6_2062:                             ;   in Loop: Header=BB6_2063 Depth=2
	s_or_b32 exec_lo, exec_lo, s28
	v_add_co_u32 v21, vcc_lo, 0xfffffc20, v14
	v_add_co_ci_u32_e64 v22, null, -1, v15, vcc_lo
	v_sub_nc_u32_e32 v19, v19, v119
	flat_store_byte v[21:22], v23 glc slc
	v_add_co_u32 v21, vcc_lo, 0xfffffc40, v14
	v_add_co_ci_u32_e64 v22, null, -1, v15, vcc_lo
	v_add_co_u32 v103, vcc_lo, 0xfffffc60, v14
	v_add_co_ci_u32_e64 v104, null, -1, v15, vcc_lo
	v_add_co_u32 v106, vcc_lo, 0xfffffc80, v14
	v_add_co_ci_u32_e64 v107, null, -1, v15, vcc_lo
	v_add_co_u32 v108, vcc_lo, 0xfffffca0, v14
	v_add_co_ci_u32_e64 v109, null, -1, v15, vcc_lo
	v_add_co_u32 v110, vcc_lo, 0xfffffcc0, v14
	v_add_co_ci_u32_e64 v111, null, -1, v15, vcc_lo
	flat_store_byte v[21:22], v27 glc slc
	flat_store_byte v[103:104], v33 glc slc
	flat_store_byte v[106:107], v36 glc slc
	flat_store_byte v[108:109], v39 glc slc
	flat_store_byte v[110:111], v98 glc slc
	v_add_co_u32 v21, vcc_lo, 0xfffffce0, v14
	v_add_co_ci_u32_e64 v22, null, -1, v15, vcc_lo
	v_add_co_u32 v27, vcc_lo, 0xfffffd00, v14
	v_add_co_ci_u32_e64 v28, null, -1, v15, vcc_lo
	v_add_co_u32 v32, vcc_lo, 0xfffffd20, v14
	v_add_co_ci_u32_e64 v33, null, -1, v15, vcc_lo
	v_add_co_u32 v35, vcc_lo, 0xfffffd40, v14
	v_add_co_ci_u32_e64 v36, null, -1, v15, vcc_lo
	v_add_co_u32 v38, vcc_lo, 0xfffffd60, v14
	v_add_co_ci_u32_e64 v39, null, -1, v15, vcc_lo
	flat_store_byte v[21:22], v101 glc slc
	flat_store_byte v[27:28], v112 glc slc
	flat_store_byte v[32:33], v115 glc slc
	flat_store_byte v[35:36], v74 glc slc
	;; [unrolled: 15-line block ×5, first 2 shown]
	flat_store_byte v[38:39], v48 glc slc
	v_add_co_u32 v21, vcc_lo, 0xffffff60, v14
	v_add_co_ci_u32_e64 v22, null, -1, v15, vcc_lo
	v_add_co_u32 v27, vcc_lo, 0xffffff80, v14
	v_add_co_ci_u32_e64 v28, null, -1, v15, vcc_lo
	;; [unrolled: 2-line block ×5, first 2 shown]
	v_add_co_u32 v10, vcc_lo, v10, v56
	v_add_co_ci_u32_e64 v11, null, 0, v11, vcc_lo
	v_add_co_u32 v12, vcc_lo, v12, v56
	flat_store_byte v[21:22], v37 glc slc
	flat_store_byte v[27:28], v34 glc slc
	;; [unrolled: 1-line block ×6, first 2 shown]
	v_add_co_ci_u32_e64 v13, null, 0, v13, vcc_lo
	v_cmp_gt_i32_e32 vcc_lo, 1, v19
	v_add_co_u32 v14, s13, v14, v56
	v_add_co_ci_u32_e64 v15, null, 0, v15, s13
	s_or_b32 s27, vcc_lo, s27
	s_andn2_b32 exec_lo, exec_lo, s27
	s_cbranch_execz .LBB6_2829
.LBB6_2063:                             ;   Parent Loop BB6_49 Depth=1
                                        ; =>  This Inner Loop Header: Depth=2
	s_clause 0x1f
	flat_load_ubyte v2, v[10:11] slc
	flat_load_ubyte v27, v[10:11] offset:32 slc
	flat_load_ubyte v33, v[10:11] offset:64 slc
	;; [unrolled: 1-line block ×31, first 2 shown]
	s_clause 0x1f
	flat_load_ubyte v3, v[12:13] slc
	flat_load_ubyte v30, v[12:13] offset:32 slc
	flat_load_ubyte v125, v[12:13] offset:64 slc
	;; [unrolled: 1-line block ×31, first 2 shown]
	s_mov_b32 s13, 0
	s_waitcnt vmcnt(62) lgkmcnt(62)
	v_cmp_lt_i16_e32 vcc_lo, 0x7f, v2
	s_and_saveexec_b32 s28, vcc_lo
	s_xor_b32 s28, exec_lo, s28
	s_cbranch_execz .LBB6_2701
; %bb.2064:                             ;   in Loop: Header=BB6_2063 Depth=2
	s_mov_b32 s13, -1
	s_mov_b32 s29, exec_lo
	v_cmpx_eq_u16_e32 0x80, v2
; %bb.2065:                             ;   in Loop: Header=BB6_2063 Depth=2
	s_xor_b32 s13, exec_lo, -1
; %bb.2066:                             ;   in Loop: Header=BB6_2063 Depth=2
	s_or_b32 exec_lo, exec_lo, s29
	s_and_b32 s13, s13, exec_lo
	s_or_saveexec_b32 s28, s28
	v_mov_b32_e32 v23, 0x7f800001
	s_xor_b32 exec_lo, exec_lo, s28
	s_cbranch_execnz .LBB6_2702
.LBB6_2067:                             ;   in Loop: Header=BB6_2063 Depth=2
	s_or_b32 exec_lo, exec_lo, s28
	s_and_saveexec_b32 s28, s13
	s_cbranch_execz .LBB6_2069
.LBB6_2068:                             ;   in Loop: Header=BB6_2063 Depth=2
	v_and_b32_e32 v23, 0xffff, v2
	v_lshlrev_b32_e32 v2, 24, v2
	v_and_b32_e32 v116, 7, v23
	v_bfe_u32 v46, v23, 3, 4
	v_and_b32_e32 v2, 0x80000000, v2
	v_ffbh_u32_e32 v43, v116
	v_cmp_eq_u32_e32 vcc_lo, 0, v46
	v_min_u32_e32 v43, 32, v43
	v_subrev_nc_u32_e32 v44, 28, v43
	v_sub_nc_u32_e32 v43, 29, v43
	v_lshlrev_b32_e32 v23, v44, v23
	v_cndmask_b32_e32 v43, v46, v43, vcc_lo
	v_and_b32_e32 v23, 7, v23
	v_cndmask_b32_e32 v23, v116, v23, vcc_lo
	v_lshl_add_u32 v116, v43, 23, 0x3b800000
	v_lshlrev_b32_e32 v23, 20, v23
	v_or3_b32 v23, v2, v116, v23
.LBB6_2069:                             ;   in Loop: Header=BB6_2063 Depth=2
	s_or_b32 exec_lo, exec_lo, s28
	s_waitcnt vmcnt(31) lgkmcnt(31)
	v_cmp_gt_i16_sdwa s13, v3, v58 src0_sel:BYTE_0 src1_sel:DWORD
	s_mov_b32 s28, 0
	s_and_saveexec_b32 s29, s13
	s_xor_b32 s13, exec_lo, s29
	s_cbranch_execz .LBB6_2703
; %bb.2070:                             ;   in Loop: Header=BB6_2063 Depth=2
	v_cmp_eq_u16_sdwa s40, v3, v59 src0_sel:BYTE_0 src1_sel:DWORD
	s_mov_b32 s28, -1
	s_and_saveexec_b32 s29, s40
; %bb.2071:                             ;   in Loop: Header=BB6_2063 Depth=2
	s_xor_b32 s28, exec_lo, -1
; %bb.2072:                             ;   in Loop: Header=BB6_2063 Depth=2
	s_or_b32 exec_lo, exec_lo, s29
	s_and_b32 s28, s28, exec_lo
	s_or_saveexec_b32 s13, s13
	v_mov_b32_e32 v2, 0x7f800001
	s_xor_b32 exec_lo, exec_lo, s13
	s_cbranch_execnz .LBB6_2704
.LBB6_2073:                             ;   in Loop: Header=BB6_2063 Depth=2
	s_or_b32 exec_lo, exec_lo, s13
	s_and_saveexec_b32 s13, s28
	s_cbranch_execz .LBB6_2075
.LBB6_2074:                             ;   in Loop: Header=BB6_2063 Depth=2
	v_and_b32_e32 v2, 7, v3
	v_lshrrev_b16 v43, 3, v3
	v_ffbh_u32_e32 v116, v2
	v_and_b32_e32 v43, 15, v43
	v_min_u32_e32 v116, 32, v116
	v_cmp_eq_u32_e32 vcc_lo, 0, v43
	v_subrev_nc_u32_e32 v44, 28, v116
	v_sub_nc_u32_e32 v116, 29, v116
	v_lshlrev_b32_e32 v44, v44, v3
	v_lshlrev_b32_e32 v3, 24, v3
	v_cndmask_b32_e32 v116, v43, v116, vcc_lo
	v_and_b32_e32 v44, 7, v44
	v_and_b32_e32 v3, 0x80000000, v3
	v_lshl_add_u32 v116, v116, 23, 0x3b800000
	v_cndmask_b32_e32 v2, v2, v44, vcc_lo
	v_lshlrev_b32_e32 v2, 20, v2
	v_or3_b32 v2, v3, v116, v2
.LBB6_2075:                             ;   in Loop: Header=BB6_2063 Depth=2
	s_or_b32 exec_lo, exec_lo, s13
	v_add_f32_e32 v2, v23, v2
	v_mov_b32_e32 v23, 0x80
	s_mov_b32 s28, exec_lo
	v_and_b32_e32 v3, 0x7f800000, v2
	v_cmpx_ne_u32_e32 0x7f800000, v3
	s_cbranch_execz .LBB6_2083
; %bb.2076:                             ;   in Loop: Header=BB6_2063 Depth=2
	v_mov_b32_e32 v23, 0
	s_mov_b32 s29, exec_lo
	v_cmpx_ne_u32_e32 0, v2
	s_cbranch_execz .LBB6_2082
; %bb.2077:                             ;   in Loop: Header=BB6_2063 Depth=2
	v_bfe_u32 v23, v2, 23, 8
	v_and_b32_e32 v3, 0x7fffff, v2
                                        ; implicit-def: $vgpr46
	v_cmp_gt_u32_e64 s13, 0x79, v23
	v_sub_nc_u32_e32 v116, 0x78, v23
	v_cmp_eq_u32_e32 vcc_lo, 0, v23
	v_or_b32_e32 v43, 0x800000, v3
	v_cndmask_b32_e64 v116, 0, v116, s13
	v_cndmask_b32_e32 v3, v43, v3, vcc_lo
	v_cndmask_b32_e64 v116, v116, 0x77, vcc_lo
	v_lshl_add_u32 v43, 0x100000, v116, -1
	v_lshlrev_b32_e64 v44, v116, 0x80000
	v_and_b32_e32 v43, v43, v3
	v_cmp_eq_u32_e64 s13, v43, v44
	v_lshrrev_b32_e32 v43, v116, v3
	v_add_nc_u32_e32 v3, 0xffffff89, v23
	v_lshrrev_b32_e32 v23, 23, v43
	v_cndmask_b32_e64 v3, v3, 0xffffff8a, vcc_lo
	v_xor_b32_e32 v23, 1, v23
	v_add_nc_u32_e32 v3, v116, v3
	v_bfe_u32 v116, v43, 20, 1
	v_add_nc_u32_e32 v116, -1, v116
	v_cndmask_b32_e64 v116, 0, v116, s13
	s_mov_b32 s13, exec_lo
	v_add_nc_u32_e32 v116, v116, v43
	v_and_b32_e32 v116, 0xfffff, v116
	v_add_nc_u32_e32 v43, v116, v43
	v_cmpx_ne_u32_e64 v3, v23
	s_xor_b32 s13, exec_lo, s13
; %bb.2078:                             ;   in Loop: Header=BB6_2063 Depth=2
	v_cmp_lt_u32_e32 vcc_lo, 0xffffff, v43
	v_sub_nc_u32_e32 v3, v3, v23
	v_cndmask_b32_e64 v23, 0, 1, vcc_lo
	v_add_co_ci_u32_e64 v46, null, 0, v3, vcc_lo
	v_lshrrev_b32_e32 v43, v23, v43
; %bb.2079:                             ;   in Loop: Header=BB6_2063 Depth=2
	s_andn2_saveexec_b32 s13, s13
; %bb.2080:                             ;   in Loop: Header=BB6_2063 Depth=2
	v_bfe_u32 v46, v43, 23, 1
; %bb.2081:                             ;   in Loop: Header=BB6_2063 Depth=2
	s_or_b32 exec_lo, exec_lo, s13
	v_lshrrev_b32_e32 v3, 20, v43
	v_cmp_gt_i32_e32 vcc_lo, 16, v46
	v_min_i32_e32 v23, 15, v46
	v_and_b32_sdwa v2, v2, v59 dst_sel:DWORD dst_unused:UNUSED_PAD src0_sel:BYTE_3 src1_sel:DWORD
	v_cndmask_b32_e32 v3, 7, v3, vcc_lo
	v_lshlrev_b32_e32 v23, 3, v23
	v_or_b32_e32 v116, v46, v3
	v_and_b32_e32 v3, 7, v3
	v_cmp_ne_u32_e32 vcc_lo, 0, v116
	v_or3_b32 v2, v23, v2, v3
	v_cndmask_b32_e32 v23, 0, v2, vcc_lo
.LBB6_2082:                             ;   in Loop: Header=BB6_2063 Depth=2
	s_or_b32 exec_lo, exec_lo, s29
.LBB6_2083:                             ;   in Loop: Header=BB6_2063 Depth=2
	s_or_b32 exec_lo, exec_lo, s28
	v_cmp_gt_i16_sdwa s28, v27, v58 src0_sel:BYTE_0 src1_sel:DWORD
	s_mov_b32 s13, 0
	s_and_saveexec_b32 s29, s28
	s_xor_b32 s28, exec_lo, s29
	s_cbranch_execz .LBB6_2705
; %bb.2084:                             ;   in Loop: Header=BB6_2063 Depth=2
	v_cmp_eq_u16_sdwa s40, v27, v59 src0_sel:BYTE_0 src1_sel:DWORD
	s_mov_b32 s13, -1
	s_and_saveexec_b32 s29, s40
; %bb.2085:                             ;   in Loop: Header=BB6_2063 Depth=2
	s_xor_b32 s13, exec_lo, -1
; %bb.2086:                             ;   in Loop: Header=BB6_2063 Depth=2
	s_or_b32 exec_lo, exec_lo, s29
	s_and_b32 s13, s13, exec_lo
	s_or_saveexec_b32 s28, s28
	v_mov_b32_e32 v2, 0x7f800001
	s_xor_b32 exec_lo, exec_lo, s28
	s_cbranch_execnz .LBB6_2706
.LBB6_2087:                             ;   in Loop: Header=BB6_2063 Depth=2
	s_or_b32 exec_lo, exec_lo, s28
	s_and_saveexec_b32 s28, s13
	s_cbranch_execz .LBB6_2089
.LBB6_2088:                             ;   in Loop: Header=BB6_2063 Depth=2
	v_and_b32_e32 v2, 7, v27
	v_lshrrev_b16 v116, 3, v27
	v_ffbh_u32_e32 v3, v2
	v_and_b32_e32 v116, 15, v116
	v_min_u32_e32 v3, 32, v3
	v_cmp_eq_u32_e32 vcc_lo, 0, v116
	v_subrev_nc_u32_e32 v43, 28, v3
	v_sub_nc_u32_e32 v3, 29, v3
	v_lshlrev_b32_e32 v43, v43, v27
	v_lshlrev_b32_e32 v27, 24, v27
	v_cndmask_b32_e32 v3, v116, v3, vcc_lo
	v_and_b32_e32 v43, 7, v43
	v_and_b32_e32 v27, 0x80000000, v27
	v_lshl_add_u32 v3, v3, 23, 0x3b800000
	v_cndmask_b32_e32 v2, v2, v43, vcc_lo
	v_lshlrev_b32_e32 v2, 20, v2
	v_or3_b32 v2, v27, v3, v2
.LBB6_2089:                             ;   in Loop: Header=BB6_2063 Depth=2
	s_or_b32 exec_lo, exec_lo, s28
	s_waitcnt vmcnt(30) lgkmcnt(30)
	v_cmp_gt_i16_sdwa s28, v30, v58 src0_sel:BYTE_0 src1_sel:DWORD
	s_mov_b32 s13, 0
	s_and_saveexec_b32 s29, s28
	s_xor_b32 s28, exec_lo, s29
	s_cbranch_execz .LBB6_2707
; %bb.2090:                             ;   in Loop: Header=BB6_2063 Depth=2
	v_cmp_eq_u16_sdwa s40, v30, v59 src0_sel:BYTE_0 src1_sel:DWORD
	s_mov_b32 s13, -1
	s_and_saveexec_b32 s29, s40
; %bb.2091:                             ;   in Loop: Header=BB6_2063 Depth=2
	s_xor_b32 s13, exec_lo, -1
; %bb.2092:                             ;   in Loop: Header=BB6_2063 Depth=2
	s_or_b32 exec_lo, exec_lo, s29
	s_and_b32 s13, s13, exec_lo
	s_or_saveexec_b32 s28, s28
	v_mov_b32_e32 v3, 0x7f800001
	s_xor_b32 exec_lo, exec_lo, s28
	s_cbranch_execnz .LBB6_2708
.LBB6_2093:                             ;   in Loop: Header=BB6_2063 Depth=2
	s_or_b32 exec_lo, exec_lo, s28
	s_and_saveexec_b32 s28, s13
	s_cbranch_execz .LBB6_2095
.LBB6_2094:                             ;   in Loop: Header=BB6_2063 Depth=2
	v_and_b32_e32 v3, 7, v30
	v_lshrrev_b16 v116, 3, v30
	v_ffbh_u32_e32 v27, v3
	v_and_b32_e32 v116, 15, v116
	v_min_u32_e32 v27, 32, v27
	v_cmp_eq_u32_e32 vcc_lo, 0, v116
	v_subrev_nc_u32_e32 v43, 28, v27
	v_sub_nc_u32_e32 v27, 29, v27
	v_lshlrev_b32_e32 v43, v43, v30
	v_lshlrev_b32_e32 v30, 24, v30
	v_cndmask_b32_e32 v27, v116, v27, vcc_lo
	v_and_b32_e32 v43, 7, v43
	v_and_b32_e32 v30, 0x80000000, v30
	v_lshl_add_u32 v27, v27, 23, 0x3b800000
	v_cndmask_b32_e32 v3, v3, v43, vcc_lo
	v_lshlrev_b32_e32 v3, 20, v3
	v_or3_b32 v3, v30, v27, v3
.LBB6_2095:                             ;   in Loop: Header=BB6_2063 Depth=2
	s_or_b32 exec_lo, exec_lo, s28
	v_add_f32_e32 v2, v2, v3
	v_mov_b32_e32 v27, 0x80
	s_mov_b32 s28, exec_lo
	v_and_b32_e32 v3, 0x7f800000, v2
	v_cmpx_ne_u32_e32 0x7f800000, v3
	s_cbranch_execz .LBB6_2103
; %bb.2096:                             ;   in Loop: Header=BB6_2063 Depth=2
	v_mov_b32_e32 v27, 0
	s_mov_b32 s29, exec_lo
	v_cmpx_ne_u32_e32 0, v2
	s_cbranch_execz .LBB6_2102
; %bb.2097:                             ;   in Loop: Header=BB6_2063 Depth=2
	v_bfe_u32 v27, v2, 23, 8
	v_and_b32_e32 v3, 0x7fffff, v2
	v_cmp_gt_u32_e64 s13, 0x79, v27
	v_sub_nc_u32_e32 v30, 0x78, v27
	v_cmp_eq_u32_e32 vcc_lo, 0, v27
	v_or_b32_e32 v116, 0x800000, v3
	v_cndmask_b32_e64 v30, 0, v30, s13
	v_cndmask_b32_e32 v3, v116, v3, vcc_lo
	v_cndmask_b32_e64 v30, v30, 0x77, vcc_lo
	v_lshl_add_u32 v116, 0x100000, v30, -1
	v_lshlrev_b32_e64 v43, v30, 0x80000
	v_and_b32_e32 v116, v116, v3
	v_cmp_eq_u32_e64 s13, v116, v43
	v_lshrrev_b32_e32 v116, v30, v3
	v_add_nc_u32_e32 v3, 0xffffff89, v27
                                        ; implicit-def: $vgpr43
	v_lshrrev_b32_e32 v27, 23, v116
	v_cndmask_b32_e64 v3, v3, 0xffffff8a, vcc_lo
	v_xor_b32_e32 v27, 1, v27
	v_add_nc_u32_e32 v3, v30, v3
	v_bfe_u32 v30, v116, 20, 1
	v_add_nc_u32_e32 v30, -1, v30
	v_cndmask_b32_e64 v30, 0, v30, s13
	s_mov_b32 s13, exec_lo
	v_add_nc_u32_e32 v30, v30, v116
	v_and_b32_e32 v30, 0xfffff, v30
	v_add_nc_u32_e32 v30, v30, v116
	v_cmpx_ne_u32_e64 v3, v27
	s_xor_b32 s13, exec_lo, s13
; %bb.2098:                             ;   in Loop: Header=BB6_2063 Depth=2
	v_cmp_lt_u32_e32 vcc_lo, 0xffffff, v30
	v_sub_nc_u32_e32 v3, v3, v27
	v_cndmask_b32_e64 v27, 0, 1, vcc_lo
	v_add_co_ci_u32_e64 v43, null, 0, v3, vcc_lo
	v_lshrrev_b32_e32 v30, v27, v30
; %bb.2099:                             ;   in Loop: Header=BB6_2063 Depth=2
	s_andn2_saveexec_b32 s13, s13
; %bb.2100:                             ;   in Loop: Header=BB6_2063 Depth=2
	v_bfe_u32 v43, v30, 23, 1
; %bb.2101:                             ;   in Loop: Header=BB6_2063 Depth=2
	s_or_b32 exec_lo, exec_lo, s13
	v_lshrrev_b32_e32 v3, 20, v30
	v_cmp_gt_i32_e32 vcc_lo, 16, v43
	v_min_i32_e32 v27, 15, v43
	v_and_b32_sdwa v2, v2, v59 dst_sel:DWORD dst_unused:UNUSED_PAD src0_sel:BYTE_3 src1_sel:DWORD
	v_cndmask_b32_e32 v3, 7, v3, vcc_lo
	v_lshlrev_b32_e32 v27, 3, v27
	v_or_b32_e32 v30, v43, v3
	v_and_b32_e32 v3, 7, v3
	v_cmp_ne_u32_e32 vcc_lo, 0, v30
	v_or3_b32 v2, v27, v2, v3
	v_cndmask_b32_e32 v27, 0, v2, vcc_lo
.LBB6_2102:                             ;   in Loop: Header=BB6_2063 Depth=2
	s_or_b32 exec_lo, exec_lo, s29
.LBB6_2103:                             ;   in Loop: Header=BB6_2063 Depth=2
	s_or_b32 exec_lo, exec_lo, s28
	v_cmp_gt_i16_sdwa s28, v33, v58 src0_sel:BYTE_0 src1_sel:DWORD
	s_mov_b32 s13, 0
	s_and_saveexec_b32 s29, s28
	s_xor_b32 s28, exec_lo, s29
	s_cbranch_execz .LBB6_2709
; %bb.2104:                             ;   in Loop: Header=BB6_2063 Depth=2
	v_cmp_eq_u16_sdwa s40, v33, v59 src0_sel:BYTE_0 src1_sel:DWORD
	s_mov_b32 s13, -1
	s_and_saveexec_b32 s29, s40
; %bb.2105:                             ;   in Loop: Header=BB6_2063 Depth=2
	s_xor_b32 s13, exec_lo, -1
; %bb.2106:                             ;   in Loop: Header=BB6_2063 Depth=2
	s_or_b32 exec_lo, exec_lo, s29
	s_and_b32 s13, s13, exec_lo
	s_or_saveexec_b32 s28, s28
	v_mov_b32_e32 v2, 0x7f800001
	s_xor_b32 exec_lo, exec_lo, s28
	s_cbranch_execnz .LBB6_2710
.LBB6_2107:                             ;   in Loop: Header=BB6_2063 Depth=2
	s_or_b32 exec_lo, exec_lo, s28
	s_and_saveexec_b32 s28, s13
	s_cbranch_execz .LBB6_2109
.LBB6_2108:                             ;   in Loop: Header=BB6_2063 Depth=2
	v_and_b32_e32 v2, 7, v33
	v_lshrrev_b16 v30, 3, v33
	v_ffbh_u32_e32 v3, v2
	v_and_b32_e32 v30, 15, v30
	v_min_u32_e32 v3, 32, v3
	v_cmp_eq_u32_e32 vcc_lo, 0, v30
	v_subrev_nc_u32_e32 v116, 28, v3
	v_sub_nc_u32_e32 v3, 29, v3
	v_lshlrev_b32_e32 v116, v116, v33
	v_lshlrev_b32_e32 v33, 24, v33
	v_cndmask_b32_e32 v3, v30, v3, vcc_lo
	v_and_b32_e32 v116, 7, v116
	v_and_b32_e32 v30, 0x80000000, v33
	v_lshl_add_u32 v3, v3, 23, 0x3b800000
	v_cndmask_b32_e32 v2, v2, v116, vcc_lo
	v_lshlrev_b32_e32 v2, 20, v2
	v_or3_b32 v2, v30, v3, v2
.LBB6_2109:                             ;   in Loop: Header=BB6_2063 Depth=2
	s_or_b32 exec_lo, exec_lo, s28
	s_waitcnt vmcnt(29) lgkmcnt(29)
	v_cmp_gt_i16_sdwa s28, v125, v58 src0_sel:BYTE_0 src1_sel:DWORD
	s_mov_b32 s13, 0
	s_and_saveexec_b32 s29, s28
	s_xor_b32 s28, exec_lo, s29
	s_cbranch_execz .LBB6_2711
; %bb.2110:                             ;   in Loop: Header=BB6_2063 Depth=2
	v_cmp_eq_u16_sdwa s40, v125, v59 src0_sel:BYTE_0 src1_sel:DWORD
	s_mov_b32 s13, -1
	s_and_saveexec_b32 s29, s40
; %bb.2111:                             ;   in Loop: Header=BB6_2063 Depth=2
	s_xor_b32 s13, exec_lo, -1
; %bb.2112:                             ;   in Loop: Header=BB6_2063 Depth=2
	s_or_b32 exec_lo, exec_lo, s29
	s_and_b32 s13, s13, exec_lo
	s_or_saveexec_b32 s28, s28
	v_mov_b32_e32 v3, 0x7f800001
	s_xor_b32 exec_lo, exec_lo, s28
	s_cbranch_execnz .LBB6_2712
.LBB6_2113:                             ;   in Loop: Header=BB6_2063 Depth=2
	s_or_b32 exec_lo, exec_lo, s28
	s_and_saveexec_b32 s28, s13
	s_cbranch_execz .LBB6_2115
.LBB6_2114:                             ;   in Loop: Header=BB6_2063 Depth=2
	v_and_b32_e32 v3, 7, v125
	v_lshrrev_b16 v33, 3, v125
	v_lshlrev_b32_e32 v43, 24, v125
	v_ffbh_u32_e32 v30, v3
	v_and_b32_e32 v33, 15, v33
	v_min_u32_e32 v30, 32, v30
	v_cmp_eq_u32_e32 vcc_lo, 0, v33
	v_subrev_nc_u32_e32 v116, 28, v30
	v_sub_nc_u32_e32 v30, 29, v30
	v_lshlrev_b32_e32 v116, v116, v125
	v_cndmask_b32_e32 v30, v33, v30, vcc_lo
	v_and_b32_e32 v33, 0x80000000, v43
	v_and_b32_e32 v116, 7, v116
	v_lshl_add_u32 v30, v30, 23, 0x3b800000
	v_cndmask_b32_e32 v3, v3, v116, vcc_lo
	v_lshlrev_b32_e32 v3, 20, v3
	v_or3_b32 v3, v33, v30, v3
.LBB6_2115:                             ;   in Loop: Header=BB6_2063 Depth=2
	s_or_b32 exec_lo, exec_lo, s28
	v_add_f32_e32 v2, v2, v3
	v_mov_b32_e32 v33, 0x80
	s_mov_b32 s28, exec_lo
	v_and_b32_e32 v3, 0x7f800000, v2
	v_cmpx_ne_u32_e32 0x7f800000, v3
	s_cbranch_execz .LBB6_2123
; %bb.2116:                             ;   in Loop: Header=BB6_2063 Depth=2
	v_mov_b32_e32 v33, 0
	s_mov_b32 s29, exec_lo
	v_cmpx_ne_u32_e32 0, v2
	s_cbranch_execz .LBB6_2122
; %bb.2117:                             ;   in Loop: Header=BB6_2063 Depth=2
	v_bfe_u32 v30, v2, 23, 8
	v_and_b32_e32 v3, 0x7fffff, v2
	v_cmp_gt_u32_e64 s13, 0x79, v30
	v_sub_nc_u32_e32 v33, 0x78, v30
	v_cmp_eq_u32_e32 vcc_lo, 0, v30
	v_or_b32_e32 v116, 0x800000, v3
	v_cndmask_b32_e64 v33, 0, v33, s13
	v_cndmask_b32_e32 v3, v116, v3, vcc_lo
	v_cndmask_b32_e64 v33, v33, 0x77, vcc_lo
	v_lshl_add_u32 v116, 0x100000, v33, -1
	v_lshlrev_b32_e64 v43, v33, 0x80000
	v_and_b32_e32 v116, v116, v3
	v_cmp_eq_u32_e64 s13, v116, v43
	v_lshrrev_b32_e32 v116, v33, v3
	v_add_nc_u32_e32 v3, 0xffffff89, v30
                                        ; implicit-def: $vgpr43
	v_lshrrev_b32_e32 v30, 23, v116
	v_cndmask_b32_e64 v3, v3, 0xffffff8a, vcc_lo
	v_xor_b32_e32 v30, 1, v30
	v_add_nc_u32_e32 v3, v33, v3
	v_bfe_u32 v33, v116, 20, 1
	v_add_nc_u32_e32 v33, -1, v33
	v_cndmask_b32_e64 v33, 0, v33, s13
	s_mov_b32 s13, exec_lo
	v_add_nc_u32_e32 v33, v33, v116
	v_and_b32_e32 v33, 0xfffff, v33
	v_add_nc_u32_e32 v33, v33, v116
	v_cmpx_ne_u32_e64 v3, v30
	s_xor_b32 s13, exec_lo, s13
; %bb.2118:                             ;   in Loop: Header=BB6_2063 Depth=2
	v_cmp_lt_u32_e32 vcc_lo, 0xffffff, v33
	v_sub_nc_u32_e32 v3, v3, v30
	v_cndmask_b32_e64 v30, 0, 1, vcc_lo
	v_add_co_ci_u32_e64 v43, null, 0, v3, vcc_lo
	v_lshrrev_b32_e32 v33, v30, v33
; %bb.2119:                             ;   in Loop: Header=BB6_2063 Depth=2
	s_andn2_saveexec_b32 s13, s13
; %bb.2120:                             ;   in Loop: Header=BB6_2063 Depth=2
	v_bfe_u32 v43, v33, 23, 1
; %bb.2121:                             ;   in Loop: Header=BB6_2063 Depth=2
	s_or_b32 exec_lo, exec_lo, s13
	v_lshrrev_b32_e32 v3, 20, v33
	v_cmp_gt_i32_e32 vcc_lo, 16, v43
	v_min_i32_e32 v30, 15, v43
	v_and_b32_sdwa v2, v2, v59 dst_sel:DWORD dst_unused:UNUSED_PAD src0_sel:BYTE_3 src1_sel:DWORD
	v_cndmask_b32_e32 v3, 7, v3, vcc_lo
	v_lshlrev_b32_e32 v30, 3, v30
	v_or_b32_e32 v33, v43, v3
	v_and_b32_e32 v3, 7, v3
	v_cmp_ne_u32_e32 vcc_lo, 0, v33
	v_or3_b32 v2, v30, v2, v3
	v_cndmask_b32_e32 v33, 0, v2, vcc_lo
.LBB6_2122:                             ;   in Loop: Header=BB6_2063 Depth=2
	s_or_b32 exec_lo, exec_lo, s29
.LBB6_2123:                             ;   in Loop: Header=BB6_2063 Depth=2
	s_or_b32 exec_lo, exec_lo, s28
	v_cmp_gt_i16_sdwa s28, v36, v58 src0_sel:BYTE_0 src1_sel:DWORD
	s_mov_b32 s13, 0
	s_and_saveexec_b32 s29, s28
	s_xor_b32 s28, exec_lo, s29
	s_cbranch_execz .LBB6_2713
; %bb.2124:                             ;   in Loop: Header=BB6_2063 Depth=2
	v_cmp_eq_u16_sdwa s40, v36, v59 src0_sel:BYTE_0 src1_sel:DWORD
	s_mov_b32 s13, -1
	s_and_saveexec_b32 s29, s40
; %bb.2125:                             ;   in Loop: Header=BB6_2063 Depth=2
	s_xor_b32 s13, exec_lo, -1
; %bb.2126:                             ;   in Loop: Header=BB6_2063 Depth=2
	s_or_b32 exec_lo, exec_lo, s29
	s_and_b32 s13, s13, exec_lo
	s_or_saveexec_b32 s28, s28
	v_mov_b32_e32 v2, 0x7f800001
	s_xor_b32 exec_lo, exec_lo, s28
	s_cbranch_execnz .LBB6_2714
.LBB6_2127:                             ;   in Loop: Header=BB6_2063 Depth=2
	s_or_b32 exec_lo, exec_lo, s28
	s_and_saveexec_b32 s28, s13
	s_cbranch_execz .LBB6_2129
.LBB6_2128:                             ;   in Loop: Header=BB6_2063 Depth=2
	v_and_b32_e32 v2, 7, v36
	v_lshrrev_b16 v30, 3, v36
	v_ffbh_u32_e32 v3, v2
	v_and_b32_e32 v30, 15, v30
	v_min_u32_e32 v3, 32, v3
	v_cmp_eq_u32_e32 vcc_lo, 0, v30
	v_subrev_nc_u32_e32 v116, 28, v3
	v_sub_nc_u32_e32 v3, 29, v3
	v_lshlrev_b32_e32 v116, v116, v36
	v_lshlrev_b32_e32 v36, 24, v36
	v_cndmask_b32_e32 v3, v30, v3, vcc_lo
	v_and_b32_e32 v116, 7, v116
	v_and_b32_e32 v30, 0x80000000, v36
	v_lshl_add_u32 v3, v3, 23, 0x3b800000
	v_cndmask_b32_e32 v2, v2, v116, vcc_lo
	v_lshlrev_b32_e32 v2, 20, v2
	v_or3_b32 v2, v30, v3, v2
.LBB6_2129:                             ;   in Loop: Header=BB6_2063 Depth=2
	s_or_b32 exec_lo, exec_lo, s28
	s_waitcnt vmcnt(28) lgkmcnt(28)
	v_cmp_gt_i16_sdwa s28, v124, v58 src0_sel:BYTE_0 src1_sel:DWORD
	s_mov_b32 s13, 0
	s_and_saveexec_b32 s29, s28
	s_xor_b32 s28, exec_lo, s29
	s_cbranch_execz .LBB6_2715
; %bb.2130:                             ;   in Loop: Header=BB6_2063 Depth=2
	v_cmp_eq_u16_sdwa s40, v124, v59 src0_sel:BYTE_0 src1_sel:DWORD
	s_mov_b32 s13, -1
	s_and_saveexec_b32 s29, s40
; %bb.2131:                             ;   in Loop: Header=BB6_2063 Depth=2
	s_xor_b32 s13, exec_lo, -1
; %bb.2132:                             ;   in Loop: Header=BB6_2063 Depth=2
	s_or_b32 exec_lo, exec_lo, s29
	s_and_b32 s13, s13, exec_lo
	s_or_saveexec_b32 s28, s28
	v_mov_b32_e32 v3, 0x7f800001
	s_xor_b32 exec_lo, exec_lo, s28
	s_cbranch_execnz .LBB6_2716
.LBB6_2133:                             ;   in Loop: Header=BB6_2063 Depth=2
	s_or_b32 exec_lo, exec_lo, s28
	s_and_saveexec_b32 s28, s13
	s_cbranch_execz .LBB6_2135
.LBB6_2134:                             ;   in Loop: Header=BB6_2063 Depth=2
	v_and_b32_e32 v3, 7, v124
	v_lshrrev_b16 v36, 3, v124
	v_lshlrev_b32_e32 v43, 24, v124
	v_ffbh_u32_e32 v30, v3
	v_and_b32_e32 v36, 15, v36
	v_min_u32_e32 v30, 32, v30
	v_cmp_eq_u32_e32 vcc_lo, 0, v36
	v_subrev_nc_u32_e32 v116, 28, v30
	v_sub_nc_u32_e32 v30, 29, v30
	v_lshlrev_b32_e32 v116, v116, v124
	v_cndmask_b32_e32 v30, v36, v30, vcc_lo
	v_and_b32_e32 v36, 0x80000000, v43
	v_and_b32_e32 v116, 7, v116
	v_lshl_add_u32 v30, v30, 23, 0x3b800000
	v_cndmask_b32_e32 v3, v3, v116, vcc_lo
	v_lshlrev_b32_e32 v3, 20, v3
	v_or3_b32 v3, v36, v30, v3
.LBB6_2135:                             ;   in Loop: Header=BB6_2063 Depth=2
	s_or_b32 exec_lo, exec_lo, s28
	v_add_f32_e32 v2, v2, v3
	v_mov_b32_e32 v36, 0x80
	s_mov_b32 s28, exec_lo
	v_and_b32_e32 v3, 0x7f800000, v2
	v_cmpx_ne_u32_e32 0x7f800000, v3
	s_cbranch_execz .LBB6_2143
; %bb.2136:                             ;   in Loop: Header=BB6_2063 Depth=2
	v_mov_b32_e32 v36, 0
	s_mov_b32 s29, exec_lo
	v_cmpx_ne_u32_e32 0, v2
	s_cbranch_execz .LBB6_2142
; %bb.2137:                             ;   in Loop: Header=BB6_2063 Depth=2
	v_bfe_u32 v30, v2, 23, 8
	v_and_b32_e32 v3, 0x7fffff, v2
	v_cmp_gt_u32_e64 s13, 0x79, v30
	v_sub_nc_u32_e32 v36, 0x78, v30
	v_cmp_eq_u32_e32 vcc_lo, 0, v30
	v_or_b32_e32 v116, 0x800000, v3
	v_cndmask_b32_e64 v36, 0, v36, s13
	v_cndmask_b32_e32 v3, v116, v3, vcc_lo
	v_cndmask_b32_e64 v36, v36, 0x77, vcc_lo
	v_lshl_add_u32 v116, 0x100000, v36, -1
	v_lshlrev_b32_e64 v43, v36, 0x80000
	v_and_b32_e32 v116, v116, v3
	v_cmp_eq_u32_e64 s13, v116, v43
	v_lshrrev_b32_e32 v116, v36, v3
	v_add_nc_u32_e32 v3, 0xffffff89, v30
                                        ; implicit-def: $vgpr43
	v_lshrrev_b32_e32 v30, 23, v116
	v_cndmask_b32_e64 v3, v3, 0xffffff8a, vcc_lo
	v_xor_b32_e32 v30, 1, v30
	v_add_nc_u32_e32 v3, v36, v3
	v_bfe_u32 v36, v116, 20, 1
	v_add_nc_u32_e32 v36, -1, v36
	v_cndmask_b32_e64 v36, 0, v36, s13
	s_mov_b32 s13, exec_lo
	v_add_nc_u32_e32 v36, v36, v116
	v_and_b32_e32 v36, 0xfffff, v36
	v_add_nc_u32_e32 v36, v36, v116
	v_cmpx_ne_u32_e64 v3, v30
	s_xor_b32 s13, exec_lo, s13
; %bb.2138:                             ;   in Loop: Header=BB6_2063 Depth=2
	v_cmp_lt_u32_e32 vcc_lo, 0xffffff, v36
	v_sub_nc_u32_e32 v3, v3, v30
	v_cndmask_b32_e64 v30, 0, 1, vcc_lo
	v_add_co_ci_u32_e64 v43, null, 0, v3, vcc_lo
	v_lshrrev_b32_e32 v36, v30, v36
; %bb.2139:                             ;   in Loop: Header=BB6_2063 Depth=2
	s_andn2_saveexec_b32 s13, s13
; %bb.2140:                             ;   in Loop: Header=BB6_2063 Depth=2
	v_bfe_u32 v43, v36, 23, 1
; %bb.2141:                             ;   in Loop: Header=BB6_2063 Depth=2
	s_or_b32 exec_lo, exec_lo, s13
	v_lshrrev_b32_e32 v3, 20, v36
	v_cmp_gt_i32_e32 vcc_lo, 16, v43
	v_min_i32_e32 v30, 15, v43
	v_and_b32_sdwa v2, v2, v59 dst_sel:DWORD dst_unused:UNUSED_PAD src0_sel:BYTE_3 src1_sel:DWORD
	v_cndmask_b32_e32 v3, 7, v3, vcc_lo
	v_lshlrev_b32_e32 v30, 3, v30
	v_or_b32_e32 v36, v43, v3
	v_and_b32_e32 v3, 7, v3
	v_cmp_ne_u32_e32 vcc_lo, 0, v36
	v_or3_b32 v2, v30, v2, v3
	v_cndmask_b32_e32 v36, 0, v2, vcc_lo
.LBB6_2142:                             ;   in Loop: Header=BB6_2063 Depth=2
	s_or_b32 exec_lo, exec_lo, s29
.LBB6_2143:                             ;   in Loop: Header=BB6_2063 Depth=2
	s_or_b32 exec_lo, exec_lo, s28
	v_cmp_gt_i16_sdwa s28, v39, v58 src0_sel:BYTE_0 src1_sel:DWORD
	s_mov_b32 s13, 0
	s_and_saveexec_b32 s29, s28
	s_xor_b32 s28, exec_lo, s29
	s_cbranch_execz .LBB6_2717
; %bb.2144:                             ;   in Loop: Header=BB6_2063 Depth=2
	v_cmp_eq_u16_sdwa s40, v39, v59 src0_sel:BYTE_0 src1_sel:DWORD
	s_mov_b32 s13, -1
	s_and_saveexec_b32 s29, s40
; %bb.2145:                             ;   in Loop: Header=BB6_2063 Depth=2
	s_xor_b32 s13, exec_lo, -1
; %bb.2146:                             ;   in Loop: Header=BB6_2063 Depth=2
	s_or_b32 exec_lo, exec_lo, s29
	s_and_b32 s13, s13, exec_lo
	s_or_saveexec_b32 s28, s28
	v_mov_b32_e32 v2, 0x7f800001
	s_xor_b32 exec_lo, exec_lo, s28
	s_cbranch_execnz .LBB6_2718
.LBB6_2147:                             ;   in Loop: Header=BB6_2063 Depth=2
	s_or_b32 exec_lo, exec_lo, s28
	s_and_saveexec_b32 s28, s13
	s_cbranch_execz .LBB6_2149
.LBB6_2148:                             ;   in Loop: Header=BB6_2063 Depth=2
	v_and_b32_e32 v2, 7, v39
	v_lshrrev_b16 v30, 3, v39
	v_ffbh_u32_e32 v3, v2
	v_and_b32_e32 v30, 15, v30
	v_min_u32_e32 v3, 32, v3
	v_cmp_eq_u32_e32 vcc_lo, 0, v30
	v_subrev_nc_u32_e32 v116, 28, v3
	v_sub_nc_u32_e32 v3, 29, v3
	v_lshlrev_b32_e32 v116, v116, v39
	v_lshlrev_b32_e32 v39, 24, v39
	v_cndmask_b32_e32 v3, v30, v3, vcc_lo
	v_and_b32_e32 v116, 7, v116
	v_and_b32_e32 v30, 0x80000000, v39
	v_lshl_add_u32 v3, v3, 23, 0x3b800000
	v_cndmask_b32_e32 v2, v2, v116, vcc_lo
	v_lshlrev_b32_e32 v2, 20, v2
	v_or3_b32 v2, v30, v3, v2
.LBB6_2149:                             ;   in Loop: Header=BB6_2063 Depth=2
	s_or_b32 exec_lo, exec_lo, s28
	s_waitcnt vmcnt(27) lgkmcnt(27)
	v_cmp_gt_i16_sdwa s28, v57, v58 src0_sel:BYTE_0 src1_sel:DWORD
	s_mov_b32 s13, 0
	s_and_saveexec_b32 s29, s28
	s_xor_b32 s28, exec_lo, s29
	s_cbranch_execz .LBB6_2719
; %bb.2150:                             ;   in Loop: Header=BB6_2063 Depth=2
	v_cmp_eq_u16_sdwa s40, v57, v59 src0_sel:BYTE_0 src1_sel:DWORD
	s_mov_b32 s13, -1
	s_and_saveexec_b32 s29, s40
; %bb.2151:                             ;   in Loop: Header=BB6_2063 Depth=2
	s_xor_b32 s13, exec_lo, -1
; %bb.2152:                             ;   in Loop: Header=BB6_2063 Depth=2
	s_or_b32 exec_lo, exec_lo, s29
	s_and_b32 s13, s13, exec_lo
	s_or_saveexec_b32 s28, s28
	v_mov_b32_e32 v3, 0x7f800001
	s_xor_b32 exec_lo, exec_lo, s28
	s_cbranch_execnz .LBB6_2720
.LBB6_2153:                             ;   in Loop: Header=BB6_2063 Depth=2
	s_or_b32 exec_lo, exec_lo, s28
	s_and_saveexec_b32 s28, s13
	s_cbranch_execz .LBB6_2155
.LBB6_2154:                             ;   in Loop: Header=BB6_2063 Depth=2
	v_and_b32_e32 v3, 7, v57
	v_lshrrev_b16 v39, 3, v57
	v_lshlrev_b32_e32 v43, 24, v57
	v_ffbh_u32_e32 v30, v3
	v_and_b32_e32 v39, 15, v39
	v_min_u32_e32 v30, 32, v30
	v_cmp_eq_u32_e32 vcc_lo, 0, v39
	v_subrev_nc_u32_e32 v116, 28, v30
	v_sub_nc_u32_e32 v30, 29, v30
	v_lshlrev_b32_e32 v116, v116, v57
	v_cndmask_b32_e32 v30, v39, v30, vcc_lo
	v_and_b32_e32 v39, 0x80000000, v43
	v_and_b32_e32 v116, 7, v116
	v_lshl_add_u32 v30, v30, 23, 0x3b800000
	v_cndmask_b32_e32 v3, v3, v116, vcc_lo
	v_lshlrev_b32_e32 v3, 20, v3
	v_or3_b32 v3, v39, v30, v3
.LBB6_2155:                             ;   in Loop: Header=BB6_2063 Depth=2
	s_or_b32 exec_lo, exec_lo, s28
	v_add_f32_e32 v2, v2, v3
	v_mov_b32_e32 v39, 0x80
	s_mov_b32 s28, exec_lo
	v_and_b32_e32 v3, 0x7f800000, v2
	v_cmpx_ne_u32_e32 0x7f800000, v3
	s_cbranch_execz .LBB6_2163
; %bb.2156:                             ;   in Loop: Header=BB6_2063 Depth=2
	v_mov_b32_e32 v39, 0
	s_mov_b32 s29, exec_lo
	v_cmpx_ne_u32_e32 0, v2
	s_cbranch_execz .LBB6_2162
; %bb.2157:                             ;   in Loop: Header=BB6_2063 Depth=2
	v_bfe_u32 v30, v2, 23, 8
	v_and_b32_e32 v3, 0x7fffff, v2
	v_cmp_gt_u32_e64 s13, 0x79, v30
	v_sub_nc_u32_e32 v39, 0x78, v30
	v_cmp_eq_u32_e32 vcc_lo, 0, v30
	v_or_b32_e32 v116, 0x800000, v3
	v_cndmask_b32_e64 v39, 0, v39, s13
	v_cndmask_b32_e32 v3, v116, v3, vcc_lo
	v_cndmask_b32_e64 v39, v39, 0x77, vcc_lo
	v_lshl_add_u32 v116, 0x100000, v39, -1
	v_lshlrev_b32_e64 v43, v39, 0x80000
	v_and_b32_e32 v116, v116, v3
	v_cmp_eq_u32_e64 s13, v116, v43
	v_lshrrev_b32_e32 v116, v39, v3
	v_add_nc_u32_e32 v3, 0xffffff89, v30
                                        ; implicit-def: $vgpr43
	v_lshrrev_b32_e32 v30, 23, v116
	v_cndmask_b32_e64 v3, v3, 0xffffff8a, vcc_lo
	v_xor_b32_e32 v30, 1, v30
	v_add_nc_u32_e32 v3, v39, v3
	v_bfe_u32 v39, v116, 20, 1
	v_add_nc_u32_e32 v39, -1, v39
	v_cndmask_b32_e64 v39, 0, v39, s13
	s_mov_b32 s13, exec_lo
	v_add_nc_u32_e32 v39, v39, v116
	v_and_b32_e32 v39, 0xfffff, v39
	v_add_nc_u32_e32 v39, v39, v116
	v_cmpx_ne_u32_e64 v3, v30
	s_xor_b32 s13, exec_lo, s13
; %bb.2158:                             ;   in Loop: Header=BB6_2063 Depth=2
	v_cmp_lt_u32_e32 vcc_lo, 0xffffff, v39
	v_sub_nc_u32_e32 v3, v3, v30
	v_cndmask_b32_e64 v30, 0, 1, vcc_lo
	v_add_co_ci_u32_e64 v43, null, 0, v3, vcc_lo
	v_lshrrev_b32_e32 v39, v30, v39
; %bb.2159:                             ;   in Loop: Header=BB6_2063 Depth=2
	s_andn2_saveexec_b32 s13, s13
; %bb.2160:                             ;   in Loop: Header=BB6_2063 Depth=2
	v_bfe_u32 v43, v39, 23, 1
; %bb.2161:                             ;   in Loop: Header=BB6_2063 Depth=2
	s_or_b32 exec_lo, exec_lo, s13
	v_lshrrev_b32_e32 v3, 20, v39
	v_cmp_gt_i32_e32 vcc_lo, 16, v43
	v_min_i32_e32 v30, 15, v43
	v_and_b32_sdwa v2, v2, v59 dst_sel:DWORD dst_unused:UNUSED_PAD src0_sel:BYTE_3 src1_sel:DWORD
	v_cndmask_b32_e32 v3, 7, v3, vcc_lo
	v_lshlrev_b32_e32 v30, 3, v30
	v_or_b32_e32 v39, v43, v3
	v_and_b32_e32 v3, 7, v3
	v_cmp_ne_u32_e32 vcc_lo, 0, v39
	v_or3_b32 v2, v30, v2, v3
	v_cndmask_b32_e32 v39, 0, v2, vcc_lo
.LBB6_2162:                             ;   in Loop: Header=BB6_2063 Depth=2
	s_or_b32 exec_lo, exec_lo, s29
.LBB6_2163:                             ;   in Loop: Header=BB6_2063 Depth=2
	s_or_b32 exec_lo, exec_lo, s28
	v_cmp_gt_i16_sdwa s28, v98, v58 src0_sel:BYTE_0 src1_sel:DWORD
	s_mov_b32 s13, 0
	s_and_saveexec_b32 s29, s28
	s_xor_b32 s28, exec_lo, s29
	s_cbranch_execz .LBB6_2721
; %bb.2164:                             ;   in Loop: Header=BB6_2063 Depth=2
	v_cmp_eq_u16_sdwa s40, v98, v59 src0_sel:BYTE_0 src1_sel:DWORD
	s_mov_b32 s13, -1
	s_and_saveexec_b32 s29, s40
; %bb.2165:                             ;   in Loop: Header=BB6_2063 Depth=2
	s_xor_b32 s13, exec_lo, -1
; %bb.2166:                             ;   in Loop: Header=BB6_2063 Depth=2
	s_or_b32 exec_lo, exec_lo, s29
	s_and_b32 s13, s13, exec_lo
	s_or_saveexec_b32 s28, s28
	v_mov_b32_e32 v2, 0x7f800001
	s_xor_b32 exec_lo, exec_lo, s28
	s_cbranch_execnz .LBB6_2722
.LBB6_2167:                             ;   in Loop: Header=BB6_2063 Depth=2
	s_or_b32 exec_lo, exec_lo, s28
	s_and_saveexec_b32 s28, s13
	s_cbranch_execz .LBB6_2169
.LBB6_2168:                             ;   in Loop: Header=BB6_2063 Depth=2
	v_and_b32_e32 v2, 7, v98
	v_lshrrev_b16 v30, 3, v98
	v_ffbh_u32_e32 v3, v2
	v_and_b32_e32 v30, 15, v30
	v_min_u32_e32 v3, 32, v3
	v_cmp_eq_u32_e32 vcc_lo, 0, v30
	v_subrev_nc_u32_e32 v116, 28, v3
	v_sub_nc_u32_e32 v3, 29, v3
	v_lshlrev_b32_e32 v116, v116, v98
	v_lshlrev_b32_e32 v98, 24, v98
	v_cndmask_b32_e32 v3, v30, v3, vcc_lo
	v_and_b32_e32 v116, 7, v116
	v_and_b32_e32 v30, 0x80000000, v98
	v_lshl_add_u32 v3, v3, 23, 0x3b800000
	v_cndmask_b32_e32 v2, v2, v116, vcc_lo
	v_lshlrev_b32_e32 v2, 20, v2
	v_or3_b32 v2, v30, v3, v2
.LBB6_2169:                             ;   in Loop: Header=BB6_2063 Depth=2
	s_or_b32 exec_lo, exec_lo, s28
	s_waitcnt vmcnt(26) lgkmcnt(26)
	v_cmp_gt_i16_sdwa s28, v123, v58 src0_sel:BYTE_0 src1_sel:DWORD
	s_mov_b32 s13, 0
	s_and_saveexec_b32 s29, s28
	s_xor_b32 s28, exec_lo, s29
	s_cbranch_execz .LBB6_2723
; %bb.2170:                             ;   in Loop: Header=BB6_2063 Depth=2
	v_cmp_eq_u16_sdwa s40, v123, v59 src0_sel:BYTE_0 src1_sel:DWORD
	s_mov_b32 s13, -1
	s_and_saveexec_b32 s29, s40
; %bb.2171:                             ;   in Loop: Header=BB6_2063 Depth=2
	s_xor_b32 s13, exec_lo, -1
; %bb.2172:                             ;   in Loop: Header=BB6_2063 Depth=2
	s_or_b32 exec_lo, exec_lo, s29
	s_and_b32 s13, s13, exec_lo
	s_or_saveexec_b32 s28, s28
	v_mov_b32_e32 v3, 0x7f800001
	s_xor_b32 exec_lo, exec_lo, s28
	s_cbranch_execnz .LBB6_2724
.LBB6_2173:                             ;   in Loop: Header=BB6_2063 Depth=2
	s_or_b32 exec_lo, exec_lo, s28
	s_and_saveexec_b32 s28, s13
	s_cbranch_execz .LBB6_2175
.LBB6_2174:                             ;   in Loop: Header=BB6_2063 Depth=2
	v_and_b32_e32 v3, 7, v123
	v_lshrrev_b16 v98, 3, v123
	v_lshlrev_b32_e32 v43, 24, v123
	v_ffbh_u32_e32 v30, v3
	v_and_b32_e32 v98, 15, v98
	v_min_u32_e32 v30, 32, v30
	v_cmp_eq_u32_e32 vcc_lo, 0, v98
	v_subrev_nc_u32_e32 v116, 28, v30
	v_sub_nc_u32_e32 v30, 29, v30
	v_lshlrev_b32_e32 v116, v116, v123
	v_cndmask_b32_e32 v30, v98, v30, vcc_lo
	v_and_b32_e32 v98, 0x80000000, v43
	v_and_b32_e32 v116, 7, v116
	v_lshl_add_u32 v30, v30, 23, 0x3b800000
	v_cndmask_b32_e32 v3, v3, v116, vcc_lo
	v_lshlrev_b32_e32 v3, 20, v3
	v_or3_b32 v3, v98, v30, v3
.LBB6_2175:                             ;   in Loop: Header=BB6_2063 Depth=2
	s_or_b32 exec_lo, exec_lo, s28
	v_add_f32_e32 v2, v2, v3
	v_mov_b32_e32 v98, 0x80
	s_mov_b32 s28, exec_lo
	v_and_b32_e32 v3, 0x7f800000, v2
	v_cmpx_ne_u32_e32 0x7f800000, v3
	s_cbranch_execz .LBB6_2183
; %bb.2176:                             ;   in Loop: Header=BB6_2063 Depth=2
	v_mov_b32_e32 v98, 0
	s_mov_b32 s29, exec_lo
	v_cmpx_ne_u32_e32 0, v2
	s_cbranch_execz .LBB6_2182
; %bb.2177:                             ;   in Loop: Header=BB6_2063 Depth=2
	v_bfe_u32 v30, v2, 23, 8
	v_and_b32_e32 v3, 0x7fffff, v2
	v_cmp_gt_u32_e64 s13, 0x79, v30
	v_sub_nc_u32_e32 v98, 0x78, v30
	v_cmp_eq_u32_e32 vcc_lo, 0, v30
	v_or_b32_e32 v116, 0x800000, v3
	v_cndmask_b32_e64 v98, 0, v98, s13
	v_cndmask_b32_e32 v3, v116, v3, vcc_lo
	v_cndmask_b32_e64 v98, v98, 0x77, vcc_lo
	v_lshl_add_u32 v116, 0x100000, v98, -1
	v_lshlrev_b32_e64 v43, v98, 0x80000
	v_and_b32_e32 v116, v116, v3
	v_cmp_eq_u32_e64 s13, v116, v43
	v_lshrrev_b32_e32 v116, v98, v3
	v_add_nc_u32_e32 v3, 0xffffff89, v30
	v_lshrrev_b32_e32 v30, 23, v116
	v_cndmask_b32_e64 v3, v3, 0xffffff8a, vcc_lo
	v_xor_b32_e32 v30, 1, v30
	v_add_nc_u32_e32 v3, v98, v3
	v_bfe_u32 v98, v116, 20, 1
	v_add_nc_u32_e32 v98, -1, v98
	v_cndmask_b32_e64 v98, 0, v98, s13
	s_mov_b32 s13, exec_lo
	v_add_nc_u32_e32 v98, v98, v116
	v_and_b32_e32 v98, 0xfffff, v98
	v_add_nc_u32_e32 v116, v98, v116
                                        ; implicit-def: $vgpr98
	v_cmpx_ne_u32_e64 v3, v30
	s_xor_b32 s13, exec_lo, s13
; %bb.2178:                             ;   in Loop: Header=BB6_2063 Depth=2
	v_cmp_lt_u32_e32 vcc_lo, 0xffffff, v116
	v_sub_nc_u32_e32 v3, v3, v30
	v_cndmask_b32_e64 v30, 0, 1, vcc_lo
	v_add_co_ci_u32_e64 v98, null, 0, v3, vcc_lo
	v_lshrrev_b32_e32 v116, v30, v116
; %bb.2179:                             ;   in Loop: Header=BB6_2063 Depth=2
	s_andn2_saveexec_b32 s13, s13
; %bb.2180:                             ;   in Loop: Header=BB6_2063 Depth=2
	v_bfe_u32 v98, v116, 23, 1
; %bb.2181:                             ;   in Loop: Header=BB6_2063 Depth=2
	s_or_b32 exec_lo, exec_lo, s13
	v_lshrrev_b32_e32 v3, 20, v116
	v_cmp_gt_i32_e32 vcc_lo, 16, v98
	v_min_i32_e32 v30, 15, v98
	v_and_b32_sdwa v2, v2, v59 dst_sel:DWORD dst_unused:UNUSED_PAD src0_sel:BYTE_3 src1_sel:DWORD
	v_cndmask_b32_e32 v3, 7, v3, vcc_lo
	v_lshlrev_b32_e32 v30, 3, v30
	v_and_b32_e32 v116, 7, v3
	v_or_b32_e32 v3, v98, v3
	v_or3_b32 v2, v30, v2, v116
	v_cmp_ne_u32_e32 vcc_lo, 0, v3
	v_cndmask_b32_e32 v98, 0, v2, vcc_lo
.LBB6_2182:                             ;   in Loop: Header=BB6_2063 Depth=2
	s_or_b32 exec_lo, exec_lo, s29
.LBB6_2183:                             ;   in Loop: Header=BB6_2063 Depth=2
	s_or_b32 exec_lo, exec_lo, s28
	v_cmp_gt_i16_sdwa s28, v101, v58 src0_sel:BYTE_0 src1_sel:DWORD
	s_mov_b32 s13, 0
	s_and_saveexec_b32 s29, s28
	s_xor_b32 s28, exec_lo, s29
	s_cbranch_execz .LBB6_2725
; %bb.2184:                             ;   in Loop: Header=BB6_2063 Depth=2
	v_cmp_eq_u16_sdwa s40, v101, v59 src0_sel:BYTE_0 src1_sel:DWORD
	s_mov_b32 s13, -1
	s_and_saveexec_b32 s29, s40
; %bb.2185:                             ;   in Loop: Header=BB6_2063 Depth=2
	s_xor_b32 s13, exec_lo, -1
; %bb.2186:                             ;   in Loop: Header=BB6_2063 Depth=2
	s_or_b32 exec_lo, exec_lo, s29
	s_and_b32 s13, s13, exec_lo
	s_or_saveexec_b32 s28, s28
	v_mov_b32_e32 v2, 0x7f800001
	s_xor_b32 exec_lo, exec_lo, s28
	s_cbranch_execnz .LBB6_2726
.LBB6_2187:                             ;   in Loop: Header=BB6_2063 Depth=2
	s_or_b32 exec_lo, exec_lo, s28
	s_and_saveexec_b32 s28, s13
	s_cbranch_execz .LBB6_2189
.LBB6_2188:                             ;   in Loop: Header=BB6_2063 Depth=2
	v_and_b32_e32 v2, 7, v101
	v_lshrrev_b16 v30, 3, v101
	v_ffbh_u32_e32 v3, v2
	v_and_b32_e32 v30, 15, v30
	v_min_u32_e32 v3, 32, v3
	v_cmp_eq_u32_e32 vcc_lo, 0, v30
	v_subrev_nc_u32_e32 v116, 28, v3
	v_sub_nc_u32_e32 v3, 29, v3
	v_lshlrev_b32_e32 v116, v116, v101
	v_lshlrev_b32_e32 v101, 24, v101
	v_cndmask_b32_e32 v3, v30, v3, vcc_lo
	v_and_b32_e32 v116, 7, v116
	v_and_b32_e32 v30, 0x80000000, v101
	v_lshl_add_u32 v3, v3, 23, 0x3b800000
	v_cndmask_b32_e32 v2, v2, v116, vcc_lo
	v_lshlrev_b32_e32 v2, 20, v2
	v_or3_b32 v2, v30, v3, v2
.LBB6_2189:                             ;   in Loop: Header=BB6_2063 Depth=2
	s_or_b32 exec_lo, exec_lo, s28
	s_waitcnt vmcnt(25) lgkmcnt(25)
	v_cmp_gt_i16_sdwa s28, v122, v58 src0_sel:BYTE_0 src1_sel:DWORD
	s_mov_b32 s13, 0
	s_and_saveexec_b32 s29, s28
	s_xor_b32 s28, exec_lo, s29
	s_cbranch_execz .LBB6_2727
; %bb.2190:                             ;   in Loop: Header=BB6_2063 Depth=2
	v_cmp_eq_u16_sdwa s40, v122, v59 src0_sel:BYTE_0 src1_sel:DWORD
	s_mov_b32 s13, -1
	s_and_saveexec_b32 s29, s40
; %bb.2191:                             ;   in Loop: Header=BB6_2063 Depth=2
	s_xor_b32 s13, exec_lo, -1
; %bb.2192:                             ;   in Loop: Header=BB6_2063 Depth=2
	s_or_b32 exec_lo, exec_lo, s29
	s_and_b32 s13, s13, exec_lo
	s_or_saveexec_b32 s28, s28
	v_mov_b32_e32 v3, 0x7f800001
	s_xor_b32 exec_lo, exec_lo, s28
	s_cbranch_execnz .LBB6_2728
.LBB6_2193:                             ;   in Loop: Header=BB6_2063 Depth=2
	s_or_b32 exec_lo, exec_lo, s28
	s_and_saveexec_b32 s28, s13
	s_cbranch_execz .LBB6_2195
.LBB6_2194:                             ;   in Loop: Header=BB6_2063 Depth=2
	v_and_b32_e32 v3, 7, v122
	v_lshrrev_b16 v101, 3, v122
	v_lshlrev_b32_e32 v43, 24, v122
	v_ffbh_u32_e32 v30, v3
	v_and_b32_e32 v101, 15, v101
	v_min_u32_e32 v30, 32, v30
	v_cmp_eq_u32_e32 vcc_lo, 0, v101
	v_subrev_nc_u32_e32 v116, 28, v30
	v_sub_nc_u32_e32 v30, 29, v30
	v_lshlrev_b32_e32 v116, v116, v122
	v_cndmask_b32_e32 v30, v101, v30, vcc_lo
	v_and_b32_e32 v101, 0x80000000, v43
	v_and_b32_e32 v116, 7, v116
	v_lshl_add_u32 v30, v30, 23, 0x3b800000
	v_cndmask_b32_e32 v3, v3, v116, vcc_lo
	v_lshlrev_b32_e32 v3, 20, v3
	v_or3_b32 v3, v101, v30, v3
.LBB6_2195:                             ;   in Loop: Header=BB6_2063 Depth=2
	s_or_b32 exec_lo, exec_lo, s28
	v_add_f32_e32 v2, v2, v3
	v_mov_b32_e32 v101, 0x80
	s_mov_b32 s28, exec_lo
	v_and_b32_e32 v3, 0x7f800000, v2
	v_cmpx_ne_u32_e32 0x7f800000, v3
	s_cbranch_execz .LBB6_2203
; %bb.2196:                             ;   in Loop: Header=BB6_2063 Depth=2
	v_mov_b32_e32 v101, 0
	s_mov_b32 s29, exec_lo
	v_cmpx_ne_u32_e32 0, v2
	s_cbranch_execz .LBB6_2202
; %bb.2197:                             ;   in Loop: Header=BB6_2063 Depth=2
	v_bfe_u32 v30, v2, 23, 8
	v_and_b32_e32 v3, 0x7fffff, v2
	v_cmp_gt_u32_e64 s13, 0x79, v30
	v_sub_nc_u32_e32 v101, 0x78, v30
	v_cmp_eq_u32_e32 vcc_lo, 0, v30
	v_or_b32_e32 v116, 0x800000, v3
	v_cndmask_b32_e64 v101, 0, v101, s13
	v_cndmask_b32_e32 v3, v116, v3, vcc_lo
	v_cndmask_b32_e64 v101, v101, 0x77, vcc_lo
	v_lshl_add_u32 v116, 0x100000, v101, -1
	v_lshlrev_b32_e64 v43, v101, 0x80000
	v_and_b32_e32 v116, v116, v3
	v_cmp_eq_u32_e64 s13, v116, v43
	v_lshrrev_b32_e32 v116, v101, v3
	v_add_nc_u32_e32 v3, 0xffffff89, v30
	v_lshrrev_b32_e32 v30, 23, v116
	v_cndmask_b32_e64 v3, v3, 0xffffff8a, vcc_lo
	v_xor_b32_e32 v30, 1, v30
	v_add_nc_u32_e32 v3, v101, v3
	v_bfe_u32 v101, v116, 20, 1
	v_add_nc_u32_e32 v101, -1, v101
	v_cndmask_b32_e64 v101, 0, v101, s13
	s_mov_b32 s13, exec_lo
	v_add_nc_u32_e32 v101, v101, v116
	v_and_b32_e32 v101, 0xfffff, v101
	v_add_nc_u32_e32 v116, v101, v116
                                        ; implicit-def: $vgpr101
	v_cmpx_ne_u32_e64 v3, v30
	s_xor_b32 s13, exec_lo, s13
; %bb.2198:                             ;   in Loop: Header=BB6_2063 Depth=2
	v_cmp_lt_u32_e32 vcc_lo, 0xffffff, v116
	v_sub_nc_u32_e32 v3, v3, v30
	v_cndmask_b32_e64 v30, 0, 1, vcc_lo
	v_add_co_ci_u32_e64 v101, null, 0, v3, vcc_lo
	v_lshrrev_b32_e32 v116, v30, v116
; %bb.2199:                             ;   in Loop: Header=BB6_2063 Depth=2
	s_andn2_saveexec_b32 s13, s13
; %bb.2200:                             ;   in Loop: Header=BB6_2063 Depth=2
	v_bfe_u32 v101, v116, 23, 1
; %bb.2201:                             ;   in Loop: Header=BB6_2063 Depth=2
	s_or_b32 exec_lo, exec_lo, s13
	v_lshrrev_b32_e32 v3, 20, v116
	v_cmp_gt_i32_e32 vcc_lo, 16, v101
	v_min_i32_e32 v30, 15, v101
	v_and_b32_sdwa v2, v2, v59 dst_sel:DWORD dst_unused:UNUSED_PAD src0_sel:BYTE_3 src1_sel:DWORD
	v_cndmask_b32_e32 v3, 7, v3, vcc_lo
	v_lshlrev_b32_e32 v30, 3, v30
	v_and_b32_e32 v116, 7, v3
	v_or_b32_e32 v3, v101, v3
	v_or3_b32 v2, v30, v2, v116
	v_cmp_ne_u32_e32 vcc_lo, 0, v3
	v_cndmask_b32_e32 v101, 0, v2, vcc_lo
.LBB6_2202:                             ;   in Loop: Header=BB6_2063 Depth=2
	s_or_b32 exec_lo, exec_lo, s29
.LBB6_2203:                             ;   in Loop: Header=BB6_2063 Depth=2
	s_or_b32 exec_lo, exec_lo, s28
	v_cmp_gt_i16_sdwa s28, v112, v58 src0_sel:BYTE_0 src1_sel:DWORD
	s_mov_b32 s13, 0
	s_and_saveexec_b32 s29, s28
	s_xor_b32 s28, exec_lo, s29
	s_cbranch_execz .LBB6_2729
; %bb.2204:                             ;   in Loop: Header=BB6_2063 Depth=2
	v_cmp_eq_u16_sdwa s40, v112, v59 src0_sel:BYTE_0 src1_sel:DWORD
	s_mov_b32 s13, -1
	s_and_saveexec_b32 s29, s40
; %bb.2205:                             ;   in Loop: Header=BB6_2063 Depth=2
	s_xor_b32 s13, exec_lo, -1
; %bb.2206:                             ;   in Loop: Header=BB6_2063 Depth=2
	s_or_b32 exec_lo, exec_lo, s29
	s_and_b32 s13, s13, exec_lo
	s_or_saveexec_b32 s28, s28
	v_mov_b32_e32 v2, 0x7f800001
	s_xor_b32 exec_lo, exec_lo, s28
	s_cbranch_execnz .LBB6_2730
.LBB6_2207:                             ;   in Loop: Header=BB6_2063 Depth=2
	s_or_b32 exec_lo, exec_lo, s28
	s_and_saveexec_b32 s28, s13
	s_cbranch_execz .LBB6_2209
.LBB6_2208:                             ;   in Loop: Header=BB6_2063 Depth=2
	v_and_b32_e32 v2, 7, v112
	v_lshrrev_b16 v30, 3, v112
	v_ffbh_u32_e32 v3, v2
	v_and_b32_e32 v30, 15, v30
	v_min_u32_e32 v3, 32, v3
	v_cmp_eq_u32_e32 vcc_lo, 0, v30
	v_subrev_nc_u32_e32 v116, 28, v3
	v_sub_nc_u32_e32 v3, 29, v3
	v_lshlrev_b32_e32 v116, v116, v112
	v_lshlrev_b32_e32 v112, 24, v112
	v_cndmask_b32_e32 v3, v30, v3, vcc_lo
	v_and_b32_e32 v116, 7, v116
	v_and_b32_e32 v30, 0x80000000, v112
	v_lshl_add_u32 v3, v3, 23, 0x3b800000
	v_cndmask_b32_e32 v2, v2, v116, vcc_lo
	v_lshlrev_b32_e32 v2, 20, v2
	v_or3_b32 v2, v30, v3, v2
.LBB6_2209:                             ;   in Loop: Header=BB6_2063 Depth=2
	s_or_b32 exec_lo, exec_lo, s28
	s_waitcnt vmcnt(24) lgkmcnt(24)
	v_cmp_gt_i16_sdwa s28, v121, v58 src0_sel:BYTE_0 src1_sel:DWORD
	s_mov_b32 s13, 0
	s_and_saveexec_b32 s29, s28
	s_xor_b32 s28, exec_lo, s29
	s_cbranch_execz .LBB6_2731
; %bb.2210:                             ;   in Loop: Header=BB6_2063 Depth=2
	v_cmp_eq_u16_sdwa s40, v121, v59 src0_sel:BYTE_0 src1_sel:DWORD
	s_mov_b32 s13, -1
	s_and_saveexec_b32 s29, s40
; %bb.2211:                             ;   in Loop: Header=BB6_2063 Depth=2
	s_xor_b32 s13, exec_lo, -1
; %bb.2212:                             ;   in Loop: Header=BB6_2063 Depth=2
	s_or_b32 exec_lo, exec_lo, s29
	s_and_b32 s13, s13, exec_lo
	s_or_saveexec_b32 s28, s28
	v_mov_b32_e32 v3, 0x7f800001
	s_xor_b32 exec_lo, exec_lo, s28
	s_cbranch_execnz .LBB6_2732
.LBB6_2213:                             ;   in Loop: Header=BB6_2063 Depth=2
	s_or_b32 exec_lo, exec_lo, s28
	s_and_saveexec_b32 s28, s13
	s_cbranch_execz .LBB6_2215
.LBB6_2214:                             ;   in Loop: Header=BB6_2063 Depth=2
	v_and_b32_e32 v3, 7, v121
	v_lshrrev_b16 v112, 3, v121
	v_lshlrev_b32_e32 v43, 24, v121
	v_ffbh_u32_e32 v30, v3
	v_and_b32_e32 v112, 15, v112
	v_min_u32_e32 v30, 32, v30
	v_cmp_eq_u32_e32 vcc_lo, 0, v112
	v_subrev_nc_u32_e32 v116, 28, v30
	v_sub_nc_u32_e32 v30, 29, v30
	v_lshlrev_b32_e32 v116, v116, v121
	v_cndmask_b32_e32 v30, v112, v30, vcc_lo
	v_and_b32_e32 v112, 0x80000000, v43
	v_and_b32_e32 v116, 7, v116
	v_lshl_add_u32 v30, v30, 23, 0x3b800000
	v_cndmask_b32_e32 v3, v3, v116, vcc_lo
	v_lshlrev_b32_e32 v3, 20, v3
	v_or3_b32 v3, v112, v30, v3
.LBB6_2215:                             ;   in Loop: Header=BB6_2063 Depth=2
	s_or_b32 exec_lo, exec_lo, s28
	v_add_f32_e32 v2, v2, v3
	v_mov_b32_e32 v112, 0x80
	s_mov_b32 s28, exec_lo
	v_and_b32_e32 v3, 0x7f800000, v2
	v_cmpx_ne_u32_e32 0x7f800000, v3
	s_cbranch_execz .LBB6_2223
; %bb.2216:                             ;   in Loop: Header=BB6_2063 Depth=2
	v_mov_b32_e32 v112, 0
	s_mov_b32 s29, exec_lo
	v_cmpx_ne_u32_e32 0, v2
	s_cbranch_execz .LBB6_2222
; %bb.2217:                             ;   in Loop: Header=BB6_2063 Depth=2
	v_bfe_u32 v30, v2, 23, 8
	v_and_b32_e32 v3, 0x7fffff, v2
	v_cmp_gt_u32_e64 s13, 0x79, v30
	v_sub_nc_u32_e32 v112, 0x78, v30
	v_cmp_eq_u32_e32 vcc_lo, 0, v30
	v_or_b32_e32 v116, 0x800000, v3
	v_cndmask_b32_e64 v112, 0, v112, s13
	v_cndmask_b32_e32 v3, v116, v3, vcc_lo
	v_cndmask_b32_e64 v112, v112, 0x77, vcc_lo
	v_lshl_add_u32 v116, 0x100000, v112, -1
	v_lshlrev_b32_e64 v43, v112, 0x80000
	v_and_b32_e32 v116, v116, v3
	v_cmp_eq_u32_e64 s13, v116, v43
	v_lshrrev_b32_e32 v116, v112, v3
	v_add_nc_u32_e32 v3, 0xffffff89, v30
	v_lshrrev_b32_e32 v30, 23, v116
	v_cndmask_b32_e64 v3, v3, 0xffffff8a, vcc_lo
	v_xor_b32_e32 v30, 1, v30
	v_add_nc_u32_e32 v3, v112, v3
	v_bfe_u32 v112, v116, 20, 1
	v_add_nc_u32_e32 v112, -1, v112
	v_cndmask_b32_e64 v112, 0, v112, s13
	s_mov_b32 s13, exec_lo
	v_add_nc_u32_e32 v112, v112, v116
	v_and_b32_e32 v112, 0xfffff, v112
	v_add_nc_u32_e32 v116, v112, v116
                                        ; implicit-def: $vgpr112
	v_cmpx_ne_u32_e64 v3, v30
	s_xor_b32 s13, exec_lo, s13
; %bb.2218:                             ;   in Loop: Header=BB6_2063 Depth=2
	v_cmp_lt_u32_e32 vcc_lo, 0xffffff, v116
	v_sub_nc_u32_e32 v3, v3, v30
	v_cndmask_b32_e64 v30, 0, 1, vcc_lo
	v_add_co_ci_u32_e64 v112, null, 0, v3, vcc_lo
	v_lshrrev_b32_e32 v116, v30, v116
; %bb.2219:                             ;   in Loop: Header=BB6_2063 Depth=2
	s_andn2_saveexec_b32 s13, s13
; %bb.2220:                             ;   in Loop: Header=BB6_2063 Depth=2
	v_bfe_u32 v112, v116, 23, 1
; %bb.2221:                             ;   in Loop: Header=BB6_2063 Depth=2
	s_or_b32 exec_lo, exec_lo, s13
	v_lshrrev_b32_e32 v3, 20, v116
	v_cmp_gt_i32_e32 vcc_lo, 16, v112
	v_min_i32_e32 v30, 15, v112
	v_and_b32_sdwa v2, v2, v59 dst_sel:DWORD dst_unused:UNUSED_PAD src0_sel:BYTE_3 src1_sel:DWORD
	v_cndmask_b32_e32 v3, 7, v3, vcc_lo
	v_lshlrev_b32_e32 v30, 3, v30
	v_and_b32_e32 v116, 7, v3
	v_or_b32_e32 v3, v112, v3
	v_or3_b32 v2, v30, v2, v116
	v_cmp_ne_u32_e32 vcc_lo, 0, v3
	v_cndmask_b32_e32 v112, 0, v2, vcc_lo
.LBB6_2222:                             ;   in Loop: Header=BB6_2063 Depth=2
	s_or_b32 exec_lo, exec_lo, s29
.LBB6_2223:                             ;   in Loop: Header=BB6_2063 Depth=2
	s_or_b32 exec_lo, exec_lo, s28
	v_cmp_gt_i16_sdwa s28, v115, v58 src0_sel:BYTE_0 src1_sel:DWORD
	s_mov_b32 s13, 0
	s_and_saveexec_b32 s29, s28
	s_xor_b32 s28, exec_lo, s29
	s_cbranch_execz .LBB6_2733
; %bb.2224:                             ;   in Loop: Header=BB6_2063 Depth=2
	v_cmp_eq_u16_sdwa s40, v115, v59 src0_sel:BYTE_0 src1_sel:DWORD
	s_mov_b32 s13, -1
	s_and_saveexec_b32 s29, s40
; %bb.2225:                             ;   in Loop: Header=BB6_2063 Depth=2
	s_xor_b32 s13, exec_lo, -1
; %bb.2226:                             ;   in Loop: Header=BB6_2063 Depth=2
	s_or_b32 exec_lo, exec_lo, s29
	s_and_b32 s13, s13, exec_lo
	s_or_saveexec_b32 s28, s28
	v_mov_b32_e32 v2, 0x7f800001
	s_xor_b32 exec_lo, exec_lo, s28
	s_cbranch_execnz .LBB6_2734
.LBB6_2227:                             ;   in Loop: Header=BB6_2063 Depth=2
	s_or_b32 exec_lo, exec_lo, s28
	s_and_saveexec_b32 s28, s13
	s_cbranch_execz .LBB6_2229
.LBB6_2228:                             ;   in Loop: Header=BB6_2063 Depth=2
	v_and_b32_e32 v2, 7, v115
	v_lshrrev_b16 v30, 3, v115
	v_ffbh_u32_e32 v3, v2
	v_and_b32_e32 v30, 15, v30
	v_min_u32_e32 v3, 32, v3
	v_cmp_eq_u32_e32 vcc_lo, 0, v30
	v_subrev_nc_u32_e32 v116, 28, v3
	v_sub_nc_u32_e32 v3, 29, v3
	v_lshlrev_b32_e32 v116, v116, v115
	v_lshlrev_b32_e32 v115, 24, v115
	v_cndmask_b32_e32 v3, v30, v3, vcc_lo
	v_and_b32_e32 v116, 7, v116
	v_and_b32_e32 v30, 0x80000000, v115
	v_lshl_add_u32 v3, v3, 23, 0x3b800000
	v_cndmask_b32_e32 v2, v2, v116, vcc_lo
	v_lshlrev_b32_e32 v2, 20, v2
	v_or3_b32 v2, v30, v3, v2
.LBB6_2229:                             ;   in Loop: Header=BB6_2063 Depth=2
	s_or_b32 exec_lo, exec_lo, s28
	s_waitcnt vmcnt(23) lgkmcnt(23)
	v_cmp_gt_i16_sdwa s28, v120, v58 src0_sel:BYTE_0 src1_sel:DWORD
	s_mov_b32 s13, 0
	s_and_saveexec_b32 s29, s28
	s_xor_b32 s28, exec_lo, s29
	s_cbranch_execz .LBB6_2735
; %bb.2230:                             ;   in Loop: Header=BB6_2063 Depth=2
	v_cmp_eq_u16_sdwa s40, v120, v59 src0_sel:BYTE_0 src1_sel:DWORD
	s_mov_b32 s13, -1
	s_and_saveexec_b32 s29, s40
; %bb.2231:                             ;   in Loop: Header=BB6_2063 Depth=2
	s_xor_b32 s13, exec_lo, -1
; %bb.2232:                             ;   in Loop: Header=BB6_2063 Depth=2
	s_or_b32 exec_lo, exec_lo, s29
	s_and_b32 s13, s13, exec_lo
	s_or_saveexec_b32 s28, s28
	v_mov_b32_e32 v3, 0x7f800001
	s_xor_b32 exec_lo, exec_lo, s28
	s_cbranch_execnz .LBB6_2736
.LBB6_2233:                             ;   in Loop: Header=BB6_2063 Depth=2
	s_or_b32 exec_lo, exec_lo, s28
	s_and_saveexec_b32 s28, s13
	s_cbranch_execz .LBB6_2235
.LBB6_2234:                             ;   in Loop: Header=BB6_2063 Depth=2
	v_and_b32_e32 v3, 7, v120
	v_lshrrev_b16 v115, 3, v120
	v_lshlrev_b32_e32 v43, 24, v120
	v_ffbh_u32_e32 v30, v3
	v_and_b32_e32 v115, 15, v115
	v_min_u32_e32 v30, 32, v30
	v_cmp_eq_u32_e32 vcc_lo, 0, v115
	v_subrev_nc_u32_e32 v116, 28, v30
	v_sub_nc_u32_e32 v30, 29, v30
	v_lshlrev_b32_e32 v116, v116, v120
	v_cndmask_b32_e32 v30, v115, v30, vcc_lo
	v_and_b32_e32 v115, 0x80000000, v43
	v_and_b32_e32 v116, 7, v116
	v_lshl_add_u32 v30, v30, 23, 0x3b800000
	v_cndmask_b32_e32 v3, v3, v116, vcc_lo
	v_lshlrev_b32_e32 v3, 20, v3
	v_or3_b32 v3, v115, v30, v3
.LBB6_2235:                             ;   in Loop: Header=BB6_2063 Depth=2
	s_or_b32 exec_lo, exec_lo, s28
	v_add_f32_e32 v2, v2, v3
	v_mov_b32_e32 v115, 0x80
	s_mov_b32 s28, exec_lo
	v_and_b32_e32 v3, 0x7f800000, v2
	v_cmpx_ne_u32_e32 0x7f800000, v3
	s_cbranch_execz .LBB6_2243
; %bb.2236:                             ;   in Loop: Header=BB6_2063 Depth=2
	v_mov_b32_e32 v115, 0
	s_mov_b32 s29, exec_lo
	v_cmpx_ne_u32_e32 0, v2
	s_cbranch_execz .LBB6_2242
; %bb.2237:                             ;   in Loop: Header=BB6_2063 Depth=2
	v_bfe_u32 v3, v2, 23, 8
	v_and_b32_e32 v30, 0x7fffff, v2
	v_sub_nc_u32_e32 v115, 0x78, v3
	v_cmp_gt_u32_e32 vcc_lo, 0x79, v3
	v_or_b32_e32 v116, 0x800000, v30
	v_cndmask_b32_e32 v115, 0, v115, vcc_lo
	v_cmp_eq_u32_e32 vcc_lo, 0, v3
	v_add_nc_u32_e32 v3, 0xffffff89, v3
	v_cndmask_b32_e64 v115, v115, 0x77, vcc_lo
	v_cndmask_b32_e32 v30, v116, v30, vcc_lo
	v_cndmask_b32_e64 v3, v3, 0xffffff8a, vcc_lo
	v_lshl_add_u32 v116, 0x100000, v115, -1
	v_lshrrev_b32_e32 v43, v115, v30
	v_lshlrev_b32_e64 v46, v115, 0x80000
	v_add_nc_u32_e32 v115, v115, v3
	v_and_b32_e32 v30, v116, v30
	v_bfe_u32 v44, v43, 20, 1
	v_cmp_eq_u32_e64 s13, v30, v46
	v_add_nc_u32_e32 v116, -1, v44
	v_cndmask_b32_e64 v30, 0, v116, s13
	v_lshrrev_b32_e32 v116, 23, v43
	s_mov_b32 s13, exec_lo
	v_add_nc_u32_e32 v30, v30, v43
	v_xor_b32_e32 v116, 1, v116
	v_and_b32_e32 v3, 0xfffff, v30
	v_add_nc_u32_e32 v30, v3, v43
                                        ; implicit-def: $vgpr3
	v_cmpx_ne_u32_e64 v115, v116
	s_xor_b32 s13, exec_lo, s13
; %bb.2238:                             ;   in Loop: Header=BB6_2063 Depth=2
	v_cmp_lt_u32_e32 vcc_lo, 0xffffff, v30
	v_sub_nc_u32_e32 v3, v115, v116
	v_cndmask_b32_e64 v115, 0, 1, vcc_lo
	v_add_co_ci_u32_e64 v3, null, 0, v3, vcc_lo
	v_lshrrev_b32_e32 v30, v115, v30
; %bb.2239:                             ;   in Loop: Header=BB6_2063 Depth=2
	s_andn2_saveexec_b32 s13, s13
; %bb.2240:                             ;   in Loop: Header=BB6_2063 Depth=2
	v_bfe_u32 v3, v30, 23, 1
; %bb.2241:                             ;   in Loop: Header=BB6_2063 Depth=2
	s_or_b32 exec_lo, exec_lo, s13
	v_lshrrev_b32_e32 v30, 20, v30
	v_cmp_gt_i32_e32 vcc_lo, 16, v3
	v_min_i32_e32 v115, 15, v3
	v_and_b32_sdwa v2, v2, v59 dst_sel:DWORD dst_unused:UNUSED_PAD src0_sel:BYTE_3 src1_sel:DWORD
	v_cndmask_b32_e32 v30, 7, v30, vcc_lo
	v_lshlrev_b32_e32 v115, 3, v115
	v_and_b32_e32 v116, 7, v30
	v_or_b32_e32 v3, v3, v30
	v_or3_b32 v2, v115, v2, v116
	v_cmp_ne_u32_e32 vcc_lo, 0, v3
	v_cndmask_b32_e32 v115, 0, v2, vcc_lo
.LBB6_2242:                             ;   in Loop: Header=BB6_2063 Depth=2
	s_or_b32 exec_lo, exec_lo, s29
.LBB6_2243:                             ;   in Loop: Header=BB6_2063 Depth=2
	s_or_b32 exec_lo, exec_lo, s28
	v_cmp_gt_i16_sdwa s28, v74, v58 src0_sel:BYTE_0 src1_sel:DWORD
	s_mov_b32 s13, 0
	s_and_saveexec_b32 s29, s28
	s_xor_b32 s28, exec_lo, s29
	s_cbranch_execz .LBB6_2737
; %bb.2244:                             ;   in Loop: Header=BB6_2063 Depth=2
	v_cmp_eq_u16_sdwa s40, v74, v59 src0_sel:BYTE_0 src1_sel:DWORD
	s_mov_b32 s13, -1
	s_and_saveexec_b32 s29, s40
; %bb.2245:                             ;   in Loop: Header=BB6_2063 Depth=2
	s_xor_b32 s13, exec_lo, -1
; %bb.2246:                             ;   in Loop: Header=BB6_2063 Depth=2
	s_or_b32 exec_lo, exec_lo, s29
	s_and_b32 s13, s13, exec_lo
	s_or_saveexec_b32 s28, s28
	v_mov_b32_e32 v2, 0x7f800001
	s_xor_b32 exec_lo, exec_lo, s28
	s_cbranch_execnz .LBB6_2738
.LBB6_2247:                             ;   in Loop: Header=BB6_2063 Depth=2
	s_or_b32 exec_lo, exec_lo, s28
	s_and_saveexec_b32 s28, s13
	s_cbranch_execz .LBB6_2249
.LBB6_2248:                             ;   in Loop: Header=BB6_2063 Depth=2
	v_and_b32_e32 v2, 7, v74
	v_lshrrev_b16 v30, 3, v74
	v_lshlrev_b32_e32 v43, 24, v74
	v_ffbh_u32_e32 v3, v2
	v_and_b32_e32 v30, 15, v30
	v_min_u32_e32 v3, 32, v3
	v_cmp_eq_u32_e32 vcc_lo, 0, v30
	v_subrev_nc_u32_e32 v116, 28, v3
	v_sub_nc_u32_e32 v3, 29, v3
	v_lshlrev_b32_e32 v116, v116, v74
	v_cndmask_b32_e32 v3, v30, v3, vcc_lo
	v_and_b32_e32 v30, 0x80000000, v43
	v_and_b32_e32 v116, 7, v116
	v_lshl_add_u32 v3, v3, 23, 0x3b800000
	v_cndmask_b32_e32 v2, v2, v116, vcc_lo
	v_lshlrev_b32_e32 v2, 20, v2
	v_or3_b32 v2, v30, v3, v2
.LBB6_2249:                             ;   in Loop: Header=BB6_2063 Depth=2
	s_or_b32 exec_lo, exec_lo, s28
	s_waitcnt vmcnt(22) lgkmcnt(22)
	v_cmp_gt_i16_sdwa s28, v111, v58 src0_sel:BYTE_0 src1_sel:DWORD
	s_mov_b32 s13, 0
	s_and_saveexec_b32 s29, s28
	s_xor_b32 s28, exec_lo, s29
	s_cbranch_execz .LBB6_2739
; %bb.2250:                             ;   in Loop: Header=BB6_2063 Depth=2
	v_cmp_eq_u16_sdwa s40, v111, v59 src0_sel:BYTE_0 src1_sel:DWORD
	s_mov_b32 s13, -1
	s_and_saveexec_b32 s29, s40
; %bb.2251:                             ;   in Loop: Header=BB6_2063 Depth=2
	s_xor_b32 s13, exec_lo, -1
; %bb.2252:                             ;   in Loop: Header=BB6_2063 Depth=2
	s_or_b32 exec_lo, exec_lo, s29
	s_and_b32 s13, s13, exec_lo
	s_or_saveexec_b32 s28, s28
	v_mov_b32_e32 v3, 0x7f800001
	s_xor_b32 exec_lo, exec_lo, s28
	s_cbranch_execnz .LBB6_2740
.LBB6_2253:                             ;   in Loop: Header=BB6_2063 Depth=2
	s_or_b32 exec_lo, exec_lo, s28
	s_and_saveexec_b32 s28, s13
	s_cbranch_execz .LBB6_2255
.LBB6_2254:                             ;   in Loop: Header=BB6_2063 Depth=2
	v_and_b32_e32 v3, 7, v111
	v_lshrrev_b16 v116, 3, v111
	v_lshlrev_b32_e32 v44, 24, v111
	v_ffbh_u32_e32 v30, v3
	v_and_b32_e32 v116, 15, v116
	v_min_u32_e32 v30, 32, v30
	v_cmp_eq_u32_e32 vcc_lo, 0, v116
	v_subrev_nc_u32_e32 v43, 28, v30
	v_sub_nc_u32_e32 v30, 29, v30
	v_lshlrev_b32_e32 v43, v43, v111
	v_cndmask_b32_e32 v30, v116, v30, vcc_lo
	v_and_b32_e32 v116, 0x80000000, v44
	v_and_b32_e32 v43, 7, v43
	v_lshl_add_u32 v30, v30, 23, 0x3b800000
	v_cndmask_b32_e32 v3, v3, v43, vcc_lo
	v_lshlrev_b32_e32 v3, 20, v3
	v_or3_b32 v3, v116, v30, v3
.LBB6_2255:                             ;   in Loop: Header=BB6_2063 Depth=2
	s_or_b32 exec_lo, exec_lo, s28
	v_add_f32_e32 v2, v2, v3
	v_mov_b32_e32 v74, 0x80
	s_mov_b32 s28, exec_lo
	v_and_b32_e32 v3, 0x7f800000, v2
	v_cmpx_ne_u32_e32 0x7f800000, v3
	s_cbranch_execz .LBB6_2263
; %bb.2256:                             ;   in Loop: Header=BB6_2063 Depth=2
	v_mov_b32_e32 v74, 0
	s_mov_b32 s29, exec_lo
	v_cmpx_ne_u32_e32 0, v2
	s_cbranch_execz .LBB6_2262
; %bb.2257:                             ;   in Loop: Header=BB6_2063 Depth=2
	v_bfe_u32 v3, v2, 23, 8
	v_and_b32_e32 v30, 0x7fffff, v2
	v_sub_nc_u32_e32 v116, 0x78, v3
	v_cmp_gt_u32_e32 vcc_lo, 0x79, v3
	v_or_b32_e32 v43, 0x800000, v30
	v_cndmask_b32_e32 v116, 0, v116, vcc_lo
	v_cmp_eq_u32_e32 vcc_lo, 0, v3
	v_add_nc_u32_e32 v3, 0xffffff89, v3
	v_cndmask_b32_e64 v116, v116, 0x77, vcc_lo
	v_cndmask_b32_e32 v30, v43, v30, vcc_lo
	v_cndmask_b32_e64 v3, v3, 0xffffff8a, vcc_lo
	v_lshl_add_u32 v43, 0x100000, v116, -1
	v_lshrrev_b32_e32 v44, v116, v30
	v_lshlrev_b32_e64 v57, v116, 0x80000
	v_add_nc_u32_e32 v116, v116, v3
	v_and_b32_e32 v30, v43, v30
	v_bfe_u32 v46, v44, 20, 1
	v_cmp_eq_u32_e64 s13, v30, v57
	v_add_nc_u32_e32 v43, -1, v46
	v_cndmask_b32_e64 v30, 0, v43, s13
	v_lshrrev_b32_e32 v43, 23, v44
	s_mov_b32 s13, exec_lo
	v_add_nc_u32_e32 v30, v30, v44
	v_xor_b32_e32 v43, 1, v43
	v_and_b32_e32 v3, 0xfffff, v30
	v_add_nc_u32_e32 v30, v3, v44
                                        ; implicit-def: $vgpr3
	v_cmpx_ne_u32_e64 v116, v43
	s_xor_b32 s13, exec_lo, s13
; %bb.2258:                             ;   in Loop: Header=BB6_2063 Depth=2
	v_cmp_lt_u32_e32 vcc_lo, 0xffffff, v30
	v_sub_nc_u32_e32 v3, v116, v43
	v_cndmask_b32_e64 v116, 0, 1, vcc_lo
	v_add_co_ci_u32_e64 v3, null, 0, v3, vcc_lo
	v_lshrrev_b32_e32 v30, v116, v30
; %bb.2259:                             ;   in Loop: Header=BB6_2063 Depth=2
	s_andn2_saveexec_b32 s13, s13
; %bb.2260:                             ;   in Loop: Header=BB6_2063 Depth=2
	v_bfe_u32 v3, v30, 23, 1
; %bb.2261:                             ;   in Loop: Header=BB6_2063 Depth=2
	s_or_b32 exec_lo, exec_lo, s13
	v_lshrrev_b32_e32 v30, 20, v30
	v_cmp_gt_i32_e32 vcc_lo, 16, v3
	v_min_i32_e32 v116, 15, v3
	v_and_b32_sdwa v2, v2, v59 dst_sel:DWORD dst_unused:UNUSED_PAD src0_sel:BYTE_3 src1_sel:DWORD
	v_cndmask_b32_e32 v30, 7, v30, vcc_lo
	v_lshlrev_b32_e32 v116, 3, v116
	v_and_b32_e32 v43, 7, v30
	v_or_b32_e32 v3, v3, v30
	v_or3_b32 v2, v116, v2, v43
	v_cmp_ne_u32_e32 vcc_lo, 0, v3
	v_cndmask_b32_e32 v74, 0, v2, vcc_lo
.LBB6_2262:                             ;   in Loop: Header=BB6_2063 Depth=2
	s_or_b32 exec_lo, exec_lo, s29
.LBB6_2263:                             ;   in Loop: Header=BB6_2063 Depth=2
	s_or_b32 exec_lo, exec_lo, s28
	v_cmp_gt_i16_sdwa s28, v77, v58 src0_sel:BYTE_0 src1_sel:DWORD
	s_mov_b32 s13, 0
	s_and_saveexec_b32 s29, s28
	s_xor_b32 s28, exec_lo, s29
	s_cbranch_execz .LBB6_2741
; %bb.2264:                             ;   in Loop: Header=BB6_2063 Depth=2
	v_cmp_eq_u16_sdwa s40, v77, v59 src0_sel:BYTE_0 src1_sel:DWORD
	s_mov_b32 s13, -1
	s_and_saveexec_b32 s29, s40
; %bb.2265:                             ;   in Loop: Header=BB6_2063 Depth=2
	s_xor_b32 s13, exec_lo, -1
; %bb.2266:                             ;   in Loop: Header=BB6_2063 Depth=2
	s_or_b32 exec_lo, exec_lo, s29
	s_and_b32 s13, s13, exec_lo
	s_or_saveexec_b32 s28, s28
	v_mov_b32_e32 v2, 0x7f800001
	s_xor_b32 exec_lo, exec_lo, s28
	s_cbranch_execnz .LBB6_2742
.LBB6_2267:                             ;   in Loop: Header=BB6_2063 Depth=2
	s_or_b32 exec_lo, exec_lo, s28
	s_and_saveexec_b32 s28, s13
	s_cbranch_execz .LBB6_2269
.LBB6_2268:                             ;   in Loop: Header=BB6_2063 Depth=2
	v_and_b32_e32 v2, 7, v77
	v_lshrrev_b16 v30, 3, v77
	v_lshlrev_b32_e32 v43, 24, v77
	v_ffbh_u32_e32 v3, v2
	v_and_b32_e32 v30, 15, v30
	v_min_u32_e32 v3, 32, v3
	v_cmp_eq_u32_e32 vcc_lo, 0, v30
	v_subrev_nc_u32_e32 v116, 28, v3
	v_sub_nc_u32_e32 v3, 29, v3
	v_lshlrev_b32_e32 v116, v116, v77
	v_cndmask_b32_e32 v3, v30, v3, vcc_lo
	v_and_b32_e32 v30, 0x80000000, v43
	v_and_b32_e32 v116, 7, v116
	v_lshl_add_u32 v3, v3, 23, 0x3b800000
	v_cndmask_b32_e32 v2, v2, v116, vcc_lo
	v_lshlrev_b32_e32 v2, 20, v2
	v_or3_b32 v2, v30, v3, v2
.LBB6_2269:                             ;   in Loop: Header=BB6_2063 Depth=2
	s_or_b32 exec_lo, exec_lo, s28
	s_waitcnt vmcnt(21) lgkmcnt(21)
	v_cmp_gt_i16_sdwa s28, v110, v58 src0_sel:BYTE_0 src1_sel:DWORD
	s_mov_b32 s13, 0
	s_and_saveexec_b32 s29, s28
	s_xor_b32 s28, exec_lo, s29
	s_cbranch_execz .LBB6_2743
; %bb.2270:                             ;   in Loop: Header=BB6_2063 Depth=2
	v_cmp_eq_u16_sdwa s40, v110, v59 src0_sel:BYTE_0 src1_sel:DWORD
	s_mov_b32 s13, -1
	s_and_saveexec_b32 s29, s40
; %bb.2271:                             ;   in Loop: Header=BB6_2063 Depth=2
	s_xor_b32 s13, exec_lo, -1
; %bb.2272:                             ;   in Loop: Header=BB6_2063 Depth=2
	s_or_b32 exec_lo, exec_lo, s29
	s_and_b32 s13, s13, exec_lo
	s_or_saveexec_b32 s28, s28
	v_mov_b32_e32 v3, 0x7f800001
	s_xor_b32 exec_lo, exec_lo, s28
	s_cbranch_execnz .LBB6_2744
.LBB6_2273:                             ;   in Loop: Header=BB6_2063 Depth=2
	s_or_b32 exec_lo, exec_lo, s28
	s_and_saveexec_b32 s28, s13
	s_cbranch_execz .LBB6_2275
.LBB6_2274:                             ;   in Loop: Header=BB6_2063 Depth=2
	v_and_b32_e32 v3, 7, v110
	v_lshrrev_b16 v116, 3, v110
	v_lshlrev_b32_e32 v44, 24, v110
	v_ffbh_u32_e32 v30, v3
	v_and_b32_e32 v116, 15, v116
	v_min_u32_e32 v30, 32, v30
	v_cmp_eq_u32_e32 vcc_lo, 0, v116
	v_subrev_nc_u32_e32 v43, 28, v30
	v_sub_nc_u32_e32 v30, 29, v30
	v_lshlrev_b32_e32 v43, v43, v110
	v_cndmask_b32_e32 v30, v116, v30, vcc_lo
	v_and_b32_e32 v116, 0x80000000, v44
	v_and_b32_e32 v43, 7, v43
	v_lshl_add_u32 v30, v30, 23, 0x3b800000
	v_cndmask_b32_e32 v3, v3, v43, vcc_lo
	v_lshlrev_b32_e32 v3, 20, v3
	v_or3_b32 v3, v116, v30, v3
.LBB6_2275:                             ;   in Loop: Header=BB6_2063 Depth=2
	s_or_b32 exec_lo, exec_lo, s28
	v_add_f32_e32 v2, v2, v3
	v_mov_b32_e32 v77, 0x80
	s_mov_b32 s28, exec_lo
	v_and_b32_e32 v3, 0x7f800000, v2
	v_cmpx_ne_u32_e32 0x7f800000, v3
	s_cbranch_execz .LBB6_2283
; %bb.2276:                             ;   in Loop: Header=BB6_2063 Depth=2
	v_mov_b32_e32 v77, 0
	s_mov_b32 s29, exec_lo
	v_cmpx_ne_u32_e32 0, v2
	s_cbranch_execz .LBB6_2282
; %bb.2277:                             ;   in Loop: Header=BB6_2063 Depth=2
	v_bfe_u32 v3, v2, 23, 8
	v_and_b32_e32 v30, 0x7fffff, v2
	v_sub_nc_u32_e32 v116, 0x78, v3
	v_cmp_gt_u32_e32 vcc_lo, 0x79, v3
	v_or_b32_e32 v43, 0x800000, v30
	v_cndmask_b32_e32 v116, 0, v116, vcc_lo
	v_cmp_eq_u32_e32 vcc_lo, 0, v3
	v_add_nc_u32_e32 v3, 0xffffff89, v3
	v_cndmask_b32_e64 v116, v116, 0x77, vcc_lo
	v_cndmask_b32_e32 v30, v43, v30, vcc_lo
	v_cndmask_b32_e64 v3, v3, 0xffffff8a, vcc_lo
	v_lshl_add_u32 v43, 0x100000, v116, -1
	v_lshrrev_b32_e32 v44, v116, v30
	v_lshlrev_b32_e64 v57, v116, 0x80000
	v_add_nc_u32_e32 v116, v116, v3
	v_and_b32_e32 v30, v43, v30
	v_bfe_u32 v46, v44, 20, 1
	v_cmp_eq_u32_e64 s13, v30, v57
	v_add_nc_u32_e32 v43, -1, v46
	v_cndmask_b32_e64 v30, 0, v43, s13
	v_lshrrev_b32_e32 v43, 23, v44
	s_mov_b32 s13, exec_lo
	v_add_nc_u32_e32 v30, v30, v44
	v_xor_b32_e32 v43, 1, v43
	v_and_b32_e32 v3, 0xfffff, v30
	v_add_nc_u32_e32 v30, v3, v44
                                        ; implicit-def: $vgpr3
	v_cmpx_ne_u32_e64 v116, v43
	s_xor_b32 s13, exec_lo, s13
; %bb.2278:                             ;   in Loop: Header=BB6_2063 Depth=2
	v_cmp_lt_u32_e32 vcc_lo, 0xffffff, v30
	v_sub_nc_u32_e32 v3, v116, v43
	v_cndmask_b32_e64 v116, 0, 1, vcc_lo
	v_add_co_ci_u32_e64 v3, null, 0, v3, vcc_lo
	v_lshrrev_b32_e32 v30, v116, v30
; %bb.2279:                             ;   in Loop: Header=BB6_2063 Depth=2
	s_andn2_saveexec_b32 s13, s13
; %bb.2280:                             ;   in Loop: Header=BB6_2063 Depth=2
	v_bfe_u32 v3, v30, 23, 1
; %bb.2281:                             ;   in Loop: Header=BB6_2063 Depth=2
	s_or_b32 exec_lo, exec_lo, s13
	v_lshrrev_b32_e32 v30, 20, v30
	v_cmp_gt_i32_e32 vcc_lo, 16, v3
	v_min_i32_e32 v116, 15, v3
	v_and_b32_sdwa v2, v2, v59 dst_sel:DWORD dst_unused:UNUSED_PAD src0_sel:BYTE_3 src1_sel:DWORD
	v_cndmask_b32_e32 v30, 7, v30, vcc_lo
	v_lshlrev_b32_e32 v116, 3, v116
	v_and_b32_e32 v43, 7, v30
	v_or_b32_e32 v3, v3, v30
	v_or3_b32 v2, v116, v2, v43
	v_cmp_ne_u32_e32 vcc_lo, 0, v3
	v_cndmask_b32_e32 v77, 0, v2, vcc_lo
.LBB6_2282:                             ;   in Loop: Header=BB6_2063 Depth=2
	s_or_b32 exec_lo, exec_lo, s29
.LBB6_2283:                             ;   in Loop: Header=BB6_2063 Depth=2
	s_or_b32 exec_lo, exec_lo, s28
	v_cmp_gt_i16_sdwa s28, v88, v58 src0_sel:BYTE_0 src1_sel:DWORD
	s_mov_b32 s13, 0
	s_and_saveexec_b32 s29, s28
	s_xor_b32 s28, exec_lo, s29
	s_cbranch_execz .LBB6_2745
; %bb.2284:                             ;   in Loop: Header=BB6_2063 Depth=2
	v_cmp_eq_u16_sdwa s40, v88, v59 src0_sel:BYTE_0 src1_sel:DWORD
	s_mov_b32 s13, -1
	s_and_saveexec_b32 s29, s40
; %bb.2285:                             ;   in Loop: Header=BB6_2063 Depth=2
	s_xor_b32 s13, exec_lo, -1
; %bb.2286:                             ;   in Loop: Header=BB6_2063 Depth=2
	s_or_b32 exec_lo, exec_lo, s29
	s_and_b32 s13, s13, exec_lo
	s_or_saveexec_b32 s28, s28
	v_mov_b32_e32 v2, 0x7f800001
	s_xor_b32 exec_lo, exec_lo, s28
	s_cbranch_execnz .LBB6_2746
.LBB6_2287:                             ;   in Loop: Header=BB6_2063 Depth=2
	s_or_b32 exec_lo, exec_lo, s28
	s_and_saveexec_b32 s28, s13
	s_cbranch_execz .LBB6_2289
.LBB6_2288:                             ;   in Loop: Header=BB6_2063 Depth=2
	v_and_b32_e32 v2, 7, v88
	v_lshrrev_b16 v30, 3, v88
	v_lshlrev_b32_e32 v43, 24, v88
	v_ffbh_u32_e32 v3, v2
	v_and_b32_e32 v30, 15, v30
	v_min_u32_e32 v3, 32, v3
	v_cmp_eq_u32_e32 vcc_lo, 0, v30
	v_subrev_nc_u32_e32 v116, 28, v3
	v_sub_nc_u32_e32 v3, 29, v3
	v_lshlrev_b32_e32 v116, v116, v88
	v_cndmask_b32_e32 v3, v30, v3, vcc_lo
	v_and_b32_e32 v30, 0x80000000, v43
	v_and_b32_e32 v116, 7, v116
	v_lshl_add_u32 v3, v3, 23, 0x3b800000
	v_cndmask_b32_e32 v2, v2, v116, vcc_lo
	v_lshlrev_b32_e32 v2, 20, v2
	v_or3_b32 v2, v30, v3, v2
.LBB6_2289:                             ;   in Loop: Header=BB6_2063 Depth=2
	s_or_b32 exec_lo, exec_lo, s28
	s_waitcnt vmcnt(20) lgkmcnt(20)
	v_cmp_gt_i16_sdwa s28, v109, v58 src0_sel:BYTE_0 src1_sel:DWORD
	s_mov_b32 s13, 0
	s_and_saveexec_b32 s29, s28
	s_xor_b32 s28, exec_lo, s29
	s_cbranch_execz .LBB6_2747
; %bb.2290:                             ;   in Loop: Header=BB6_2063 Depth=2
	v_cmp_eq_u16_sdwa s40, v109, v59 src0_sel:BYTE_0 src1_sel:DWORD
	s_mov_b32 s13, -1
	s_and_saveexec_b32 s29, s40
; %bb.2291:                             ;   in Loop: Header=BB6_2063 Depth=2
	s_xor_b32 s13, exec_lo, -1
; %bb.2292:                             ;   in Loop: Header=BB6_2063 Depth=2
	s_or_b32 exec_lo, exec_lo, s29
	s_and_b32 s13, s13, exec_lo
	s_or_saveexec_b32 s28, s28
	v_mov_b32_e32 v3, 0x7f800001
	s_xor_b32 exec_lo, exec_lo, s28
	s_cbranch_execnz .LBB6_2748
.LBB6_2293:                             ;   in Loop: Header=BB6_2063 Depth=2
	s_or_b32 exec_lo, exec_lo, s28
	s_and_saveexec_b32 s28, s13
	s_cbranch_execz .LBB6_2295
.LBB6_2294:                             ;   in Loop: Header=BB6_2063 Depth=2
	v_and_b32_e32 v3, 7, v109
	v_lshrrev_b16 v116, 3, v109
	v_lshlrev_b32_e32 v44, 24, v109
	v_ffbh_u32_e32 v30, v3
	v_and_b32_e32 v116, 15, v116
	v_min_u32_e32 v30, 32, v30
	v_cmp_eq_u32_e32 vcc_lo, 0, v116
	v_subrev_nc_u32_e32 v43, 28, v30
	v_sub_nc_u32_e32 v30, 29, v30
	v_lshlrev_b32_e32 v43, v43, v109
	v_cndmask_b32_e32 v30, v116, v30, vcc_lo
	v_and_b32_e32 v116, 0x80000000, v44
	v_and_b32_e32 v43, 7, v43
	v_lshl_add_u32 v30, v30, 23, 0x3b800000
	v_cndmask_b32_e32 v3, v3, v43, vcc_lo
	v_lshlrev_b32_e32 v3, 20, v3
	v_or3_b32 v3, v116, v30, v3
.LBB6_2295:                             ;   in Loop: Header=BB6_2063 Depth=2
	s_or_b32 exec_lo, exec_lo, s28
	v_add_f32_e32 v2, v2, v3
	v_mov_b32_e32 v88, 0x80
	s_mov_b32 s28, exec_lo
	v_and_b32_e32 v3, 0x7f800000, v2
	v_cmpx_ne_u32_e32 0x7f800000, v3
	s_cbranch_execz .LBB6_2303
; %bb.2296:                             ;   in Loop: Header=BB6_2063 Depth=2
	v_mov_b32_e32 v88, 0
	s_mov_b32 s29, exec_lo
	v_cmpx_ne_u32_e32 0, v2
	s_cbranch_execz .LBB6_2302
; %bb.2297:                             ;   in Loop: Header=BB6_2063 Depth=2
	v_bfe_u32 v3, v2, 23, 8
	v_and_b32_e32 v30, 0x7fffff, v2
	v_sub_nc_u32_e32 v116, 0x78, v3
	v_cmp_gt_u32_e32 vcc_lo, 0x79, v3
	v_or_b32_e32 v43, 0x800000, v30
	v_cndmask_b32_e32 v116, 0, v116, vcc_lo
	v_cmp_eq_u32_e32 vcc_lo, 0, v3
	v_add_nc_u32_e32 v3, 0xffffff89, v3
	v_cndmask_b32_e64 v116, v116, 0x77, vcc_lo
	v_cndmask_b32_e32 v30, v43, v30, vcc_lo
	v_cndmask_b32_e64 v3, v3, 0xffffff8a, vcc_lo
	v_lshl_add_u32 v43, 0x100000, v116, -1
	v_lshrrev_b32_e32 v44, v116, v30
	v_lshlrev_b32_e64 v57, v116, 0x80000
	v_add_nc_u32_e32 v116, v116, v3
	v_and_b32_e32 v30, v43, v30
	v_bfe_u32 v46, v44, 20, 1
	v_cmp_eq_u32_e64 s13, v30, v57
	v_add_nc_u32_e32 v43, -1, v46
	v_cndmask_b32_e64 v30, 0, v43, s13
	v_lshrrev_b32_e32 v43, 23, v44
	s_mov_b32 s13, exec_lo
	v_add_nc_u32_e32 v30, v30, v44
	v_xor_b32_e32 v43, 1, v43
	v_and_b32_e32 v3, 0xfffff, v30
	v_add_nc_u32_e32 v30, v3, v44
                                        ; implicit-def: $vgpr3
	v_cmpx_ne_u32_e64 v116, v43
	s_xor_b32 s13, exec_lo, s13
; %bb.2298:                             ;   in Loop: Header=BB6_2063 Depth=2
	v_cmp_lt_u32_e32 vcc_lo, 0xffffff, v30
	v_sub_nc_u32_e32 v3, v116, v43
	v_cndmask_b32_e64 v116, 0, 1, vcc_lo
	v_add_co_ci_u32_e64 v3, null, 0, v3, vcc_lo
	v_lshrrev_b32_e32 v30, v116, v30
; %bb.2299:                             ;   in Loop: Header=BB6_2063 Depth=2
	s_andn2_saveexec_b32 s13, s13
; %bb.2300:                             ;   in Loop: Header=BB6_2063 Depth=2
	v_bfe_u32 v3, v30, 23, 1
; %bb.2301:                             ;   in Loop: Header=BB6_2063 Depth=2
	s_or_b32 exec_lo, exec_lo, s13
	v_lshrrev_b32_e32 v30, 20, v30
	v_cmp_gt_i32_e32 vcc_lo, 16, v3
	v_min_i32_e32 v116, 15, v3
	v_and_b32_sdwa v2, v2, v59 dst_sel:DWORD dst_unused:UNUSED_PAD src0_sel:BYTE_3 src1_sel:DWORD
	v_cndmask_b32_e32 v30, 7, v30, vcc_lo
	v_lshlrev_b32_e32 v116, 3, v116
	v_and_b32_e32 v43, 7, v30
	v_or_b32_e32 v3, v3, v30
	v_or3_b32 v2, v116, v2, v43
	v_cmp_ne_u32_e32 vcc_lo, 0, v3
	v_cndmask_b32_e32 v88, 0, v2, vcc_lo
.LBB6_2302:                             ;   in Loop: Header=BB6_2063 Depth=2
	s_or_b32 exec_lo, exec_lo, s29
.LBB6_2303:                             ;   in Loop: Header=BB6_2063 Depth=2
	s_or_b32 exec_lo, exec_lo, s28
	v_cmp_gt_i16_sdwa s28, v91, v58 src0_sel:BYTE_0 src1_sel:DWORD
	s_mov_b32 s13, 0
	s_and_saveexec_b32 s29, s28
	s_xor_b32 s28, exec_lo, s29
	s_cbranch_execz .LBB6_2749
; %bb.2304:                             ;   in Loop: Header=BB6_2063 Depth=2
	v_cmp_eq_u16_sdwa s40, v91, v59 src0_sel:BYTE_0 src1_sel:DWORD
	s_mov_b32 s13, -1
	s_and_saveexec_b32 s29, s40
; %bb.2305:                             ;   in Loop: Header=BB6_2063 Depth=2
	s_xor_b32 s13, exec_lo, -1
; %bb.2306:                             ;   in Loop: Header=BB6_2063 Depth=2
	s_or_b32 exec_lo, exec_lo, s29
	s_and_b32 s13, s13, exec_lo
	s_or_saveexec_b32 s28, s28
	v_mov_b32_e32 v2, 0x7f800001
	s_xor_b32 exec_lo, exec_lo, s28
	s_cbranch_execnz .LBB6_2750
.LBB6_2307:                             ;   in Loop: Header=BB6_2063 Depth=2
	s_or_b32 exec_lo, exec_lo, s28
	s_and_saveexec_b32 s28, s13
	s_cbranch_execz .LBB6_2309
.LBB6_2308:                             ;   in Loop: Header=BB6_2063 Depth=2
	v_and_b32_e32 v2, 7, v91
	v_lshrrev_b16 v30, 3, v91
	v_lshlrev_b32_e32 v43, 24, v91
	v_ffbh_u32_e32 v3, v2
	v_and_b32_e32 v30, 15, v30
	v_min_u32_e32 v3, 32, v3
	v_cmp_eq_u32_e32 vcc_lo, 0, v30
	v_subrev_nc_u32_e32 v116, 28, v3
	v_sub_nc_u32_e32 v3, 29, v3
	v_lshlrev_b32_e32 v116, v116, v91
	v_cndmask_b32_e32 v3, v30, v3, vcc_lo
	v_and_b32_e32 v30, 0x80000000, v43
	v_and_b32_e32 v116, 7, v116
	v_lshl_add_u32 v3, v3, 23, 0x3b800000
	v_cndmask_b32_e32 v2, v2, v116, vcc_lo
	v_lshlrev_b32_e32 v2, 20, v2
	v_or3_b32 v2, v30, v3, v2
.LBB6_2309:                             ;   in Loop: Header=BB6_2063 Depth=2
	s_or_b32 exec_lo, exec_lo, s28
	s_waitcnt vmcnt(19) lgkmcnt(19)
	v_cmp_gt_i16_sdwa s28, v108, v58 src0_sel:BYTE_0 src1_sel:DWORD
	s_mov_b32 s13, 0
	s_and_saveexec_b32 s29, s28
	s_xor_b32 s28, exec_lo, s29
	s_cbranch_execz .LBB6_2751
; %bb.2310:                             ;   in Loop: Header=BB6_2063 Depth=2
	v_cmp_eq_u16_sdwa s40, v108, v59 src0_sel:BYTE_0 src1_sel:DWORD
	s_mov_b32 s13, -1
	s_and_saveexec_b32 s29, s40
; %bb.2311:                             ;   in Loop: Header=BB6_2063 Depth=2
	s_xor_b32 s13, exec_lo, -1
; %bb.2312:                             ;   in Loop: Header=BB6_2063 Depth=2
	s_or_b32 exec_lo, exec_lo, s29
	s_and_b32 s13, s13, exec_lo
	s_or_saveexec_b32 s28, s28
	v_mov_b32_e32 v3, 0x7f800001
	s_xor_b32 exec_lo, exec_lo, s28
	s_cbranch_execnz .LBB6_2752
.LBB6_2313:                             ;   in Loop: Header=BB6_2063 Depth=2
	s_or_b32 exec_lo, exec_lo, s28
	s_and_saveexec_b32 s28, s13
	s_cbranch_execz .LBB6_2315
.LBB6_2314:                             ;   in Loop: Header=BB6_2063 Depth=2
	v_and_b32_e32 v3, 7, v108
	v_lshrrev_b16 v116, 3, v108
	v_lshlrev_b32_e32 v44, 24, v108
	v_ffbh_u32_e32 v30, v3
	v_and_b32_e32 v116, 15, v116
	v_min_u32_e32 v30, 32, v30
	v_cmp_eq_u32_e32 vcc_lo, 0, v116
	v_subrev_nc_u32_e32 v43, 28, v30
	v_sub_nc_u32_e32 v30, 29, v30
	v_lshlrev_b32_e32 v43, v43, v108
	v_cndmask_b32_e32 v30, v116, v30, vcc_lo
	v_and_b32_e32 v116, 0x80000000, v44
	v_and_b32_e32 v43, 7, v43
	v_lshl_add_u32 v30, v30, 23, 0x3b800000
	v_cndmask_b32_e32 v3, v3, v43, vcc_lo
	v_lshlrev_b32_e32 v3, 20, v3
	v_or3_b32 v3, v116, v30, v3
.LBB6_2315:                             ;   in Loop: Header=BB6_2063 Depth=2
	s_or_b32 exec_lo, exec_lo, s28
	v_add_f32_e32 v2, v2, v3
	v_mov_b32_e32 v91, 0x80
	s_mov_b32 s28, exec_lo
	v_and_b32_e32 v3, 0x7f800000, v2
	v_cmpx_ne_u32_e32 0x7f800000, v3
	s_cbranch_execz .LBB6_2323
; %bb.2316:                             ;   in Loop: Header=BB6_2063 Depth=2
	v_mov_b32_e32 v91, 0
	s_mov_b32 s29, exec_lo
	v_cmpx_ne_u32_e32 0, v2
	s_cbranch_execz .LBB6_2322
; %bb.2317:                             ;   in Loop: Header=BB6_2063 Depth=2
	v_bfe_u32 v3, v2, 23, 8
	v_and_b32_e32 v30, 0x7fffff, v2
	v_sub_nc_u32_e32 v116, 0x78, v3
	v_cmp_gt_u32_e32 vcc_lo, 0x79, v3
	v_or_b32_e32 v43, 0x800000, v30
	v_cndmask_b32_e32 v116, 0, v116, vcc_lo
	v_cmp_eq_u32_e32 vcc_lo, 0, v3
	v_add_nc_u32_e32 v3, 0xffffff89, v3
	v_cndmask_b32_e64 v116, v116, 0x77, vcc_lo
	v_cndmask_b32_e32 v30, v43, v30, vcc_lo
	v_cndmask_b32_e64 v3, v3, 0xffffff8a, vcc_lo
	v_lshl_add_u32 v43, 0x100000, v116, -1
	v_lshrrev_b32_e32 v44, v116, v30
	v_lshlrev_b32_e64 v57, v116, 0x80000
	v_add_nc_u32_e32 v116, v116, v3
	v_and_b32_e32 v30, v43, v30
	v_bfe_u32 v46, v44, 20, 1
	v_cmp_eq_u32_e64 s13, v30, v57
	v_add_nc_u32_e32 v43, -1, v46
	v_cndmask_b32_e64 v30, 0, v43, s13
	v_lshrrev_b32_e32 v43, 23, v44
	s_mov_b32 s13, exec_lo
	v_add_nc_u32_e32 v30, v30, v44
	v_xor_b32_e32 v43, 1, v43
	v_and_b32_e32 v3, 0xfffff, v30
	v_add_nc_u32_e32 v30, v3, v44
                                        ; implicit-def: $vgpr3
	v_cmpx_ne_u32_e64 v116, v43
	s_xor_b32 s13, exec_lo, s13
; %bb.2318:                             ;   in Loop: Header=BB6_2063 Depth=2
	v_cmp_lt_u32_e32 vcc_lo, 0xffffff, v30
	v_sub_nc_u32_e32 v3, v116, v43
	v_cndmask_b32_e64 v116, 0, 1, vcc_lo
	v_add_co_ci_u32_e64 v3, null, 0, v3, vcc_lo
	v_lshrrev_b32_e32 v30, v116, v30
; %bb.2319:                             ;   in Loop: Header=BB6_2063 Depth=2
	s_andn2_saveexec_b32 s13, s13
; %bb.2320:                             ;   in Loop: Header=BB6_2063 Depth=2
	v_bfe_u32 v3, v30, 23, 1
; %bb.2321:                             ;   in Loop: Header=BB6_2063 Depth=2
	s_or_b32 exec_lo, exec_lo, s13
	v_lshrrev_b32_e32 v30, 20, v30
	v_cmp_gt_i32_e32 vcc_lo, 16, v3
	v_min_i32_e32 v116, 15, v3
	v_and_b32_sdwa v2, v2, v59 dst_sel:DWORD dst_unused:UNUSED_PAD src0_sel:BYTE_3 src1_sel:DWORD
	v_cndmask_b32_e32 v30, 7, v30, vcc_lo
	v_lshlrev_b32_e32 v116, 3, v116
	v_and_b32_e32 v43, 7, v30
	v_or_b32_e32 v3, v3, v30
	v_or3_b32 v2, v116, v2, v43
	v_cmp_ne_u32_e32 vcc_lo, 0, v3
	v_cndmask_b32_e32 v91, 0, v2, vcc_lo
.LBB6_2322:                             ;   in Loop: Header=BB6_2063 Depth=2
	s_or_b32 exec_lo, exec_lo, s29
.LBB6_2323:                             ;   in Loop: Header=BB6_2063 Depth=2
	s_or_b32 exec_lo, exec_lo, s28
	v_cmp_gt_i16_sdwa s28, v94, v58 src0_sel:BYTE_0 src1_sel:DWORD
	s_mov_b32 s13, 0
	s_and_saveexec_b32 s29, s28
	s_xor_b32 s28, exec_lo, s29
	s_cbranch_execz .LBB6_2753
; %bb.2324:                             ;   in Loop: Header=BB6_2063 Depth=2
	v_cmp_eq_u16_sdwa s40, v94, v59 src0_sel:BYTE_0 src1_sel:DWORD
	s_mov_b32 s13, -1
	s_and_saveexec_b32 s29, s40
; %bb.2325:                             ;   in Loop: Header=BB6_2063 Depth=2
	s_xor_b32 s13, exec_lo, -1
; %bb.2326:                             ;   in Loop: Header=BB6_2063 Depth=2
	s_or_b32 exec_lo, exec_lo, s29
	s_and_b32 s13, s13, exec_lo
	s_or_saveexec_b32 s28, s28
	v_mov_b32_e32 v2, 0x7f800001
	s_xor_b32 exec_lo, exec_lo, s28
	s_cbranch_execnz .LBB6_2754
.LBB6_2327:                             ;   in Loop: Header=BB6_2063 Depth=2
	s_or_b32 exec_lo, exec_lo, s28
	s_and_saveexec_b32 s28, s13
	s_cbranch_execz .LBB6_2329
.LBB6_2328:                             ;   in Loop: Header=BB6_2063 Depth=2
	v_and_b32_e32 v2, 7, v94
	v_lshrrev_b16 v30, 3, v94
	v_lshlrev_b32_e32 v43, 24, v94
	v_ffbh_u32_e32 v3, v2
	v_and_b32_e32 v30, 15, v30
	v_min_u32_e32 v3, 32, v3
	v_cmp_eq_u32_e32 vcc_lo, 0, v30
	v_subrev_nc_u32_e32 v116, 28, v3
	v_sub_nc_u32_e32 v3, 29, v3
	v_lshlrev_b32_e32 v116, v116, v94
	v_cndmask_b32_e32 v3, v30, v3, vcc_lo
	v_and_b32_e32 v30, 0x80000000, v43
	v_and_b32_e32 v116, 7, v116
	v_lshl_add_u32 v3, v3, 23, 0x3b800000
	v_cndmask_b32_e32 v2, v2, v116, vcc_lo
	v_lshlrev_b32_e32 v2, 20, v2
	v_or3_b32 v2, v30, v3, v2
.LBB6_2329:                             ;   in Loop: Header=BB6_2063 Depth=2
	s_or_b32 exec_lo, exec_lo, s28
	s_waitcnt vmcnt(18) lgkmcnt(18)
	v_cmp_gt_i16_sdwa s28, v107, v58 src0_sel:BYTE_0 src1_sel:DWORD
	s_mov_b32 s13, 0
	s_and_saveexec_b32 s29, s28
	s_xor_b32 s28, exec_lo, s29
	s_cbranch_execz .LBB6_2755
; %bb.2330:                             ;   in Loop: Header=BB6_2063 Depth=2
	v_cmp_eq_u16_sdwa s40, v107, v59 src0_sel:BYTE_0 src1_sel:DWORD
	s_mov_b32 s13, -1
	s_and_saveexec_b32 s29, s40
; %bb.2331:                             ;   in Loop: Header=BB6_2063 Depth=2
	s_xor_b32 s13, exec_lo, -1
; %bb.2332:                             ;   in Loop: Header=BB6_2063 Depth=2
	s_or_b32 exec_lo, exec_lo, s29
	s_and_b32 s13, s13, exec_lo
	s_or_saveexec_b32 s28, s28
	v_mov_b32_e32 v3, 0x7f800001
	s_xor_b32 exec_lo, exec_lo, s28
	s_cbranch_execnz .LBB6_2756
.LBB6_2333:                             ;   in Loop: Header=BB6_2063 Depth=2
	s_or_b32 exec_lo, exec_lo, s28
	s_and_saveexec_b32 s28, s13
	s_cbranch_execz .LBB6_2335
.LBB6_2334:                             ;   in Loop: Header=BB6_2063 Depth=2
	v_and_b32_e32 v3, 7, v107
	v_lshrrev_b16 v116, 3, v107
	v_lshlrev_b32_e32 v44, 24, v107
	v_ffbh_u32_e32 v30, v3
	v_and_b32_e32 v116, 15, v116
	v_min_u32_e32 v30, 32, v30
	v_cmp_eq_u32_e32 vcc_lo, 0, v116
	v_subrev_nc_u32_e32 v43, 28, v30
	v_sub_nc_u32_e32 v30, 29, v30
	v_lshlrev_b32_e32 v43, v43, v107
	v_cndmask_b32_e32 v30, v116, v30, vcc_lo
	v_and_b32_e32 v116, 0x80000000, v44
	v_and_b32_e32 v43, 7, v43
	v_lshl_add_u32 v30, v30, 23, 0x3b800000
	v_cndmask_b32_e32 v3, v3, v43, vcc_lo
	v_lshlrev_b32_e32 v3, 20, v3
	v_or3_b32 v3, v116, v30, v3
.LBB6_2335:                             ;   in Loop: Header=BB6_2063 Depth=2
	s_or_b32 exec_lo, exec_lo, s28
	v_add_f32_e32 v2, v2, v3
	v_mov_b32_e32 v94, 0x80
	s_mov_b32 s28, exec_lo
	v_and_b32_e32 v3, 0x7f800000, v2
	v_cmpx_ne_u32_e32 0x7f800000, v3
	s_cbranch_execz .LBB6_2343
; %bb.2336:                             ;   in Loop: Header=BB6_2063 Depth=2
	v_mov_b32_e32 v94, 0
	s_mov_b32 s29, exec_lo
	v_cmpx_ne_u32_e32 0, v2
	s_cbranch_execz .LBB6_2342
; %bb.2337:                             ;   in Loop: Header=BB6_2063 Depth=2
	v_bfe_u32 v3, v2, 23, 8
	v_and_b32_e32 v30, 0x7fffff, v2
	v_sub_nc_u32_e32 v116, 0x78, v3
	v_cmp_gt_u32_e32 vcc_lo, 0x79, v3
	v_or_b32_e32 v43, 0x800000, v30
	v_cndmask_b32_e32 v116, 0, v116, vcc_lo
	v_cmp_eq_u32_e32 vcc_lo, 0, v3
	v_add_nc_u32_e32 v3, 0xffffff89, v3
	v_cndmask_b32_e64 v116, v116, 0x77, vcc_lo
	v_cndmask_b32_e32 v30, v43, v30, vcc_lo
	v_cndmask_b32_e64 v3, v3, 0xffffff8a, vcc_lo
	v_lshl_add_u32 v43, 0x100000, v116, -1
	v_lshrrev_b32_e32 v44, v116, v30
	v_lshlrev_b32_e64 v57, v116, 0x80000
	v_add_nc_u32_e32 v116, v116, v3
	v_and_b32_e32 v30, v43, v30
	v_bfe_u32 v46, v44, 20, 1
	v_cmp_eq_u32_e64 s13, v30, v57
	v_add_nc_u32_e32 v43, -1, v46
	v_cndmask_b32_e64 v30, 0, v43, s13
	v_lshrrev_b32_e32 v43, 23, v44
	s_mov_b32 s13, exec_lo
	v_add_nc_u32_e32 v30, v30, v44
	v_xor_b32_e32 v43, 1, v43
	v_and_b32_e32 v3, 0xfffff, v30
	v_add_nc_u32_e32 v30, v3, v44
                                        ; implicit-def: $vgpr3
	v_cmpx_ne_u32_e64 v116, v43
	s_xor_b32 s13, exec_lo, s13
; %bb.2338:                             ;   in Loop: Header=BB6_2063 Depth=2
	v_cmp_lt_u32_e32 vcc_lo, 0xffffff, v30
	v_sub_nc_u32_e32 v3, v116, v43
	v_cndmask_b32_e64 v116, 0, 1, vcc_lo
	v_add_co_ci_u32_e64 v3, null, 0, v3, vcc_lo
	v_lshrrev_b32_e32 v30, v116, v30
; %bb.2339:                             ;   in Loop: Header=BB6_2063 Depth=2
	s_andn2_saveexec_b32 s13, s13
; %bb.2340:                             ;   in Loop: Header=BB6_2063 Depth=2
	v_bfe_u32 v3, v30, 23, 1
; %bb.2341:                             ;   in Loop: Header=BB6_2063 Depth=2
	s_or_b32 exec_lo, exec_lo, s13
	v_lshrrev_b32_e32 v30, 20, v30
	v_cmp_gt_i32_e32 vcc_lo, 16, v3
	v_min_i32_e32 v116, 15, v3
	v_and_b32_sdwa v2, v2, v59 dst_sel:DWORD dst_unused:UNUSED_PAD src0_sel:BYTE_3 src1_sel:DWORD
	v_cndmask_b32_e32 v30, 7, v30, vcc_lo
	v_lshlrev_b32_e32 v116, 3, v116
	v_and_b32_e32 v43, 7, v30
	v_or_b32_e32 v3, v3, v30
	v_or3_b32 v2, v116, v2, v43
	v_cmp_ne_u32_e32 vcc_lo, 0, v3
	v_cndmask_b32_e32 v94, 0, v2, vcc_lo
.LBB6_2342:                             ;   in Loop: Header=BB6_2063 Depth=2
	s_or_b32 exec_lo, exec_lo, s29
.LBB6_2343:                             ;   in Loop: Header=BB6_2063 Depth=2
	s_or_b32 exec_lo, exec_lo, s28
	v_cmp_gt_i16_sdwa s28, v105, v58 src0_sel:BYTE_0 src1_sel:DWORD
	s_mov_b32 s13, 0
	s_and_saveexec_b32 s29, s28
	s_xor_b32 s28, exec_lo, s29
	s_cbranch_execz .LBB6_2757
; %bb.2344:                             ;   in Loop: Header=BB6_2063 Depth=2
	v_cmp_eq_u16_sdwa s40, v105, v59 src0_sel:BYTE_0 src1_sel:DWORD
	s_mov_b32 s13, -1
	s_and_saveexec_b32 s29, s40
; %bb.2345:                             ;   in Loop: Header=BB6_2063 Depth=2
	s_xor_b32 s13, exec_lo, -1
; %bb.2346:                             ;   in Loop: Header=BB6_2063 Depth=2
	s_or_b32 exec_lo, exec_lo, s29
	s_and_b32 s13, s13, exec_lo
	s_or_saveexec_b32 s28, s28
	v_mov_b32_e32 v2, 0x7f800001
	s_xor_b32 exec_lo, exec_lo, s28
	s_cbranch_execnz .LBB6_2758
.LBB6_2347:                             ;   in Loop: Header=BB6_2063 Depth=2
	s_or_b32 exec_lo, exec_lo, s28
	s_and_saveexec_b32 s28, s13
	s_cbranch_execz .LBB6_2349
.LBB6_2348:                             ;   in Loop: Header=BB6_2063 Depth=2
	v_and_b32_e32 v2, 7, v105
	v_lshrrev_b16 v30, 3, v105
	v_lshlrev_b32_e32 v43, 24, v105
	v_ffbh_u32_e32 v3, v2
	v_and_b32_e32 v30, 15, v30
	v_min_u32_e32 v3, 32, v3
	v_cmp_eq_u32_e32 vcc_lo, 0, v30
	v_subrev_nc_u32_e32 v116, 28, v3
	v_sub_nc_u32_e32 v3, 29, v3
	v_lshlrev_b32_e32 v116, v116, v105
	v_cndmask_b32_e32 v3, v30, v3, vcc_lo
	v_and_b32_e32 v30, 0x80000000, v43
	v_and_b32_e32 v116, 7, v116
	v_lshl_add_u32 v3, v3, 23, 0x3b800000
	v_cndmask_b32_e32 v2, v2, v116, vcc_lo
	v_lshlrev_b32_e32 v2, 20, v2
	v_or3_b32 v2, v30, v3, v2
.LBB6_2349:                             ;   in Loop: Header=BB6_2063 Depth=2
	s_or_b32 exec_lo, exec_lo, s28
	s_waitcnt vmcnt(17) lgkmcnt(17)
	v_cmp_gt_i16_sdwa s28, v106, v58 src0_sel:BYTE_0 src1_sel:DWORD
	s_mov_b32 s13, 0
	s_and_saveexec_b32 s29, s28
	s_xor_b32 s28, exec_lo, s29
	s_cbranch_execz .LBB6_2759
; %bb.2350:                             ;   in Loop: Header=BB6_2063 Depth=2
	v_cmp_eq_u16_sdwa s40, v106, v59 src0_sel:BYTE_0 src1_sel:DWORD
	s_mov_b32 s13, -1
	s_and_saveexec_b32 s29, s40
; %bb.2351:                             ;   in Loop: Header=BB6_2063 Depth=2
	s_xor_b32 s13, exec_lo, -1
; %bb.2352:                             ;   in Loop: Header=BB6_2063 Depth=2
	s_or_b32 exec_lo, exec_lo, s29
	s_and_b32 s13, s13, exec_lo
	s_or_saveexec_b32 s28, s28
	v_mov_b32_e32 v3, 0x7f800001
	s_xor_b32 exec_lo, exec_lo, s28
	s_cbranch_execnz .LBB6_2760
.LBB6_2353:                             ;   in Loop: Header=BB6_2063 Depth=2
	s_or_b32 exec_lo, exec_lo, s28
	s_and_saveexec_b32 s28, s13
	s_cbranch_execz .LBB6_2355
.LBB6_2354:                             ;   in Loop: Header=BB6_2063 Depth=2
	v_and_b32_e32 v3, 7, v106
	v_lshrrev_b16 v116, 3, v106
	v_lshlrev_b32_e32 v44, 24, v106
	v_ffbh_u32_e32 v30, v3
	v_and_b32_e32 v116, 15, v116
	v_min_u32_e32 v30, 32, v30
	v_cmp_eq_u32_e32 vcc_lo, 0, v116
	v_subrev_nc_u32_e32 v43, 28, v30
	v_sub_nc_u32_e32 v30, 29, v30
	v_lshlrev_b32_e32 v43, v43, v106
	v_cndmask_b32_e32 v30, v116, v30, vcc_lo
	v_and_b32_e32 v116, 0x80000000, v44
	v_and_b32_e32 v43, 7, v43
	v_lshl_add_u32 v30, v30, 23, 0x3b800000
	v_cndmask_b32_e32 v3, v3, v43, vcc_lo
	v_lshlrev_b32_e32 v3, 20, v3
	v_or3_b32 v3, v116, v30, v3
.LBB6_2355:                             ;   in Loop: Header=BB6_2063 Depth=2
	s_or_b32 exec_lo, exec_lo, s28
	v_add_f32_e32 v2, v2, v3
	v_mov_b32_e32 v105, 0x80
	s_mov_b32 s28, exec_lo
	v_and_b32_e32 v3, 0x7f800000, v2
	v_cmpx_ne_u32_e32 0x7f800000, v3
	s_cbranch_execz .LBB6_2363
; %bb.2356:                             ;   in Loop: Header=BB6_2063 Depth=2
	v_mov_b32_e32 v105, 0
	s_mov_b32 s29, exec_lo
	v_cmpx_ne_u32_e32 0, v2
	s_cbranch_execz .LBB6_2362
; %bb.2357:                             ;   in Loop: Header=BB6_2063 Depth=2
	v_bfe_u32 v3, v2, 23, 8
	v_and_b32_e32 v30, 0x7fffff, v2
	v_sub_nc_u32_e32 v116, 0x78, v3
	v_cmp_gt_u32_e32 vcc_lo, 0x79, v3
	v_or_b32_e32 v43, 0x800000, v30
	v_cndmask_b32_e32 v116, 0, v116, vcc_lo
	v_cmp_eq_u32_e32 vcc_lo, 0, v3
	v_add_nc_u32_e32 v3, 0xffffff89, v3
	v_cndmask_b32_e64 v116, v116, 0x77, vcc_lo
	v_cndmask_b32_e32 v30, v43, v30, vcc_lo
	v_cndmask_b32_e64 v3, v3, 0xffffff8a, vcc_lo
	v_lshl_add_u32 v43, 0x100000, v116, -1
	v_lshrrev_b32_e32 v44, v116, v30
	v_lshlrev_b32_e64 v57, v116, 0x80000
	v_add_nc_u32_e32 v116, v116, v3
	v_and_b32_e32 v30, v43, v30
	v_bfe_u32 v46, v44, 20, 1
	v_cmp_eq_u32_e64 s13, v30, v57
	v_add_nc_u32_e32 v43, -1, v46
	v_cndmask_b32_e64 v30, 0, v43, s13
	v_lshrrev_b32_e32 v43, 23, v44
	s_mov_b32 s13, exec_lo
	v_add_nc_u32_e32 v30, v30, v44
	v_xor_b32_e32 v43, 1, v43
	v_and_b32_e32 v3, 0xfffff, v30
	v_add_nc_u32_e32 v30, v3, v44
                                        ; implicit-def: $vgpr3
	v_cmpx_ne_u32_e64 v116, v43
	s_xor_b32 s13, exec_lo, s13
; %bb.2358:                             ;   in Loop: Header=BB6_2063 Depth=2
	v_cmp_lt_u32_e32 vcc_lo, 0xffffff, v30
	v_sub_nc_u32_e32 v3, v116, v43
	v_cndmask_b32_e64 v116, 0, 1, vcc_lo
	v_add_co_ci_u32_e64 v3, null, 0, v3, vcc_lo
	v_lshrrev_b32_e32 v30, v116, v30
; %bb.2359:                             ;   in Loop: Header=BB6_2063 Depth=2
	s_andn2_saveexec_b32 s13, s13
; %bb.2360:                             ;   in Loop: Header=BB6_2063 Depth=2
	v_bfe_u32 v3, v30, 23, 1
; %bb.2361:                             ;   in Loop: Header=BB6_2063 Depth=2
	s_or_b32 exec_lo, exec_lo, s13
	v_lshrrev_b32_e32 v30, 20, v30
	v_cmp_gt_i32_e32 vcc_lo, 16, v3
	v_min_i32_e32 v116, 15, v3
	v_and_b32_sdwa v2, v2, v59 dst_sel:DWORD dst_unused:UNUSED_PAD src0_sel:BYTE_3 src1_sel:DWORD
	v_cndmask_b32_e32 v30, 7, v30, vcc_lo
	v_lshlrev_b32_e32 v116, 3, v116
	v_and_b32_e32 v43, 7, v30
	v_or_b32_e32 v3, v3, v30
	v_or3_b32 v2, v116, v2, v43
	v_cmp_ne_u32_e32 vcc_lo, 0, v3
	v_cndmask_b32_e32 v105, 0, v2, vcc_lo
.LBB6_2362:                             ;   in Loop: Header=BB6_2063 Depth=2
	s_or_b32 exec_lo, exec_lo, s29
.LBB6_2363:                             ;   in Loop: Header=BB6_2063 Depth=2
	s_or_b32 exec_lo, exec_lo, s28
	v_cmp_gt_i16_sdwa s28, v95, v58 src0_sel:BYTE_0 src1_sel:DWORD
	s_mov_b32 s13, 0
	s_and_saveexec_b32 s29, s28
	s_xor_b32 s28, exec_lo, s29
	s_cbranch_execz .LBB6_2761
; %bb.2364:                             ;   in Loop: Header=BB6_2063 Depth=2
	v_cmp_eq_u16_sdwa s40, v95, v59 src0_sel:BYTE_0 src1_sel:DWORD
	s_mov_b32 s13, -1
	s_and_saveexec_b32 s29, s40
; %bb.2365:                             ;   in Loop: Header=BB6_2063 Depth=2
	s_xor_b32 s13, exec_lo, -1
; %bb.2366:                             ;   in Loop: Header=BB6_2063 Depth=2
	s_or_b32 exec_lo, exec_lo, s29
	s_and_b32 s13, s13, exec_lo
	s_or_saveexec_b32 s28, s28
	v_mov_b32_e32 v2, 0x7f800001
	s_xor_b32 exec_lo, exec_lo, s28
	s_cbranch_execnz .LBB6_2762
.LBB6_2367:                             ;   in Loop: Header=BB6_2063 Depth=2
	s_or_b32 exec_lo, exec_lo, s28
	s_and_saveexec_b32 s28, s13
	s_cbranch_execz .LBB6_2369
.LBB6_2368:                             ;   in Loop: Header=BB6_2063 Depth=2
	v_and_b32_e32 v2, 7, v95
	v_lshrrev_b16 v30, 3, v95
	v_lshlrev_b32_e32 v43, 24, v95
	v_ffbh_u32_e32 v3, v2
	v_and_b32_e32 v30, 15, v30
	v_min_u32_e32 v3, 32, v3
	v_cmp_eq_u32_e32 vcc_lo, 0, v30
	v_subrev_nc_u32_e32 v116, 28, v3
	v_sub_nc_u32_e32 v3, 29, v3
	v_lshlrev_b32_e32 v116, v116, v95
	v_cndmask_b32_e32 v3, v30, v3, vcc_lo
	v_and_b32_e32 v30, 0x80000000, v43
	v_and_b32_e32 v116, 7, v116
	v_lshl_add_u32 v3, v3, 23, 0x3b800000
	v_cndmask_b32_e32 v2, v2, v116, vcc_lo
	v_lshlrev_b32_e32 v2, 20, v2
	v_or3_b32 v2, v30, v3, v2
.LBB6_2369:                             ;   in Loop: Header=BB6_2063 Depth=2
	s_or_b32 exec_lo, exec_lo, s28
	s_waitcnt vmcnt(16) lgkmcnt(16)
	v_cmp_gt_i16_sdwa s28, v104, v58 src0_sel:BYTE_0 src1_sel:DWORD
	s_mov_b32 s13, 0
	s_and_saveexec_b32 s29, s28
	s_xor_b32 s28, exec_lo, s29
	s_cbranch_execz .LBB6_2763
; %bb.2370:                             ;   in Loop: Header=BB6_2063 Depth=2
	v_cmp_eq_u16_sdwa s40, v104, v59 src0_sel:BYTE_0 src1_sel:DWORD
	s_mov_b32 s13, -1
	s_and_saveexec_b32 s29, s40
; %bb.2371:                             ;   in Loop: Header=BB6_2063 Depth=2
	s_xor_b32 s13, exec_lo, -1
; %bb.2372:                             ;   in Loop: Header=BB6_2063 Depth=2
	s_or_b32 exec_lo, exec_lo, s29
	s_and_b32 s13, s13, exec_lo
	s_or_saveexec_b32 s28, s28
	v_mov_b32_e32 v3, 0x7f800001
	s_xor_b32 exec_lo, exec_lo, s28
	s_cbranch_execnz .LBB6_2764
.LBB6_2373:                             ;   in Loop: Header=BB6_2063 Depth=2
	s_or_b32 exec_lo, exec_lo, s28
	s_and_saveexec_b32 s28, s13
	s_cbranch_execz .LBB6_2375
.LBB6_2374:                             ;   in Loop: Header=BB6_2063 Depth=2
	v_and_b32_e32 v3, 7, v104
	v_lshrrev_b16 v116, 3, v104
	v_lshlrev_b32_e32 v44, 24, v104
	v_ffbh_u32_e32 v30, v3
	v_and_b32_e32 v116, 15, v116
	v_min_u32_e32 v30, 32, v30
	v_cmp_eq_u32_e32 vcc_lo, 0, v116
	v_subrev_nc_u32_e32 v43, 28, v30
	v_sub_nc_u32_e32 v30, 29, v30
	v_lshlrev_b32_e32 v43, v43, v104
	v_cndmask_b32_e32 v30, v116, v30, vcc_lo
	v_and_b32_e32 v116, 0x80000000, v44
	v_and_b32_e32 v43, 7, v43
	v_lshl_add_u32 v30, v30, 23, 0x3b800000
	v_cndmask_b32_e32 v3, v3, v43, vcc_lo
	v_lshlrev_b32_e32 v3, 20, v3
	v_or3_b32 v3, v116, v30, v3
.LBB6_2375:                             ;   in Loop: Header=BB6_2063 Depth=2
	s_or_b32 exec_lo, exec_lo, s28
	v_add_f32_e32 v2, v2, v3
	v_mov_b32_e32 v95, 0x80
	s_mov_b32 s28, exec_lo
	v_and_b32_e32 v3, 0x7f800000, v2
	v_cmpx_ne_u32_e32 0x7f800000, v3
	s_cbranch_execz .LBB6_2383
; %bb.2376:                             ;   in Loop: Header=BB6_2063 Depth=2
	v_mov_b32_e32 v95, 0
	s_mov_b32 s29, exec_lo
	v_cmpx_ne_u32_e32 0, v2
	s_cbranch_execz .LBB6_2382
; %bb.2377:                             ;   in Loop: Header=BB6_2063 Depth=2
	v_bfe_u32 v3, v2, 23, 8
	v_and_b32_e32 v30, 0x7fffff, v2
	v_sub_nc_u32_e32 v116, 0x78, v3
	v_cmp_gt_u32_e32 vcc_lo, 0x79, v3
	v_or_b32_e32 v43, 0x800000, v30
	v_cndmask_b32_e32 v116, 0, v116, vcc_lo
	v_cmp_eq_u32_e32 vcc_lo, 0, v3
	v_add_nc_u32_e32 v3, 0xffffff89, v3
	v_cndmask_b32_e64 v116, v116, 0x77, vcc_lo
	v_cndmask_b32_e32 v30, v43, v30, vcc_lo
	v_cndmask_b32_e64 v3, v3, 0xffffff8a, vcc_lo
	v_lshl_add_u32 v43, 0x100000, v116, -1
	v_lshrrev_b32_e32 v44, v116, v30
	v_lshlrev_b32_e64 v57, v116, 0x80000
	v_add_nc_u32_e32 v116, v116, v3
	v_and_b32_e32 v30, v43, v30
	v_bfe_u32 v46, v44, 20, 1
	v_cmp_eq_u32_e64 s13, v30, v57
	v_add_nc_u32_e32 v43, -1, v46
	v_cndmask_b32_e64 v30, 0, v43, s13
	v_lshrrev_b32_e32 v43, 23, v44
	s_mov_b32 s13, exec_lo
	v_add_nc_u32_e32 v30, v30, v44
	v_xor_b32_e32 v43, 1, v43
	v_and_b32_e32 v3, 0xfffff, v30
	v_add_nc_u32_e32 v30, v3, v44
                                        ; implicit-def: $vgpr3
	v_cmpx_ne_u32_e64 v116, v43
	s_xor_b32 s13, exec_lo, s13
; %bb.2378:                             ;   in Loop: Header=BB6_2063 Depth=2
	v_cmp_lt_u32_e32 vcc_lo, 0xffffff, v30
	v_sub_nc_u32_e32 v3, v116, v43
	v_cndmask_b32_e64 v116, 0, 1, vcc_lo
	v_add_co_ci_u32_e64 v3, null, 0, v3, vcc_lo
	v_lshrrev_b32_e32 v30, v116, v30
; %bb.2379:                             ;   in Loop: Header=BB6_2063 Depth=2
	s_andn2_saveexec_b32 s13, s13
; %bb.2380:                             ;   in Loop: Header=BB6_2063 Depth=2
	v_bfe_u32 v3, v30, 23, 1
; %bb.2381:                             ;   in Loop: Header=BB6_2063 Depth=2
	s_or_b32 exec_lo, exec_lo, s13
	v_lshrrev_b32_e32 v30, 20, v30
	v_cmp_gt_i32_e32 vcc_lo, 16, v3
	v_min_i32_e32 v116, 15, v3
	v_and_b32_sdwa v2, v2, v59 dst_sel:DWORD dst_unused:UNUSED_PAD src0_sel:BYTE_3 src1_sel:DWORD
	v_cndmask_b32_e32 v30, 7, v30, vcc_lo
	v_lshlrev_b32_e32 v116, 3, v116
	v_and_b32_e32 v43, 7, v30
	v_or_b32_e32 v3, v3, v30
	v_or3_b32 v2, v116, v2, v43
	v_cmp_ne_u32_e32 vcc_lo, 0, v3
	v_cndmask_b32_e32 v95, 0, v2, vcc_lo
.LBB6_2382:                             ;   in Loop: Header=BB6_2063 Depth=2
	s_or_b32 exec_lo, exec_lo, s29
.LBB6_2383:                             ;   in Loop: Header=BB6_2063 Depth=2
	s_or_b32 exec_lo, exec_lo, s28
	v_cmp_gt_i16_sdwa s28, v92, v58 src0_sel:BYTE_0 src1_sel:DWORD
	s_mov_b32 s13, 0
	s_and_saveexec_b32 s29, s28
	s_xor_b32 s28, exec_lo, s29
	s_cbranch_execz .LBB6_2765
; %bb.2384:                             ;   in Loop: Header=BB6_2063 Depth=2
	v_cmp_eq_u16_sdwa s40, v92, v59 src0_sel:BYTE_0 src1_sel:DWORD
	s_mov_b32 s13, -1
	s_and_saveexec_b32 s29, s40
; %bb.2385:                             ;   in Loop: Header=BB6_2063 Depth=2
	s_xor_b32 s13, exec_lo, -1
; %bb.2386:                             ;   in Loop: Header=BB6_2063 Depth=2
	s_or_b32 exec_lo, exec_lo, s29
	s_and_b32 s13, s13, exec_lo
	s_or_saveexec_b32 s28, s28
	v_mov_b32_e32 v2, 0x7f800001
	s_xor_b32 exec_lo, exec_lo, s28
	s_cbranch_execnz .LBB6_2766
.LBB6_2387:                             ;   in Loop: Header=BB6_2063 Depth=2
	s_or_b32 exec_lo, exec_lo, s28
	s_and_saveexec_b32 s28, s13
	s_cbranch_execz .LBB6_2389
.LBB6_2388:                             ;   in Loop: Header=BB6_2063 Depth=2
	v_and_b32_e32 v2, 7, v92
	v_lshrrev_b16 v30, 3, v92
	v_lshlrev_b32_e32 v43, 24, v92
	v_ffbh_u32_e32 v3, v2
	v_and_b32_e32 v30, 15, v30
	v_min_u32_e32 v3, 32, v3
	v_cmp_eq_u32_e32 vcc_lo, 0, v30
	v_subrev_nc_u32_e32 v116, 28, v3
	v_sub_nc_u32_e32 v3, 29, v3
	v_lshlrev_b32_e32 v116, v116, v92
	v_cndmask_b32_e32 v3, v30, v3, vcc_lo
	v_and_b32_e32 v30, 0x80000000, v43
	v_and_b32_e32 v116, 7, v116
	v_lshl_add_u32 v3, v3, 23, 0x3b800000
	v_cndmask_b32_e32 v2, v2, v116, vcc_lo
	v_lshlrev_b32_e32 v2, 20, v2
	v_or3_b32 v2, v30, v3, v2
.LBB6_2389:                             ;   in Loop: Header=BB6_2063 Depth=2
	s_or_b32 exec_lo, exec_lo, s28
	s_waitcnt vmcnt(15) lgkmcnt(15)
	v_cmp_gt_i16_sdwa s28, v93, v58 src0_sel:BYTE_0 src1_sel:DWORD
	s_mov_b32 s13, 0
	s_and_saveexec_b32 s29, s28
	s_xor_b32 s28, exec_lo, s29
	s_cbranch_execz .LBB6_2767
; %bb.2390:                             ;   in Loop: Header=BB6_2063 Depth=2
	v_cmp_eq_u16_sdwa s40, v93, v59 src0_sel:BYTE_0 src1_sel:DWORD
	s_mov_b32 s13, -1
	s_and_saveexec_b32 s29, s40
; %bb.2391:                             ;   in Loop: Header=BB6_2063 Depth=2
	s_xor_b32 s13, exec_lo, -1
; %bb.2392:                             ;   in Loop: Header=BB6_2063 Depth=2
	s_or_b32 exec_lo, exec_lo, s29
	s_and_b32 s13, s13, exec_lo
	s_or_saveexec_b32 s28, s28
	v_mov_b32_e32 v3, 0x7f800001
	s_xor_b32 exec_lo, exec_lo, s28
	s_cbranch_execnz .LBB6_2768
.LBB6_2393:                             ;   in Loop: Header=BB6_2063 Depth=2
	s_or_b32 exec_lo, exec_lo, s28
	s_and_saveexec_b32 s28, s13
	s_cbranch_execz .LBB6_2395
.LBB6_2394:                             ;   in Loop: Header=BB6_2063 Depth=2
	v_and_b32_e32 v3, 7, v93
	v_lshrrev_b16 v116, 3, v93
	v_lshlrev_b32_e32 v44, 24, v93
	v_ffbh_u32_e32 v30, v3
	v_and_b32_e32 v116, 15, v116
	v_min_u32_e32 v30, 32, v30
	v_cmp_eq_u32_e32 vcc_lo, 0, v116
	v_subrev_nc_u32_e32 v43, 28, v30
	v_sub_nc_u32_e32 v30, 29, v30
	v_lshlrev_b32_e32 v43, v43, v93
	v_cndmask_b32_e32 v30, v116, v30, vcc_lo
	v_and_b32_e32 v116, 0x80000000, v44
	v_and_b32_e32 v43, 7, v43
	v_lshl_add_u32 v30, v30, 23, 0x3b800000
	v_cndmask_b32_e32 v3, v3, v43, vcc_lo
	v_lshlrev_b32_e32 v3, 20, v3
	v_or3_b32 v3, v116, v30, v3
.LBB6_2395:                             ;   in Loop: Header=BB6_2063 Depth=2
	s_or_b32 exec_lo, exec_lo, s28
	v_add_f32_e32 v2, v2, v3
	v_mov_b32_e32 v92, 0x80
	s_mov_b32 s28, exec_lo
	v_and_b32_e32 v3, 0x7f800000, v2
	v_cmpx_ne_u32_e32 0x7f800000, v3
	s_cbranch_execz .LBB6_2403
; %bb.2396:                             ;   in Loop: Header=BB6_2063 Depth=2
	v_mov_b32_e32 v92, 0
	s_mov_b32 s29, exec_lo
	v_cmpx_ne_u32_e32 0, v2
	s_cbranch_execz .LBB6_2402
; %bb.2397:                             ;   in Loop: Header=BB6_2063 Depth=2
	v_bfe_u32 v3, v2, 23, 8
	v_and_b32_e32 v30, 0x7fffff, v2
	v_sub_nc_u32_e32 v116, 0x78, v3
	v_cmp_gt_u32_e32 vcc_lo, 0x79, v3
	v_or_b32_e32 v43, 0x800000, v30
	v_cndmask_b32_e32 v116, 0, v116, vcc_lo
	v_cmp_eq_u32_e32 vcc_lo, 0, v3
	v_add_nc_u32_e32 v3, 0xffffff89, v3
	v_cndmask_b32_e64 v116, v116, 0x77, vcc_lo
	v_cndmask_b32_e32 v30, v43, v30, vcc_lo
	v_cndmask_b32_e64 v3, v3, 0xffffff8a, vcc_lo
	v_lshl_add_u32 v43, 0x100000, v116, -1
	v_lshrrev_b32_e32 v44, v116, v30
	v_lshlrev_b32_e64 v57, v116, 0x80000
	v_add_nc_u32_e32 v116, v116, v3
	v_and_b32_e32 v30, v43, v30
	v_bfe_u32 v46, v44, 20, 1
	v_cmp_eq_u32_e64 s13, v30, v57
	v_add_nc_u32_e32 v43, -1, v46
	v_cndmask_b32_e64 v30, 0, v43, s13
	v_lshrrev_b32_e32 v43, 23, v44
	s_mov_b32 s13, exec_lo
	v_add_nc_u32_e32 v30, v30, v44
	v_xor_b32_e32 v43, 1, v43
	v_and_b32_e32 v3, 0xfffff, v30
	v_add_nc_u32_e32 v30, v3, v44
                                        ; implicit-def: $vgpr3
	v_cmpx_ne_u32_e64 v116, v43
	s_xor_b32 s13, exec_lo, s13
; %bb.2398:                             ;   in Loop: Header=BB6_2063 Depth=2
	v_cmp_lt_u32_e32 vcc_lo, 0xffffff, v30
	v_sub_nc_u32_e32 v3, v116, v43
	v_cndmask_b32_e64 v116, 0, 1, vcc_lo
	v_add_co_ci_u32_e64 v3, null, 0, v3, vcc_lo
	v_lshrrev_b32_e32 v30, v116, v30
; %bb.2399:                             ;   in Loop: Header=BB6_2063 Depth=2
	s_andn2_saveexec_b32 s13, s13
; %bb.2400:                             ;   in Loop: Header=BB6_2063 Depth=2
	v_bfe_u32 v3, v30, 23, 1
; %bb.2401:                             ;   in Loop: Header=BB6_2063 Depth=2
	s_or_b32 exec_lo, exec_lo, s13
	v_lshrrev_b32_e32 v30, 20, v30
	v_cmp_gt_i32_e32 vcc_lo, 16, v3
	v_min_i32_e32 v116, 15, v3
	v_and_b32_sdwa v2, v2, v59 dst_sel:DWORD dst_unused:UNUSED_PAD src0_sel:BYTE_3 src1_sel:DWORD
	v_cndmask_b32_e32 v30, 7, v30, vcc_lo
	v_lshlrev_b32_e32 v116, 3, v116
	v_and_b32_e32 v43, 7, v30
	v_or_b32_e32 v3, v3, v30
	v_or3_b32 v2, v116, v2, v43
	v_cmp_ne_u32_e32 vcc_lo, 0, v3
	v_cndmask_b32_e32 v92, 0, v2, vcc_lo
.LBB6_2402:                             ;   in Loop: Header=BB6_2063 Depth=2
	s_or_b32 exec_lo, exec_lo, s29
.LBB6_2403:                             ;   in Loop: Header=BB6_2063 Depth=2
	s_or_b32 exec_lo, exec_lo, s28
	v_cmp_gt_i16_sdwa s28, v89, v58 src0_sel:BYTE_0 src1_sel:DWORD
	s_mov_b32 s13, 0
	s_and_saveexec_b32 s29, s28
	s_xor_b32 s28, exec_lo, s29
	s_cbranch_execz .LBB6_2769
; %bb.2404:                             ;   in Loop: Header=BB6_2063 Depth=2
	v_cmp_eq_u16_sdwa s40, v89, v59 src0_sel:BYTE_0 src1_sel:DWORD
	s_mov_b32 s13, -1
	s_and_saveexec_b32 s29, s40
; %bb.2405:                             ;   in Loop: Header=BB6_2063 Depth=2
	s_xor_b32 s13, exec_lo, -1
; %bb.2406:                             ;   in Loop: Header=BB6_2063 Depth=2
	s_or_b32 exec_lo, exec_lo, s29
	s_and_b32 s13, s13, exec_lo
	s_or_saveexec_b32 s28, s28
	v_mov_b32_e32 v2, 0x7f800001
	s_xor_b32 exec_lo, exec_lo, s28
	s_cbranch_execnz .LBB6_2770
.LBB6_2407:                             ;   in Loop: Header=BB6_2063 Depth=2
	s_or_b32 exec_lo, exec_lo, s28
	s_and_saveexec_b32 s28, s13
	s_cbranch_execz .LBB6_2409
.LBB6_2408:                             ;   in Loop: Header=BB6_2063 Depth=2
	v_and_b32_e32 v2, 7, v89
	v_lshrrev_b16 v30, 3, v89
	v_lshlrev_b32_e32 v43, 24, v89
	v_ffbh_u32_e32 v3, v2
	v_and_b32_e32 v30, 15, v30
	v_min_u32_e32 v3, 32, v3
	v_cmp_eq_u32_e32 vcc_lo, 0, v30
	v_subrev_nc_u32_e32 v116, 28, v3
	v_sub_nc_u32_e32 v3, 29, v3
	v_lshlrev_b32_e32 v116, v116, v89
	v_cndmask_b32_e32 v3, v30, v3, vcc_lo
	v_and_b32_e32 v30, 0x80000000, v43
	v_and_b32_e32 v116, 7, v116
	v_lshl_add_u32 v3, v3, 23, 0x3b800000
	v_cndmask_b32_e32 v2, v2, v116, vcc_lo
	v_lshlrev_b32_e32 v2, 20, v2
	v_or3_b32 v2, v30, v3, v2
.LBB6_2409:                             ;   in Loop: Header=BB6_2063 Depth=2
	s_or_b32 exec_lo, exec_lo, s28
	s_waitcnt vmcnt(14) lgkmcnt(14)
	v_cmp_gt_i16_sdwa s28, v90, v58 src0_sel:BYTE_0 src1_sel:DWORD
	s_mov_b32 s13, 0
	s_and_saveexec_b32 s29, s28
	s_xor_b32 s28, exec_lo, s29
	s_cbranch_execz .LBB6_2771
; %bb.2410:                             ;   in Loop: Header=BB6_2063 Depth=2
	v_cmp_eq_u16_sdwa s40, v90, v59 src0_sel:BYTE_0 src1_sel:DWORD
	s_mov_b32 s13, -1
	s_and_saveexec_b32 s29, s40
; %bb.2411:                             ;   in Loop: Header=BB6_2063 Depth=2
	s_xor_b32 s13, exec_lo, -1
; %bb.2412:                             ;   in Loop: Header=BB6_2063 Depth=2
	s_or_b32 exec_lo, exec_lo, s29
	s_and_b32 s13, s13, exec_lo
	s_or_saveexec_b32 s28, s28
	v_mov_b32_e32 v3, 0x7f800001
	s_xor_b32 exec_lo, exec_lo, s28
	s_cbranch_execnz .LBB6_2772
.LBB6_2413:                             ;   in Loop: Header=BB6_2063 Depth=2
	s_or_b32 exec_lo, exec_lo, s28
	s_and_saveexec_b32 s28, s13
	s_cbranch_execz .LBB6_2415
.LBB6_2414:                             ;   in Loop: Header=BB6_2063 Depth=2
	v_and_b32_e32 v3, 7, v90
	v_lshrrev_b16 v116, 3, v90
	v_lshlrev_b32_e32 v44, 24, v90
	v_ffbh_u32_e32 v30, v3
	v_and_b32_e32 v116, 15, v116
	v_min_u32_e32 v30, 32, v30
	v_cmp_eq_u32_e32 vcc_lo, 0, v116
	v_subrev_nc_u32_e32 v43, 28, v30
	v_sub_nc_u32_e32 v30, 29, v30
	v_lshlrev_b32_e32 v43, v43, v90
	v_cndmask_b32_e32 v30, v116, v30, vcc_lo
	v_and_b32_e32 v116, 0x80000000, v44
	v_and_b32_e32 v43, 7, v43
	v_lshl_add_u32 v30, v30, 23, 0x3b800000
	v_cndmask_b32_e32 v3, v3, v43, vcc_lo
	v_lshlrev_b32_e32 v3, 20, v3
	v_or3_b32 v3, v116, v30, v3
.LBB6_2415:                             ;   in Loop: Header=BB6_2063 Depth=2
	s_or_b32 exec_lo, exec_lo, s28
	v_add_f32_e32 v2, v2, v3
	v_mov_b32_e32 v89, 0x80
	s_mov_b32 s28, exec_lo
	v_and_b32_e32 v3, 0x7f800000, v2
	v_cmpx_ne_u32_e32 0x7f800000, v3
	s_cbranch_execz .LBB6_2423
; %bb.2416:                             ;   in Loop: Header=BB6_2063 Depth=2
	v_mov_b32_e32 v89, 0
	s_mov_b32 s29, exec_lo
	v_cmpx_ne_u32_e32 0, v2
	s_cbranch_execz .LBB6_2422
; %bb.2417:                             ;   in Loop: Header=BB6_2063 Depth=2
	v_bfe_u32 v3, v2, 23, 8
	v_and_b32_e32 v30, 0x7fffff, v2
	v_sub_nc_u32_e32 v116, 0x78, v3
	v_cmp_gt_u32_e32 vcc_lo, 0x79, v3
	v_or_b32_e32 v43, 0x800000, v30
	v_cndmask_b32_e32 v116, 0, v116, vcc_lo
	v_cmp_eq_u32_e32 vcc_lo, 0, v3
	v_add_nc_u32_e32 v3, 0xffffff89, v3
	v_cndmask_b32_e64 v116, v116, 0x77, vcc_lo
	v_cndmask_b32_e32 v30, v43, v30, vcc_lo
	v_cndmask_b32_e64 v3, v3, 0xffffff8a, vcc_lo
	v_lshl_add_u32 v43, 0x100000, v116, -1
	v_lshrrev_b32_e32 v44, v116, v30
	v_lshlrev_b32_e64 v57, v116, 0x80000
	v_add_nc_u32_e32 v116, v116, v3
	v_and_b32_e32 v30, v43, v30
	v_bfe_u32 v46, v44, 20, 1
	v_cmp_eq_u32_e64 s13, v30, v57
	v_add_nc_u32_e32 v43, -1, v46
	v_cndmask_b32_e64 v30, 0, v43, s13
	v_lshrrev_b32_e32 v43, 23, v44
	s_mov_b32 s13, exec_lo
	v_add_nc_u32_e32 v30, v30, v44
	v_xor_b32_e32 v43, 1, v43
	v_and_b32_e32 v3, 0xfffff, v30
	v_add_nc_u32_e32 v30, v3, v44
                                        ; implicit-def: $vgpr3
	v_cmpx_ne_u32_e64 v116, v43
	s_xor_b32 s13, exec_lo, s13
; %bb.2418:                             ;   in Loop: Header=BB6_2063 Depth=2
	v_cmp_lt_u32_e32 vcc_lo, 0xffffff, v30
	v_sub_nc_u32_e32 v3, v116, v43
	v_cndmask_b32_e64 v116, 0, 1, vcc_lo
	v_add_co_ci_u32_e64 v3, null, 0, v3, vcc_lo
	v_lshrrev_b32_e32 v30, v116, v30
; %bb.2419:                             ;   in Loop: Header=BB6_2063 Depth=2
	s_andn2_saveexec_b32 s13, s13
; %bb.2420:                             ;   in Loop: Header=BB6_2063 Depth=2
	v_bfe_u32 v3, v30, 23, 1
; %bb.2421:                             ;   in Loop: Header=BB6_2063 Depth=2
	s_or_b32 exec_lo, exec_lo, s13
	v_lshrrev_b32_e32 v30, 20, v30
	v_cmp_gt_i32_e32 vcc_lo, 16, v3
	v_min_i32_e32 v116, 15, v3
	v_and_b32_sdwa v2, v2, v59 dst_sel:DWORD dst_unused:UNUSED_PAD src0_sel:BYTE_3 src1_sel:DWORD
	v_cndmask_b32_e32 v30, 7, v30, vcc_lo
	v_lshlrev_b32_e32 v116, 3, v116
	v_and_b32_e32 v43, 7, v30
	v_or_b32_e32 v3, v3, v30
	v_or3_b32 v2, v116, v2, v43
	v_cmp_ne_u32_e32 vcc_lo, 0, v3
	v_cndmask_b32_e32 v89, 0, v2, vcc_lo
.LBB6_2422:                             ;   in Loop: Header=BB6_2063 Depth=2
	s_or_b32 exec_lo, exec_lo, s29
.LBB6_2423:                             ;   in Loop: Header=BB6_2063 Depth=2
	s_or_b32 exec_lo, exec_lo, s28
	v_cmp_gt_i16_sdwa s28, v78, v58 src0_sel:BYTE_0 src1_sel:DWORD
	s_mov_b32 s13, 0
	s_and_saveexec_b32 s29, s28
	s_xor_b32 s28, exec_lo, s29
	s_cbranch_execz .LBB6_2773
; %bb.2424:                             ;   in Loop: Header=BB6_2063 Depth=2
	v_cmp_eq_u16_sdwa s40, v78, v59 src0_sel:BYTE_0 src1_sel:DWORD
	s_mov_b32 s13, -1
	s_and_saveexec_b32 s29, s40
; %bb.2425:                             ;   in Loop: Header=BB6_2063 Depth=2
	s_xor_b32 s13, exec_lo, -1
; %bb.2426:                             ;   in Loop: Header=BB6_2063 Depth=2
	s_or_b32 exec_lo, exec_lo, s29
	s_and_b32 s13, s13, exec_lo
	s_or_saveexec_b32 s28, s28
	v_mov_b32_e32 v2, 0x7f800001
	s_xor_b32 exec_lo, exec_lo, s28
	s_cbranch_execnz .LBB6_2774
.LBB6_2427:                             ;   in Loop: Header=BB6_2063 Depth=2
	s_or_b32 exec_lo, exec_lo, s28
	s_and_saveexec_b32 s28, s13
	s_cbranch_execz .LBB6_2429
.LBB6_2428:                             ;   in Loop: Header=BB6_2063 Depth=2
	v_and_b32_e32 v2, 7, v78
	v_lshrrev_b16 v30, 3, v78
	v_lshlrev_b32_e32 v43, 24, v78
	v_ffbh_u32_e32 v3, v2
	v_and_b32_e32 v30, 15, v30
	v_min_u32_e32 v3, 32, v3
	v_cmp_eq_u32_e32 vcc_lo, 0, v30
	v_subrev_nc_u32_e32 v116, 28, v3
	v_sub_nc_u32_e32 v3, 29, v3
	v_lshlrev_b32_e32 v116, v116, v78
	v_cndmask_b32_e32 v3, v30, v3, vcc_lo
	v_and_b32_e32 v30, 0x80000000, v43
	v_and_b32_e32 v116, 7, v116
	v_lshl_add_u32 v3, v3, 23, 0x3b800000
	v_cndmask_b32_e32 v2, v2, v116, vcc_lo
	v_lshlrev_b32_e32 v2, 20, v2
	v_or3_b32 v2, v30, v3, v2
.LBB6_2429:                             ;   in Loop: Header=BB6_2063 Depth=2
	s_or_b32 exec_lo, exec_lo, s28
	s_waitcnt vmcnt(13) lgkmcnt(13)
	v_cmp_gt_i16_sdwa s28, v79, v58 src0_sel:BYTE_0 src1_sel:DWORD
	s_mov_b32 s13, 0
	s_and_saveexec_b32 s29, s28
	s_xor_b32 s28, exec_lo, s29
	s_cbranch_execz .LBB6_2775
; %bb.2430:                             ;   in Loop: Header=BB6_2063 Depth=2
	v_cmp_eq_u16_sdwa s40, v79, v59 src0_sel:BYTE_0 src1_sel:DWORD
	s_mov_b32 s13, -1
	s_and_saveexec_b32 s29, s40
; %bb.2431:                             ;   in Loop: Header=BB6_2063 Depth=2
	s_xor_b32 s13, exec_lo, -1
; %bb.2432:                             ;   in Loop: Header=BB6_2063 Depth=2
	s_or_b32 exec_lo, exec_lo, s29
	s_and_b32 s13, s13, exec_lo
	s_or_saveexec_b32 s28, s28
	v_mov_b32_e32 v3, 0x7f800001
	s_xor_b32 exec_lo, exec_lo, s28
	s_cbranch_execnz .LBB6_2776
.LBB6_2433:                             ;   in Loop: Header=BB6_2063 Depth=2
	s_or_b32 exec_lo, exec_lo, s28
	s_and_saveexec_b32 s28, s13
	s_cbranch_execz .LBB6_2435
.LBB6_2434:                             ;   in Loop: Header=BB6_2063 Depth=2
	v_and_b32_e32 v3, 7, v79
	v_lshrrev_b16 v116, 3, v79
	v_lshlrev_b32_e32 v44, 24, v79
	v_ffbh_u32_e32 v30, v3
	v_and_b32_e32 v116, 15, v116
	v_min_u32_e32 v30, 32, v30
	v_cmp_eq_u32_e32 vcc_lo, 0, v116
	v_subrev_nc_u32_e32 v43, 28, v30
	v_sub_nc_u32_e32 v30, 29, v30
	v_lshlrev_b32_e32 v43, v43, v79
	v_cndmask_b32_e32 v30, v116, v30, vcc_lo
	v_and_b32_e32 v116, 0x80000000, v44
	v_and_b32_e32 v43, 7, v43
	v_lshl_add_u32 v30, v30, 23, 0x3b800000
	v_cndmask_b32_e32 v3, v3, v43, vcc_lo
	v_lshlrev_b32_e32 v3, 20, v3
	v_or3_b32 v3, v116, v30, v3
.LBB6_2435:                             ;   in Loop: Header=BB6_2063 Depth=2
	s_or_b32 exec_lo, exec_lo, s28
	v_add_f32_e32 v2, v2, v3
	v_mov_b32_e32 v78, 0x80
	s_mov_b32 s28, exec_lo
	v_and_b32_e32 v3, 0x7f800000, v2
	v_cmpx_ne_u32_e32 0x7f800000, v3
	s_cbranch_execz .LBB6_2443
; %bb.2436:                             ;   in Loop: Header=BB6_2063 Depth=2
	v_mov_b32_e32 v78, 0
	s_mov_b32 s29, exec_lo
	v_cmpx_ne_u32_e32 0, v2
	s_cbranch_execz .LBB6_2442
; %bb.2437:                             ;   in Loop: Header=BB6_2063 Depth=2
	v_bfe_u32 v3, v2, 23, 8
	v_and_b32_e32 v30, 0x7fffff, v2
	v_sub_nc_u32_e32 v116, 0x78, v3
	v_cmp_gt_u32_e32 vcc_lo, 0x79, v3
	v_or_b32_e32 v43, 0x800000, v30
	v_cndmask_b32_e32 v116, 0, v116, vcc_lo
	v_cmp_eq_u32_e32 vcc_lo, 0, v3
	v_add_nc_u32_e32 v3, 0xffffff89, v3
	v_cndmask_b32_e64 v116, v116, 0x77, vcc_lo
	v_cndmask_b32_e32 v30, v43, v30, vcc_lo
	v_cndmask_b32_e64 v3, v3, 0xffffff8a, vcc_lo
	v_lshl_add_u32 v43, 0x100000, v116, -1
	v_lshrrev_b32_e32 v44, v116, v30
	v_lshlrev_b32_e64 v57, v116, 0x80000
	v_add_nc_u32_e32 v116, v116, v3
	v_and_b32_e32 v30, v43, v30
	v_bfe_u32 v46, v44, 20, 1
	v_cmp_eq_u32_e64 s13, v30, v57
	v_add_nc_u32_e32 v43, -1, v46
	v_cndmask_b32_e64 v30, 0, v43, s13
	v_lshrrev_b32_e32 v43, 23, v44
	s_mov_b32 s13, exec_lo
	v_add_nc_u32_e32 v30, v30, v44
	v_xor_b32_e32 v43, 1, v43
	v_and_b32_e32 v3, 0xfffff, v30
	v_add_nc_u32_e32 v30, v3, v44
                                        ; implicit-def: $vgpr3
	v_cmpx_ne_u32_e64 v116, v43
	s_xor_b32 s13, exec_lo, s13
; %bb.2438:                             ;   in Loop: Header=BB6_2063 Depth=2
	v_cmp_lt_u32_e32 vcc_lo, 0xffffff, v30
	v_sub_nc_u32_e32 v3, v116, v43
	v_cndmask_b32_e64 v116, 0, 1, vcc_lo
	v_add_co_ci_u32_e64 v3, null, 0, v3, vcc_lo
	v_lshrrev_b32_e32 v30, v116, v30
; %bb.2439:                             ;   in Loop: Header=BB6_2063 Depth=2
	s_andn2_saveexec_b32 s13, s13
; %bb.2440:                             ;   in Loop: Header=BB6_2063 Depth=2
	v_bfe_u32 v3, v30, 23, 1
; %bb.2441:                             ;   in Loop: Header=BB6_2063 Depth=2
	s_or_b32 exec_lo, exec_lo, s13
	v_lshrrev_b32_e32 v30, 20, v30
	v_cmp_gt_i32_e32 vcc_lo, 16, v3
	v_min_i32_e32 v116, 15, v3
	v_and_b32_sdwa v2, v2, v59 dst_sel:DWORD dst_unused:UNUSED_PAD src0_sel:BYTE_3 src1_sel:DWORD
	v_cndmask_b32_e32 v30, 7, v30, vcc_lo
	v_lshlrev_b32_e32 v116, 3, v116
	v_and_b32_e32 v43, 7, v30
	v_or_b32_e32 v3, v3, v30
	v_or3_b32 v2, v116, v2, v43
	v_cmp_ne_u32_e32 vcc_lo, 0, v3
	v_cndmask_b32_e32 v78, 0, v2, vcc_lo
.LBB6_2442:                             ;   in Loop: Header=BB6_2063 Depth=2
	s_or_b32 exec_lo, exec_lo, s29
.LBB6_2443:                             ;   in Loop: Header=BB6_2063 Depth=2
	s_or_b32 exec_lo, exec_lo, s28
	v_cmp_gt_i16_sdwa s28, v75, v58 src0_sel:BYTE_0 src1_sel:DWORD
	s_mov_b32 s13, 0
	s_and_saveexec_b32 s29, s28
	s_xor_b32 s28, exec_lo, s29
	s_cbranch_execz .LBB6_2777
; %bb.2444:                             ;   in Loop: Header=BB6_2063 Depth=2
	v_cmp_eq_u16_sdwa s40, v75, v59 src0_sel:BYTE_0 src1_sel:DWORD
	s_mov_b32 s13, -1
	s_and_saveexec_b32 s29, s40
; %bb.2445:                             ;   in Loop: Header=BB6_2063 Depth=2
	s_xor_b32 s13, exec_lo, -1
; %bb.2446:                             ;   in Loop: Header=BB6_2063 Depth=2
	s_or_b32 exec_lo, exec_lo, s29
	s_and_b32 s13, s13, exec_lo
	s_or_saveexec_b32 s28, s28
	v_mov_b32_e32 v2, 0x7f800001
	s_xor_b32 exec_lo, exec_lo, s28
	s_cbranch_execnz .LBB6_2778
.LBB6_2447:                             ;   in Loop: Header=BB6_2063 Depth=2
	s_or_b32 exec_lo, exec_lo, s28
	s_and_saveexec_b32 s28, s13
	s_cbranch_execz .LBB6_2449
.LBB6_2448:                             ;   in Loop: Header=BB6_2063 Depth=2
	v_and_b32_e32 v2, 7, v75
	v_lshrrev_b16 v30, 3, v75
	v_lshlrev_b32_e32 v43, 24, v75
	v_ffbh_u32_e32 v3, v2
	v_and_b32_e32 v30, 15, v30
	v_min_u32_e32 v3, 32, v3
	v_cmp_eq_u32_e32 vcc_lo, 0, v30
	v_subrev_nc_u32_e32 v116, 28, v3
	v_sub_nc_u32_e32 v3, 29, v3
	v_lshlrev_b32_e32 v116, v116, v75
	v_cndmask_b32_e32 v3, v30, v3, vcc_lo
	v_and_b32_e32 v30, 0x80000000, v43
	v_and_b32_e32 v116, 7, v116
	v_lshl_add_u32 v3, v3, 23, 0x3b800000
	v_cndmask_b32_e32 v2, v2, v116, vcc_lo
	v_lshlrev_b32_e32 v2, 20, v2
	v_or3_b32 v2, v30, v3, v2
.LBB6_2449:                             ;   in Loop: Header=BB6_2063 Depth=2
	s_or_b32 exec_lo, exec_lo, s28
	s_waitcnt vmcnt(12) lgkmcnt(12)
	v_cmp_gt_i16_sdwa s28, v76, v58 src0_sel:BYTE_0 src1_sel:DWORD
	s_mov_b32 s13, 0
	s_and_saveexec_b32 s29, s28
	s_xor_b32 s28, exec_lo, s29
	s_cbranch_execz .LBB6_2779
; %bb.2450:                             ;   in Loop: Header=BB6_2063 Depth=2
	v_cmp_eq_u16_sdwa s40, v76, v59 src0_sel:BYTE_0 src1_sel:DWORD
	s_mov_b32 s13, -1
	s_and_saveexec_b32 s29, s40
; %bb.2451:                             ;   in Loop: Header=BB6_2063 Depth=2
	s_xor_b32 s13, exec_lo, -1
; %bb.2452:                             ;   in Loop: Header=BB6_2063 Depth=2
	s_or_b32 exec_lo, exec_lo, s29
	s_and_b32 s13, s13, exec_lo
	s_or_saveexec_b32 s28, s28
	v_mov_b32_e32 v3, 0x7f800001
	s_xor_b32 exec_lo, exec_lo, s28
	s_cbranch_execnz .LBB6_2780
.LBB6_2453:                             ;   in Loop: Header=BB6_2063 Depth=2
	s_or_b32 exec_lo, exec_lo, s28
	s_and_saveexec_b32 s28, s13
	s_cbranch_execz .LBB6_2455
.LBB6_2454:                             ;   in Loop: Header=BB6_2063 Depth=2
	v_and_b32_e32 v3, 7, v76
	v_lshrrev_b16 v116, 3, v76
	v_lshlrev_b32_e32 v44, 24, v76
	v_ffbh_u32_e32 v30, v3
	v_and_b32_e32 v116, 15, v116
	v_min_u32_e32 v30, 32, v30
	v_cmp_eq_u32_e32 vcc_lo, 0, v116
	v_subrev_nc_u32_e32 v43, 28, v30
	v_sub_nc_u32_e32 v30, 29, v30
	v_lshlrev_b32_e32 v43, v43, v76
	v_cndmask_b32_e32 v30, v116, v30, vcc_lo
	v_and_b32_e32 v116, 0x80000000, v44
	v_and_b32_e32 v43, 7, v43
	v_lshl_add_u32 v30, v30, 23, 0x3b800000
	v_cndmask_b32_e32 v3, v3, v43, vcc_lo
	v_lshlrev_b32_e32 v3, 20, v3
	v_or3_b32 v3, v116, v30, v3
.LBB6_2455:                             ;   in Loop: Header=BB6_2063 Depth=2
	s_or_b32 exec_lo, exec_lo, s28
	v_add_f32_e32 v2, v2, v3
	v_mov_b32_e32 v75, 0x80
	s_mov_b32 s28, exec_lo
	v_and_b32_e32 v3, 0x7f800000, v2
	v_cmpx_ne_u32_e32 0x7f800000, v3
	s_cbranch_execz .LBB6_2463
; %bb.2456:                             ;   in Loop: Header=BB6_2063 Depth=2
	v_mov_b32_e32 v75, 0
	s_mov_b32 s29, exec_lo
	v_cmpx_ne_u32_e32 0, v2
	s_cbranch_execz .LBB6_2462
; %bb.2457:                             ;   in Loop: Header=BB6_2063 Depth=2
	v_bfe_u32 v3, v2, 23, 8
	v_and_b32_e32 v30, 0x7fffff, v2
	v_sub_nc_u32_e32 v116, 0x78, v3
	v_cmp_gt_u32_e32 vcc_lo, 0x79, v3
	v_or_b32_e32 v43, 0x800000, v30
	v_cndmask_b32_e32 v116, 0, v116, vcc_lo
	v_cmp_eq_u32_e32 vcc_lo, 0, v3
	v_add_nc_u32_e32 v3, 0xffffff89, v3
	v_cndmask_b32_e64 v116, v116, 0x77, vcc_lo
	v_cndmask_b32_e32 v30, v43, v30, vcc_lo
	v_cndmask_b32_e64 v3, v3, 0xffffff8a, vcc_lo
	v_lshl_add_u32 v43, 0x100000, v116, -1
	v_lshrrev_b32_e32 v44, v116, v30
	v_lshlrev_b32_e64 v57, v116, 0x80000
	v_add_nc_u32_e32 v116, v116, v3
	v_and_b32_e32 v30, v43, v30
	v_bfe_u32 v46, v44, 20, 1
	v_cmp_eq_u32_e64 s13, v30, v57
	v_add_nc_u32_e32 v43, -1, v46
	v_cndmask_b32_e64 v30, 0, v43, s13
	v_lshrrev_b32_e32 v43, 23, v44
	s_mov_b32 s13, exec_lo
	v_add_nc_u32_e32 v30, v30, v44
	v_xor_b32_e32 v43, 1, v43
	v_and_b32_e32 v3, 0xfffff, v30
	v_add_nc_u32_e32 v30, v3, v44
                                        ; implicit-def: $vgpr3
	v_cmpx_ne_u32_e64 v116, v43
	s_xor_b32 s13, exec_lo, s13
; %bb.2458:                             ;   in Loop: Header=BB6_2063 Depth=2
	v_cmp_lt_u32_e32 vcc_lo, 0xffffff, v30
	v_sub_nc_u32_e32 v3, v116, v43
	v_cndmask_b32_e64 v116, 0, 1, vcc_lo
	v_add_co_ci_u32_e64 v3, null, 0, v3, vcc_lo
	v_lshrrev_b32_e32 v30, v116, v30
; %bb.2459:                             ;   in Loop: Header=BB6_2063 Depth=2
	s_andn2_saveexec_b32 s13, s13
; %bb.2460:                             ;   in Loop: Header=BB6_2063 Depth=2
	v_bfe_u32 v3, v30, 23, 1
; %bb.2461:                             ;   in Loop: Header=BB6_2063 Depth=2
	s_or_b32 exec_lo, exec_lo, s13
	v_lshrrev_b32_e32 v30, 20, v30
	v_cmp_gt_i32_e32 vcc_lo, 16, v3
	v_min_i32_e32 v116, 15, v3
	v_and_b32_sdwa v2, v2, v59 dst_sel:DWORD dst_unused:UNUSED_PAD src0_sel:BYTE_3 src1_sel:DWORD
	v_cndmask_b32_e32 v30, 7, v30, vcc_lo
	v_lshlrev_b32_e32 v116, 3, v116
	v_and_b32_e32 v43, 7, v30
	v_or_b32_e32 v3, v3, v30
	v_or3_b32 v2, v116, v2, v43
	v_cmp_ne_u32_e32 vcc_lo, 0, v3
	v_cndmask_b32_e32 v75, 0, v2, vcc_lo
.LBB6_2462:                             ;   in Loop: Header=BB6_2063 Depth=2
	s_or_b32 exec_lo, exec_lo, s29
.LBB6_2463:                             ;   in Loop: Header=BB6_2063 Depth=2
	s_or_b32 exec_lo, exec_lo, s28
	v_cmp_gt_i16_sdwa s28, v72, v58 src0_sel:BYTE_0 src1_sel:DWORD
	s_mov_b32 s13, 0
	s_and_saveexec_b32 s29, s28
	s_xor_b32 s28, exec_lo, s29
	s_cbranch_execz .LBB6_2781
; %bb.2464:                             ;   in Loop: Header=BB6_2063 Depth=2
	v_cmp_eq_u16_sdwa s40, v72, v59 src0_sel:BYTE_0 src1_sel:DWORD
	s_mov_b32 s13, -1
	s_and_saveexec_b32 s29, s40
; %bb.2465:                             ;   in Loop: Header=BB6_2063 Depth=2
	s_xor_b32 s13, exec_lo, -1
; %bb.2466:                             ;   in Loop: Header=BB6_2063 Depth=2
	s_or_b32 exec_lo, exec_lo, s29
	s_and_b32 s13, s13, exec_lo
	s_or_saveexec_b32 s28, s28
	v_mov_b32_e32 v2, 0x7f800001
	s_xor_b32 exec_lo, exec_lo, s28
	s_cbranch_execnz .LBB6_2782
.LBB6_2467:                             ;   in Loop: Header=BB6_2063 Depth=2
	s_or_b32 exec_lo, exec_lo, s28
	s_and_saveexec_b32 s28, s13
	s_cbranch_execz .LBB6_2469
.LBB6_2468:                             ;   in Loop: Header=BB6_2063 Depth=2
	v_and_b32_e32 v2, 7, v72
	v_lshrrev_b16 v30, 3, v72
	v_lshlrev_b32_e32 v43, 24, v72
	v_ffbh_u32_e32 v3, v2
	v_and_b32_e32 v30, 15, v30
	v_min_u32_e32 v3, 32, v3
	v_cmp_eq_u32_e32 vcc_lo, 0, v30
	v_subrev_nc_u32_e32 v116, 28, v3
	v_sub_nc_u32_e32 v3, 29, v3
	v_lshlrev_b32_e32 v116, v116, v72
	v_cndmask_b32_e32 v3, v30, v3, vcc_lo
	v_and_b32_e32 v30, 0x80000000, v43
	v_and_b32_e32 v116, 7, v116
	v_lshl_add_u32 v3, v3, 23, 0x3b800000
	v_cndmask_b32_e32 v2, v2, v116, vcc_lo
	v_lshlrev_b32_e32 v2, 20, v2
	v_or3_b32 v2, v30, v3, v2
.LBB6_2469:                             ;   in Loop: Header=BB6_2063 Depth=2
	s_or_b32 exec_lo, exec_lo, s28
	s_waitcnt vmcnt(11) lgkmcnt(11)
	v_cmp_gt_i16_sdwa s28, v73, v58 src0_sel:BYTE_0 src1_sel:DWORD
	s_mov_b32 s13, 0
	s_and_saveexec_b32 s29, s28
	s_xor_b32 s28, exec_lo, s29
	s_cbranch_execz .LBB6_2783
; %bb.2470:                             ;   in Loop: Header=BB6_2063 Depth=2
	v_cmp_eq_u16_sdwa s40, v73, v59 src0_sel:BYTE_0 src1_sel:DWORD
	s_mov_b32 s13, -1
	s_and_saveexec_b32 s29, s40
; %bb.2471:                             ;   in Loop: Header=BB6_2063 Depth=2
	s_xor_b32 s13, exec_lo, -1
; %bb.2472:                             ;   in Loop: Header=BB6_2063 Depth=2
	s_or_b32 exec_lo, exec_lo, s29
	s_and_b32 s13, s13, exec_lo
	s_or_saveexec_b32 s28, s28
	v_mov_b32_e32 v3, 0x7f800001
	s_xor_b32 exec_lo, exec_lo, s28
	s_cbranch_execnz .LBB6_2784
.LBB6_2473:                             ;   in Loop: Header=BB6_2063 Depth=2
	s_or_b32 exec_lo, exec_lo, s28
	s_and_saveexec_b32 s28, s13
	s_cbranch_execz .LBB6_2475
.LBB6_2474:                             ;   in Loop: Header=BB6_2063 Depth=2
	v_and_b32_e32 v3, 7, v73
	v_lshrrev_b16 v116, 3, v73
	v_lshlrev_b32_e32 v44, 24, v73
	v_ffbh_u32_e32 v30, v3
	v_and_b32_e32 v116, 15, v116
	v_min_u32_e32 v30, 32, v30
	v_cmp_eq_u32_e32 vcc_lo, 0, v116
	v_subrev_nc_u32_e32 v43, 28, v30
	v_sub_nc_u32_e32 v30, 29, v30
	v_lshlrev_b32_e32 v43, v43, v73
	v_cndmask_b32_e32 v30, v116, v30, vcc_lo
	v_and_b32_e32 v116, 0x80000000, v44
	v_and_b32_e32 v43, 7, v43
	v_lshl_add_u32 v30, v30, 23, 0x3b800000
	v_cndmask_b32_e32 v3, v3, v43, vcc_lo
	v_lshlrev_b32_e32 v3, 20, v3
	v_or3_b32 v3, v116, v30, v3
.LBB6_2475:                             ;   in Loop: Header=BB6_2063 Depth=2
	s_or_b32 exec_lo, exec_lo, s28
	v_add_f32_e32 v2, v2, v3
	v_mov_b32_e32 v72, 0x80
	s_mov_b32 s28, exec_lo
	v_and_b32_e32 v3, 0x7f800000, v2
	v_cmpx_ne_u32_e32 0x7f800000, v3
	s_cbranch_execz .LBB6_2483
; %bb.2476:                             ;   in Loop: Header=BB6_2063 Depth=2
	v_mov_b32_e32 v72, 0
	s_mov_b32 s29, exec_lo
	v_cmpx_ne_u32_e32 0, v2
	s_cbranch_execz .LBB6_2482
; %bb.2477:                             ;   in Loop: Header=BB6_2063 Depth=2
	v_bfe_u32 v3, v2, 23, 8
	v_and_b32_e32 v30, 0x7fffff, v2
	v_sub_nc_u32_e32 v116, 0x78, v3
	v_cmp_gt_u32_e32 vcc_lo, 0x79, v3
	v_or_b32_e32 v43, 0x800000, v30
	v_cndmask_b32_e32 v116, 0, v116, vcc_lo
	v_cmp_eq_u32_e32 vcc_lo, 0, v3
	v_add_nc_u32_e32 v3, 0xffffff89, v3
	v_cndmask_b32_e64 v116, v116, 0x77, vcc_lo
	v_cndmask_b32_e32 v30, v43, v30, vcc_lo
	v_cndmask_b32_e64 v3, v3, 0xffffff8a, vcc_lo
	v_lshl_add_u32 v43, 0x100000, v116, -1
	v_lshrrev_b32_e32 v44, v116, v30
	v_lshlrev_b32_e64 v57, v116, 0x80000
	v_add_nc_u32_e32 v116, v116, v3
	v_and_b32_e32 v30, v43, v30
	v_bfe_u32 v46, v44, 20, 1
	v_cmp_eq_u32_e64 s13, v30, v57
	v_add_nc_u32_e32 v43, -1, v46
	v_cndmask_b32_e64 v30, 0, v43, s13
	v_lshrrev_b32_e32 v43, 23, v44
	s_mov_b32 s13, exec_lo
	v_add_nc_u32_e32 v30, v30, v44
	v_xor_b32_e32 v43, 1, v43
	v_and_b32_e32 v3, 0xfffff, v30
	v_add_nc_u32_e32 v30, v3, v44
                                        ; implicit-def: $vgpr3
	v_cmpx_ne_u32_e64 v116, v43
	s_xor_b32 s13, exec_lo, s13
; %bb.2478:                             ;   in Loop: Header=BB6_2063 Depth=2
	v_cmp_lt_u32_e32 vcc_lo, 0xffffff, v30
	v_sub_nc_u32_e32 v3, v116, v43
	v_cndmask_b32_e64 v116, 0, 1, vcc_lo
	v_add_co_ci_u32_e64 v3, null, 0, v3, vcc_lo
	v_lshrrev_b32_e32 v30, v116, v30
; %bb.2479:                             ;   in Loop: Header=BB6_2063 Depth=2
	s_andn2_saveexec_b32 s13, s13
; %bb.2480:                             ;   in Loop: Header=BB6_2063 Depth=2
	v_bfe_u32 v3, v30, 23, 1
; %bb.2481:                             ;   in Loop: Header=BB6_2063 Depth=2
	s_or_b32 exec_lo, exec_lo, s13
	v_lshrrev_b32_e32 v30, 20, v30
	v_cmp_gt_i32_e32 vcc_lo, 16, v3
	v_min_i32_e32 v116, 15, v3
	v_and_b32_sdwa v2, v2, v59 dst_sel:DWORD dst_unused:UNUSED_PAD src0_sel:BYTE_3 src1_sel:DWORD
	v_cndmask_b32_e32 v30, 7, v30, vcc_lo
	v_lshlrev_b32_e32 v116, 3, v116
	v_and_b32_e32 v43, 7, v30
	v_or_b32_e32 v3, v3, v30
	v_or3_b32 v2, v116, v2, v43
	v_cmp_ne_u32_e32 vcc_lo, 0, v3
	v_cndmask_b32_e32 v72, 0, v2, vcc_lo
.LBB6_2482:                             ;   in Loop: Header=BB6_2063 Depth=2
	s_or_b32 exec_lo, exec_lo, s29
.LBB6_2483:                             ;   in Loop: Header=BB6_2063 Depth=2
	s_or_b32 exec_lo, exec_lo, s28
	v_cmp_gt_i16_sdwa s28, v113, v58 src0_sel:BYTE_0 src1_sel:DWORD
	s_mov_b32 s13, 0
	s_and_saveexec_b32 s29, s28
	s_xor_b32 s28, exec_lo, s29
	s_cbranch_execz .LBB6_2785
; %bb.2484:                             ;   in Loop: Header=BB6_2063 Depth=2
	v_cmp_eq_u16_sdwa s40, v113, v59 src0_sel:BYTE_0 src1_sel:DWORD
	s_mov_b32 s13, -1
	s_and_saveexec_b32 s29, s40
; %bb.2485:                             ;   in Loop: Header=BB6_2063 Depth=2
	s_xor_b32 s13, exec_lo, -1
; %bb.2486:                             ;   in Loop: Header=BB6_2063 Depth=2
	s_or_b32 exec_lo, exec_lo, s29
	s_and_b32 s13, s13, exec_lo
	s_or_saveexec_b32 s28, s28
	v_mov_b32_e32 v2, 0x7f800001
	s_xor_b32 exec_lo, exec_lo, s28
	s_cbranch_execnz .LBB6_2786
.LBB6_2487:                             ;   in Loop: Header=BB6_2063 Depth=2
	s_or_b32 exec_lo, exec_lo, s28
	s_and_saveexec_b32 s28, s13
	s_cbranch_execz .LBB6_2489
.LBB6_2488:                             ;   in Loop: Header=BB6_2063 Depth=2
	v_and_b32_e32 v2, 7, v113
	v_lshrrev_b16 v30, 3, v113
	v_ffbh_u32_e32 v3, v2
	v_and_b32_e32 v30, 15, v30
	v_min_u32_e32 v3, 32, v3
	v_cmp_eq_u32_e32 vcc_lo, 0, v30
	v_subrev_nc_u32_e32 v116, 28, v3
	v_sub_nc_u32_e32 v3, 29, v3
	v_lshlrev_b32_e32 v116, v116, v113
	v_lshlrev_b32_e32 v113, 24, v113
	v_cndmask_b32_e32 v3, v30, v3, vcc_lo
	v_and_b32_e32 v116, 7, v116
	v_and_b32_e32 v30, 0x80000000, v113
	v_lshl_add_u32 v3, v3, 23, 0x3b800000
	v_cndmask_b32_e32 v2, v2, v116, vcc_lo
	v_lshlrev_b32_e32 v2, 20, v2
	v_or3_b32 v2, v30, v3, v2
.LBB6_2489:                             ;   in Loop: Header=BB6_2063 Depth=2
	s_or_b32 exec_lo, exec_lo, s28
	s_waitcnt vmcnt(10) lgkmcnt(10)
	v_cmp_gt_i16_sdwa s28, v114, v58 src0_sel:BYTE_0 src1_sel:DWORD
	s_mov_b32 s13, 0
	s_and_saveexec_b32 s29, s28
	s_xor_b32 s28, exec_lo, s29
	s_cbranch_execz .LBB6_2787
; %bb.2490:                             ;   in Loop: Header=BB6_2063 Depth=2
	v_cmp_eq_u16_sdwa s40, v114, v59 src0_sel:BYTE_0 src1_sel:DWORD
	s_mov_b32 s13, -1
	s_and_saveexec_b32 s29, s40
; %bb.2491:                             ;   in Loop: Header=BB6_2063 Depth=2
	s_xor_b32 s13, exec_lo, -1
; %bb.2492:                             ;   in Loop: Header=BB6_2063 Depth=2
	s_or_b32 exec_lo, exec_lo, s29
	s_and_b32 s13, s13, exec_lo
	s_or_saveexec_b32 s28, s28
	v_mov_b32_e32 v3, 0x7f800001
	s_xor_b32 exec_lo, exec_lo, s28
	s_cbranch_execnz .LBB6_2788
.LBB6_2493:                             ;   in Loop: Header=BB6_2063 Depth=2
	s_or_b32 exec_lo, exec_lo, s28
	s_and_saveexec_b32 s28, s13
	s_cbranch_execz .LBB6_2495
.LBB6_2494:                             ;   in Loop: Header=BB6_2063 Depth=2
	v_and_b32_e32 v3, 7, v114
	v_lshrrev_b16 v113, 3, v114
	v_ffbh_u32_e32 v30, v3
	v_and_b32_e32 v113, 15, v113
	v_min_u32_e32 v30, 32, v30
	v_cmp_eq_u32_e32 vcc_lo, 0, v113
	v_subrev_nc_u32_e32 v116, 28, v30
	v_sub_nc_u32_e32 v30, 29, v30
	v_lshlrev_b32_e32 v116, v116, v114
	v_lshlrev_b32_e32 v114, 24, v114
	v_cndmask_b32_e32 v30, v113, v30, vcc_lo
	v_and_b32_e32 v116, 7, v116
	v_and_b32_e32 v113, 0x80000000, v114
	v_lshl_add_u32 v30, v30, 23, 0x3b800000
	v_cndmask_b32_e32 v3, v3, v116, vcc_lo
	v_lshlrev_b32_e32 v3, 20, v3
	v_or3_b32 v3, v113, v30, v3
.LBB6_2495:                             ;   in Loop: Header=BB6_2063 Depth=2
	s_or_b32 exec_lo, exec_lo, s28
	v_add_f32_e32 v2, v2, v3
	v_mov_b32_e32 v113, 0x80
	s_mov_b32 s28, exec_lo
	v_and_b32_e32 v3, 0x7f800000, v2
	v_cmpx_ne_u32_e32 0x7f800000, v3
	s_cbranch_execz .LBB6_2503
; %bb.2496:                             ;   in Loop: Header=BB6_2063 Depth=2
	v_mov_b32_e32 v113, 0
	s_mov_b32 s29, exec_lo
	v_cmpx_ne_u32_e32 0, v2
	s_cbranch_execz .LBB6_2502
; %bb.2497:                             ;   in Loop: Header=BB6_2063 Depth=2
	v_bfe_u32 v3, v2, 23, 8
	v_and_b32_e32 v30, 0x7fffff, v2
	v_sub_nc_u32_e32 v113, 0x78, v3
	v_cmp_gt_u32_e32 vcc_lo, 0x79, v3
	v_or_b32_e32 v114, 0x800000, v30
	v_cndmask_b32_e32 v113, 0, v113, vcc_lo
	v_cmp_eq_u32_e32 vcc_lo, 0, v3
	v_add_nc_u32_e32 v3, 0xffffff89, v3
	v_cndmask_b32_e64 v113, v113, 0x77, vcc_lo
	v_cndmask_b32_e32 v30, v114, v30, vcc_lo
	v_cndmask_b32_e64 v3, v3, 0xffffff8a, vcc_lo
	v_lshl_add_u32 v114, 0x100000, v113, -1
	v_lshrrev_b32_e32 v116, v113, v30
	v_lshlrev_b32_e64 v44, v113, 0x80000
	v_add_nc_u32_e32 v113, v113, v3
	v_and_b32_e32 v30, v114, v30
	v_bfe_u32 v43, v116, 20, 1
	v_cmp_eq_u32_e64 s13, v30, v44
	v_add_nc_u32_e32 v114, -1, v43
	v_cndmask_b32_e64 v30, 0, v114, s13
	v_lshrrev_b32_e32 v114, 23, v116
	s_mov_b32 s13, exec_lo
	v_add_nc_u32_e32 v30, v30, v116
	v_xor_b32_e32 v114, 1, v114
	v_and_b32_e32 v3, 0xfffff, v30
	v_add_nc_u32_e32 v30, v3, v116
                                        ; implicit-def: $vgpr3
	v_cmpx_ne_u32_e64 v113, v114
	s_xor_b32 s13, exec_lo, s13
; %bb.2498:                             ;   in Loop: Header=BB6_2063 Depth=2
	v_cmp_lt_u32_e32 vcc_lo, 0xffffff, v30
	v_sub_nc_u32_e32 v3, v113, v114
	v_cndmask_b32_e64 v113, 0, 1, vcc_lo
	v_add_co_ci_u32_e64 v3, null, 0, v3, vcc_lo
	v_lshrrev_b32_e32 v30, v113, v30
; %bb.2499:                             ;   in Loop: Header=BB6_2063 Depth=2
	s_andn2_saveexec_b32 s13, s13
; %bb.2500:                             ;   in Loop: Header=BB6_2063 Depth=2
	v_bfe_u32 v3, v30, 23, 1
; %bb.2501:                             ;   in Loop: Header=BB6_2063 Depth=2
	s_or_b32 exec_lo, exec_lo, s13
	v_lshrrev_b32_e32 v30, 20, v30
	v_cmp_gt_i32_e32 vcc_lo, 16, v3
	v_min_i32_e32 v113, 15, v3
	v_and_b32_sdwa v2, v2, v59 dst_sel:DWORD dst_unused:UNUSED_PAD src0_sel:BYTE_3 src1_sel:DWORD
	v_cndmask_b32_e32 v30, 7, v30, vcc_lo
	v_lshlrev_b32_e32 v113, 3, v113
	v_and_b32_e32 v114, 7, v30
	v_or_b32_e32 v3, v3, v30
	v_or3_b32 v2, v113, v2, v114
	v_cmp_ne_u32_e32 vcc_lo, 0, v3
	v_cndmask_b32_e32 v113, 0, v2, vcc_lo
.LBB6_2502:                             ;   in Loop: Header=BB6_2063 Depth=2
	s_or_b32 exec_lo, exec_lo, s29
.LBB6_2503:                             ;   in Loop: Header=BB6_2063 Depth=2
	s_or_b32 exec_lo, exec_lo, s28
	v_cmp_gt_i16_sdwa s28, v102, v58 src0_sel:BYTE_0 src1_sel:DWORD
	s_mov_b32 s13, 0
	s_and_saveexec_b32 s29, s28
	s_xor_b32 s28, exec_lo, s29
	s_cbranch_execz .LBB6_2789
; %bb.2504:                             ;   in Loop: Header=BB6_2063 Depth=2
	v_cmp_eq_u16_sdwa s40, v102, v59 src0_sel:BYTE_0 src1_sel:DWORD
	s_mov_b32 s13, -1
	s_and_saveexec_b32 s29, s40
; %bb.2505:                             ;   in Loop: Header=BB6_2063 Depth=2
	s_xor_b32 s13, exec_lo, -1
; %bb.2506:                             ;   in Loop: Header=BB6_2063 Depth=2
	s_or_b32 exec_lo, exec_lo, s29
	s_and_b32 s13, s13, exec_lo
	s_or_saveexec_b32 s28, s28
	v_mov_b32_e32 v2, 0x7f800001
	s_xor_b32 exec_lo, exec_lo, s28
	s_cbranch_execnz .LBB6_2790
.LBB6_2507:                             ;   in Loop: Header=BB6_2063 Depth=2
	s_or_b32 exec_lo, exec_lo, s28
	s_and_saveexec_b32 s28, s13
	s_cbranch_execz .LBB6_2509
.LBB6_2508:                             ;   in Loop: Header=BB6_2063 Depth=2
	v_and_b32_e32 v2, 7, v102
	v_lshrrev_b16 v30, 3, v102
	v_ffbh_u32_e32 v3, v2
	v_and_b32_e32 v30, 15, v30
	v_min_u32_e32 v3, 32, v3
	v_cmp_eq_u32_e32 vcc_lo, 0, v30
	v_subrev_nc_u32_e32 v114, 28, v3
	v_sub_nc_u32_e32 v3, 29, v3
	v_lshlrev_b32_e32 v114, v114, v102
	v_lshlrev_b32_e32 v102, 24, v102
	v_cndmask_b32_e32 v3, v30, v3, vcc_lo
	v_and_b32_e32 v114, 7, v114
	v_and_b32_e32 v30, 0x80000000, v102
	v_lshl_add_u32 v3, v3, 23, 0x3b800000
	v_cndmask_b32_e32 v2, v2, v114, vcc_lo
	v_lshlrev_b32_e32 v2, 20, v2
	v_or3_b32 v2, v30, v3, v2
.LBB6_2509:                             ;   in Loop: Header=BB6_2063 Depth=2
	s_or_b32 exec_lo, exec_lo, s28
	s_waitcnt vmcnt(9) lgkmcnt(9)
	v_cmp_gt_i16_sdwa s28, v103, v58 src0_sel:BYTE_0 src1_sel:DWORD
	s_mov_b32 s13, 0
	s_and_saveexec_b32 s29, s28
	s_xor_b32 s28, exec_lo, s29
	s_cbranch_execz .LBB6_2791
; %bb.2510:                             ;   in Loop: Header=BB6_2063 Depth=2
	v_cmp_eq_u16_sdwa s40, v103, v59 src0_sel:BYTE_0 src1_sel:DWORD
	s_mov_b32 s13, -1
	s_and_saveexec_b32 s29, s40
; %bb.2511:                             ;   in Loop: Header=BB6_2063 Depth=2
	s_xor_b32 s13, exec_lo, -1
; %bb.2512:                             ;   in Loop: Header=BB6_2063 Depth=2
	s_or_b32 exec_lo, exec_lo, s29
	s_and_b32 s13, s13, exec_lo
	s_or_saveexec_b32 s28, s28
	v_mov_b32_e32 v3, 0x7f800001
	s_xor_b32 exec_lo, exec_lo, s28
	s_cbranch_execnz .LBB6_2792
.LBB6_2513:                             ;   in Loop: Header=BB6_2063 Depth=2
	s_or_b32 exec_lo, exec_lo, s28
	s_and_saveexec_b32 s28, s13
	s_cbranch_execz .LBB6_2515
.LBB6_2514:                             ;   in Loop: Header=BB6_2063 Depth=2
	v_and_b32_e32 v3, 7, v103
	v_lshrrev_b16 v102, 3, v103
	v_ffbh_u32_e32 v30, v3
	v_and_b32_e32 v102, 15, v102
	v_min_u32_e32 v30, 32, v30
	v_cmp_eq_u32_e32 vcc_lo, 0, v102
	v_subrev_nc_u32_e32 v114, 28, v30
	v_sub_nc_u32_e32 v30, 29, v30
	v_lshlrev_b32_e32 v114, v114, v103
	v_lshlrev_b32_e32 v103, 24, v103
	v_cndmask_b32_e32 v30, v102, v30, vcc_lo
	v_and_b32_e32 v114, 7, v114
	v_and_b32_e32 v102, 0x80000000, v103
	v_lshl_add_u32 v30, v30, 23, 0x3b800000
	v_cndmask_b32_e32 v3, v3, v114, vcc_lo
	v_lshlrev_b32_e32 v3, 20, v3
	v_or3_b32 v3, v102, v30, v3
.LBB6_2515:                             ;   in Loop: Header=BB6_2063 Depth=2
	s_or_b32 exec_lo, exec_lo, s28
	v_add_f32_e32 v2, v2, v3
	v_mov_b32_e32 v102, 0x80
	s_mov_b32 s28, exec_lo
	v_and_b32_e32 v3, 0x7f800000, v2
	v_cmpx_ne_u32_e32 0x7f800000, v3
	s_cbranch_execz .LBB6_2523
; %bb.2516:                             ;   in Loop: Header=BB6_2063 Depth=2
	v_mov_b32_e32 v102, 0
	s_mov_b32 s29, exec_lo
	v_cmpx_ne_u32_e32 0, v2
	s_cbranch_execz .LBB6_2522
; %bb.2517:                             ;   in Loop: Header=BB6_2063 Depth=2
	v_bfe_u32 v3, v2, 23, 8
	v_and_b32_e32 v30, 0x7fffff, v2
	v_sub_nc_u32_e32 v102, 0x78, v3
	v_cmp_gt_u32_e32 vcc_lo, 0x79, v3
	v_or_b32_e32 v103, 0x800000, v30
	v_cndmask_b32_e32 v102, 0, v102, vcc_lo
	v_cmp_eq_u32_e32 vcc_lo, 0, v3
	v_add_nc_u32_e32 v3, 0xffffff89, v3
	v_cndmask_b32_e64 v102, v102, 0x77, vcc_lo
	v_cndmask_b32_e32 v30, v103, v30, vcc_lo
	v_cndmask_b32_e64 v3, v3, 0xffffff8a, vcc_lo
	v_lshl_add_u32 v103, 0x100000, v102, -1
	v_lshrrev_b32_e32 v114, v102, v30
	v_lshlrev_b32_e64 v43, v102, 0x80000
	v_add_nc_u32_e32 v102, v102, v3
	v_and_b32_e32 v30, v103, v30
	v_bfe_u32 v116, v114, 20, 1
	v_cmp_eq_u32_e64 s13, v30, v43
	v_add_nc_u32_e32 v103, -1, v116
	v_cndmask_b32_e64 v30, 0, v103, s13
	v_lshrrev_b32_e32 v103, 23, v114
	s_mov_b32 s13, exec_lo
	v_add_nc_u32_e32 v30, v30, v114
	v_xor_b32_e32 v103, 1, v103
	v_and_b32_e32 v3, 0xfffff, v30
	v_add_nc_u32_e32 v30, v3, v114
                                        ; implicit-def: $vgpr3
	v_cmpx_ne_u32_e64 v102, v103
	s_xor_b32 s13, exec_lo, s13
; %bb.2518:                             ;   in Loop: Header=BB6_2063 Depth=2
	v_cmp_lt_u32_e32 vcc_lo, 0xffffff, v30
	v_sub_nc_u32_e32 v3, v102, v103
	v_cndmask_b32_e64 v102, 0, 1, vcc_lo
	v_add_co_ci_u32_e64 v3, null, 0, v3, vcc_lo
	v_lshrrev_b32_e32 v30, v102, v30
; %bb.2519:                             ;   in Loop: Header=BB6_2063 Depth=2
	s_andn2_saveexec_b32 s13, s13
; %bb.2520:                             ;   in Loop: Header=BB6_2063 Depth=2
	v_bfe_u32 v3, v30, 23, 1
; %bb.2521:                             ;   in Loop: Header=BB6_2063 Depth=2
	s_or_b32 exec_lo, exec_lo, s13
	v_lshrrev_b32_e32 v30, 20, v30
	v_cmp_gt_i32_e32 vcc_lo, 16, v3
	v_min_i32_e32 v102, 15, v3
	v_and_b32_sdwa v2, v2, v59 dst_sel:DWORD dst_unused:UNUSED_PAD src0_sel:BYTE_3 src1_sel:DWORD
	v_cndmask_b32_e32 v30, 7, v30, vcc_lo
	v_lshlrev_b32_e32 v102, 3, v102
	v_and_b32_e32 v103, 7, v30
	v_or_b32_e32 v3, v3, v30
	v_or3_b32 v2, v102, v2, v103
	v_cmp_ne_u32_e32 vcc_lo, 0, v3
	v_cndmask_b32_e32 v102, 0, v2, vcc_lo
.LBB6_2522:                             ;   in Loop: Header=BB6_2063 Depth=2
	s_or_b32 exec_lo, exec_lo, s29
.LBB6_2523:                             ;   in Loop: Header=BB6_2063 Depth=2
	s_or_b32 exec_lo, exec_lo, s28
	v_cmp_gt_i16_sdwa s28, v99, v58 src0_sel:BYTE_0 src1_sel:DWORD
	s_mov_b32 s13, 0
	s_and_saveexec_b32 s29, s28
	s_xor_b32 s28, exec_lo, s29
	s_cbranch_execz .LBB6_2793
; %bb.2524:                             ;   in Loop: Header=BB6_2063 Depth=2
	v_cmp_eq_u16_sdwa s40, v99, v59 src0_sel:BYTE_0 src1_sel:DWORD
	s_mov_b32 s13, -1
	s_and_saveexec_b32 s29, s40
; %bb.2525:                             ;   in Loop: Header=BB6_2063 Depth=2
	s_xor_b32 s13, exec_lo, -1
; %bb.2526:                             ;   in Loop: Header=BB6_2063 Depth=2
	s_or_b32 exec_lo, exec_lo, s29
	s_and_b32 s13, s13, exec_lo
	s_or_saveexec_b32 s28, s28
	v_mov_b32_e32 v2, 0x7f800001
	s_xor_b32 exec_lo, exec_lo, s28
	s_cbranch_execnz .LBB6_2794
.LBB6_2527:                             ;   in Loop: Header=BB6_2063 Depth=2
	s_or_b32 exec_lo, exec_lo, s28
	s_and_saveexec_b32 s28, s13
	s_cbranch_execz .LBB6_2529
.LBB6_2528:                             ;   in Loop: Header=BB6_2063 Depth=2
	v_and_b32_e32 v2, 7, v99
	v_lshrrev_b16 v30, 3, v99
	v_ffbh_u32_e32 v3, v2
	v_and_b32_e32 v30, 15, v30
	v_min_u32_e32 v3, 32, v3
	v_cmp_eq_u32_e32 vcc_lo, 0, v30
	v_subrev_nc_u32_e32 v103, 28, v3
	v_sub_nc_u32_e32 v3, 29, v3
	v_lshlrev_b32_e32 v103, v103, v99
	v_lshlrev_b32_e32 v99, 24, v99
	v_cndmask_b32_e32 v3, v30, v3, vcc_lo
	v_and_b32_e32 v103, 7, v103
	v_and_b32_e32 v30, 0x80000000, v99
	v_lshl_add_u32 v3, v3, 23, 0x3b800000
	v_cndmask_b32_e32 v2, v2, v103, vcc_lo
	v_lshlrev_b32_e32 v2, 20, v2
	v_or3_b32 v2, v30, v3, v2
.LBB6_2529:                             ;   in Loop: Header=BB6_2063 Depth=2
	s_or_b32 exec_lo, exec_lo, s28
	s_waitcnt vmcnt(8) lgkmcnt(8)
	v_cmp_gt_i16_sdwa s28, v100, v58 src0_sel:BYTE_0 src1_sel:DWORD
	s_mov_b32 s13, 0
	s_and_saveexec_b32 s29, s28
	s_xor_b32 s28, exec_lo, s29
	s_cbranch_execz .LBB6_2795
; %bb.2530:                             ;   in Loop: Header=BB6_2063 Depth=2
	v_cmp_eq_u16_sdwa s40, v100, v59 src0_sel:BYTE_0 src1_sel:DWORD
	s_mov_b32 s13, -1
	s_and_saveexec_b32 s29, s40
; %bb.2531:                             ;   in Loop: Header=BB6_2063 Depth=2
	s_xor_b32 s13, exec_lo, -1
; %bb.2532:                             ;   in Loop: Header=BB6_2063 Depth=2
	s_or_b32 exec_lo, exec_lo, s29
	s_and_b32 s13, s13, exec_lo
	s_or_saveexec_b32 s28, s28
	v_mov_b32_e32 v3, 0x7f800001
	s_xor_b32 exec_lo, exec_lo, s28
	s_cbranch_execnz .LBB6_2796
.LBB6_2533:                             ;   in Loop: Header=BB6_2063 Depth=2
	s_or_b32 exec_lo, exec_lo, s28
	s_and_saveexec_b32 s28, s13
	s_cbranch_execz .LBB6_2535
.LBB6_2534:                             ;   in Loop: Header=BB6_2063 Depth=2
	v_and_b32_e32 v3, 7, v100
	v_lshrrev_b16 v99, 3, v100
	v_ffbh_u32_e32 v30, v3
	v_and_b32_e32 v99, 15, v99
	v_min_u32_e32 v30, 32, v30
	v_cmp_eq_u32_e32 vcc_lo, 0, v99
	v_subrev_nc_u32_e32 v103, 28, v30
	v_sub_nc_u32_e32 v30, 29, v30
	v_lshlrev_b32_e32 v103, v103, v100
	v_lshlrev_b32_e32 v100, 24, v100
	v_cndmask_b32_e32 v30, v99, v30, vcc_lo
	v_and_b32_e32 v103, 7, v103
	v_and_b32_e32 v99, 0x80000000, v100
	v_lshl_add_u32 v30, v30, 23, 0x3b800000
	v_cndmask_b32_e32 v3, v3, v103, vcc_lo
	v_lshlrev_b32_e32 v3, 20, v3
	v_or3_b32 v3, v99, v30, v3
.LBB6_2535:                             ;   in Loop: Header=BB6_2063 Depth=2
	s_or_b32 exec_lo, exec_lo, s28
	v_add_f32_e32 v2, v2, v3
	v_mov_b32_e32 v99, 0x80
	s_mov_b32 s28, exec_lo
	v_and_b32_e32 v3, 0x7f800000, v2
	v_cmpx_ne_u32_e32 0x7f800000, v3
	s_cbranch_execz .LBB6_2543
; %bb.2536:                             ;   in Loop: Header=BB6_2063 Depth=2
	v_mov_b32_e32 v99, 0
	s_mov_b32 s29, exec_lo
	v_cmpx_ne_u32_e32 0, v2
	s_cbranch_execz .LBB6_2542
; %bb.2537:                             ;   in Loop: Header=BB6_2063 Depth=2
	v_bfe_u32 v3, v2, 23, 8
	v_and_b32_e32 v30, 0x7fffff, v2
	v_sub_nc_u32_e32 v99, 0x78, v3
	v_cmp_gt_u32_e32 vcc_lo, 0x79, v3
	v_or_b32_e32 v100, 0x800000, v30
	v_cndmask_b32_e32 v99, 0, v99, vcc_lo
	v_cmp_eq_u32_e32 vcc_lo, 0, v3
	v_add_nc_u32_e32 v3, 0xffffff89, v3
	v_cndmask_b32_e64 v99, v99, 0x77, vcc_lo
	v_cndmask_b32_e32 v30, v100, v30, vcc_lo
	v_cndmask_b32_e64 v3, v3, 0xffffff8a, vcc_lo
	v_lshl_add_u32 v100, 0x100000, v99, -1
	v_lshrrev_b32_e32 v103, v99, v30
	v_lshlrev_b32_e64 v116, v99, 0x80000
	v_add_nc_u32_e32 v99, v99, v3
	v_and_b32_e32 v30, v100, v30
	v_bfe_u32 v114, v103, 20, 1
	v_cmp_eq_u32_e64 s13, v30, v116
	v_add_nc_u32_e32 v100, -1, v114
	v_cndmask_b32_e64 v30, 0, v100, s13
	v_lshrrev_b32_e32 v100, 23, v103
	s_mov_b32 s13, exec_lo
	v_add_nc_u32_e32 v30, v30, v103
	v_xor_b32_e32 v100, 1, v100
	v_and_b32_e32 v3, 0xfffff, v30
	v_add_nc_u32_e32 v30, v3, v103
                                        ; implicit-def: $vgpr3
	v_cmpx_ne_u32_e64 v99, v100
	s_xor_b32 s13, exec_lo, s13
; %bb.2538:                             ;   in Loop: Header=BB6_2063 Depth=2
	v_cmp_lt_u32_e32 vcc_lo, 0xffffff, v30
	v_sub_nc_u32_e32 v3, v99, v100
	v_cndmask_b32_e64 v99, 0, 1, vcc_lo
	v_add_co_ci_u32_e64 v3, null, 0, v3, vcc_lo
	v_lshrrev_b32_e32 v30, v99, v30
; %bb.2539:                             ;   in Loop: Header=BB6_2063 Depth=2
	s_andn2_saveexec_b32 s13, s13
; %bb.2540:                             ;   in Loop: Header=BB6_2063 Depth=2
	v_bfe_u32 v3, v30, 23, 1
; %bb.2541:                             ;   in Loop: Header=BB6_2063 Depth=2
	s_or_b32 exec_lo, exec_lo, s13
	v_lshrrev_b32_e32 v30, 20, v30
	v_cmp_gt_i32_e32 vcc_lo, 16, v3
	v_min_i32_e32 v99, 15, v3
	v_and_b32_sdwa v2, v2, v59 dst_sel:DWORD dst_unused:UNUSED_PAD src0_sel:BYTE_3 src1_sel:DWORD
	v_cndmask_b32_e32 v30, 7, v30, vcc_lo
	v_lshlrev_b32_e32 v99, 3, v99
	v_and_b32_e32 v100, 7, v30
	v_or_b32_e32 v3, v3, v30
	v_or3_b32 v2, v99, v2, v100
	v_cmp_ne_u32_e32 vcc_lo, 0, v3
	v_cndmask_b32_e32 v99, 0, v2, vcc_lo
.LBB6_2542:                             ;   in Loop: Header=BB6_2063 Depth=2
	s_or_b32 exec_lo, exec_lo, s29
.LBB6_2543:                             ;   in Loop: Header=BB6_2063 Depth=2
	s_or_b32 exec_lo, exec_lo, s28
	v_cmp_gt_i16_sdwa s28, v51, v58 src0_sel:BYTE_0 src1_sel:DWORD
	s_mov_b32 s13, 0
	s_and_saveexec_b32 s29, s28
	s_xor_b32 s28, exec_lo, s29
	s_cbranch_execz .LBB6_2797
; %bb.2544:                             ;   in Loop: Header=BB6_2063 Depth=2
	v_cmp_eq_u16_sdwa s40, v51, v59 src0_sel:BYTE_0 src1_sel:DWORD
	s_mov_b32 s13, -1
	s_and_saveexec_b32 s29, s40
; %bb.2545:                             ;   in Loop: Header=BB6_2063 Depth=2
	s_xor_b32 s13, exec_lo, -1
; %bb.2546:                             ;   in Loop: Header=BB6_2063 Depth=2
	s_or_b32 exec_lo, exec_lo, s29
	s_and_b32 s13, s13, exec_lo
	s_or_saveexec_b32 s28, s28
	v_mov_b32_e32 v2, 0x7f800001
	s_xor_b32 exec_lo, exec_lo, s28
	s_cbranch_execnz .LBB6_2798
.LBB6_2547:                             ;   in Loop: Header=BB6_2063 Depth=2
	s_or_b32 exec_lo, exec_lo, s28
	s_and_saveexec_b32 s28, s13
	s_cbranch_execz .LBB6_2549
.LBB6_2548:                             ;   in Loop: Header=BB6_2063 Depth=2
	v_and_b32_e32 v2, 7, v51
	v_lshrrev_b16 v30, 3, v51
	v_ffbh_u32_e32 v3, v2
	v_and_b32_e32 v30, 15, v30
	v_min_u32_e32 v3, 32, v3
	v_cmp_eq_u32_e32 vcc_lo, 0, v30
	v_subrev_nc_u32_e32 v100, 28, v3
	v_sub_nc_u32_e32 v3, 29, v3
	v_lshlrev_b32_e32 v100, v100, v51
	v_lshlrev_b32_e32 v51, 24, v51
	v_cndmask_b32_e32 v3, v30, v3, vcc_lo
	v_and_b32_e32 v100, 7, v100
	v_and_b32_e32 v30, 0x80000000, v51
	v_lshl_add_u32 v3, v3, 23, 0x3b800000
	v_cndmask_b32_e32 v2, v2, v100, vcc_lo
	v_lshlrev_b32_e32 v2, 20, v2
	v_or3_b32 v2, v30, v3, v2
.LBB6_2549:                             ;   in Loop: Header=BB6_2063 Depth=2
	s_or_b32 exec_lo, exec_lo, s28
	s_waitcnt vmcnt(7) lgkmcnt(7)
	v_cmp_gt_i16_sdwa s28, v50, v58 src0_sel:BYTE_0 src1_sel:DWORD
	s_mov_b32 s13, 0
	s_and_saveexec_b32 s29, s28
	s_xor_b32 s28, exec_lo, s29
	s_cbranch_execz .LBB6_2799
; %bb.2550:                             ;   in Loop: Header=BB6_2063 Depth=2
	v_cmp_eq_u16_sdwa s40, v50, v59 src0_sel:BYTE_0 src1_sel:DWORD
	s_mov_b32 s13, -1
	s_and_saveexec_b32 s29, s40
; %bb.2551:                             ;   in Loop: Header=BB6_2063 Depth=2
	s_xor_b32 s13, exec_lo, -1
; %bb.2552:                             ;   in Loop: Header=BB6_2063 Depth=2
	s_or_b32 exec_lo, exec_lo, s29
	s_and_b32 s13, s13, exec_lo
	s_or_saveexec_b32 s28, s28
	v_mov_b32_e32 v3, 0x7f800001
	s_xor_b32 exec_lo, exec_lo, s28
	s_cbranch_execnz .LBB6_2800
.LBB6_2553:                             ;   in Loop: Header=BB6_2063 Depth=2
	s_or_b32 exec_lo, exec_lo, s28
	s_and_saveexec_b32 s28, s13
	s_cbranch_execz .LBB6_2555
.LBB6_2554:                             ;   in Loop: Header=BB6_2063 Depth=2
	v_and_b32_e32 v3, 7, v50
	v_lshrrev_b16 v51, 3, v50
	v_ffbh_u32_e32 v30, v3
	v_and_b32_e32 v51, 15, v51
	v_min_u32_e32 v30, 32, v30
	v_cmp_eq_u32_e32 vcc_lo, 0, v51
	v_subrev_nc_u32_e32 v100, 28, v30
	v_sub_nc_u32_e32 v30, 29, v30
	v_lshlrev_b32_e32 v100, v100, v50
	v_lshlrev_b32_e32 v50, 24, v50
	v_cndmask_b32_e32 v30, v51, v30, vcc_lo
	v_and_b32_e32 v100, 7, v100
	v_and_b32_e32 v50, 0x80000000, v50
	v_lshl_add_u32 v30, v30, 23, 0x3b800000
	v_cndmask_b32_e32 v3, v3, v100, vcc_lo
	v_lshlrev_b32_e32 v3, 20, v3
	v_or3_b32 v3, v50, v30, v3
.LBB6_2555:                             ;   in Loop: Header=BB6_2063 Depth=2
	s_or_b32 exec_lo, exec_lo, s28
	v_add_f32_e32 v2, v2, v3
	v_mov_b32_e32 v50, 0x80
	s_mov_b32 s28, exec_lo
	v_and_b32_e32 v3, 0x7f800000, v2
	v_cmpx_ne_u32_e32 0x7f800000, v3
	s_cbranch_execz .LBB6_2563
; %bb.2556:                             ;   in Loop: Header=BB6_2063 Depth=2
	v_mov_b32_e32 v50, 0
	s_mov_b32 s29, exec_lo
	v_cmpx_ne_u32_e32 0, v2
	s_cbranch_execz .LBB6_2562
; %bb.2557:                             ;   in Loop: Header=BB6_2063 Depth=2
	v_bfe_u32 v3, v2, 23, 8
	v_and_b32_e32 v30, 0x7fffff, v2
	v_sub_nc_u32_e32 v50, 0x78, v3
	v_cmp_gt_u32_e32 vcc_lo, 0x79, v3
	v_or_b32_e32 v51, 0x800000, v30
	v_cndmask_b32_e32 v50, 0, v50, vcc_lo
	v_cmp_eq_u32_e32 vcc_lo, 0, v3
	v_add_nc_u32_e32 v3, 0xffffff89, v3
	v_cndmask_b32_e64 v50, v50, 0x77, vcc_lo
	v_cndmask_b32_e32 v30, v51, v30, vcc_lo
	v_cndmask_b32_e64 v3, v3, 0xffffff8a, vcc_lo
	v_lshl_add_u32 v51, 0x100000, v50, -1
	v_lshrrev_b32_e32 v100, v50, v30
	v_lshlrev_b32_e64 v114, v50, 0x80000
	v_add_nc_u32_e32 v50, v50, v3
	v_and_b32_e32 v30, v51, v30
	v_bfe_u32 v103, v100, 20, 1
	v_cmp_eq_u32_e64 s13, v30, v114
	v_add_nc_u32_e32 v51, -1, v103
	v_cndmask_b32_e64 v30, 0, v51, s13
	v_lshrrev_b32_e32 v51, 23, v100
	s_mov_b32 s13, exec_lo
	v_add_nc_u32_e32 v30, v30, v100
	v_xor_b32_e32 v51, 1, v51
	v_and_b32_e32 v3, 0xfffff, v30
	v_add_nc_u32_e32 v30, v3, v100
                                        ; implicit-def: $vgpr3
	v_cmpx_ne_u32_e64 v50, v51
	s_xor_b32 s13, exec_lo, s13
; %bb.2558:                             ;   in Loop: Header=BB6_2063 Depth=2
	v_cmp_lt_u32_e32 vcc_lo, 0xffffff, v30
	v_sub_nc_u32_e32 v3, v50, v51
	v_cndmask_b32_e64 v50, 0, 1, vcc_lo
	v_add_co_ci_u32_e64 v3, null, 0, v3, vcc_lo
	v_lshrrev_b32_e32 v30, v50, v30
; %bb.2559:                             ;   in Loop: Header=BB6_2063 Depth=2
	s_andn2_saveexec_b32 s13, s13
; %bb.2560:                             ;   in Loop: Header=BB6_2063 Depth=2
	v_bfe_u32 v3, v30, 23, 1
; %bb.2561:                             ;   in Loop: Header=BB6_2063 Depth=2
	s_or_b32 exec_lo, exec_lo, s13
	v_lshrrev_b32_e32 v30, 20, v30
	v_cmp_gt_i32_e32 vcc_lo, 16, v3
	v_min_i32_e32 v50, 15, v3
	v_and_b32_sdwa v2, v2, v59 dst_sel:DWORD dst_unused:UNUSED_PAD src0_sel:BYTE_3 src1_sel:DWORD
	v_cndmask_b32_e32 v30, 7, v30, vcc_lo
	v_lshlrev_b32_e32 v50, 3, v50
	v_and_b32_e32 v51, 7, v30
	v_or_b32_e32 v3, v3, v30
	v_or3_b32 v2, v50, v2, v51
	v_cmp_ne_u32_e32 vcc_lo, 0, v3
	v_cndmask_b32_e32 v50, 0, v2, vcc_lo
.LBB6_2562:                             ;   in Loop: Header=BB6_2063 Depth=2
	s_or_b32 exec_lo, exec_lo, s29
.LBB6_2563:                             ;   in Loop: Header=BB6_2063 Depth=2
	s_or_b32 exec_lo, exec_lo, s28
	v_cmp_gt_i16_sdwa s28, v49, v58 src0_sel:BYTE_0 src1_sel:DWORD
	s_mov_b32 s13, 0
	s_and_saveexec_b32 s29, s28
	s_xor_b32 s28, exec_lo, s29
	s_cbranch_execz .LBB6_2801
; %bb.2564:                             ;   in Loop: Header=BB6_2063 Depth=2
	v_cmp_eq_u16_sdwa s40, v49, v59 src0_sel:BYTE_0 src1_sel:DWORD
	s_mov_b32 s13, -1
	s_and_saveexec_b32 s29, s40
; %bb.2565:                             ;   in Loop: Header=BB6_2063 Depth=2
	s_xor_b32 s13, exec_lo, -1
; %bb.2566:                             ;   in Loop: Header=BB6_2063 Depth=2
	s_or_b32 exec_lo, exec_lo, s29
	s_and_b32 s13, s13, exec_lo
	s_or_saveexec_b32 s28, s28
	v_mov_b32_e32 v2, 0x7f800001
	s_xor_b32 exec_lo, exec_lo, s28
	s_cbranch_execnz .LBB6_2802
.LBB6_2567:                             ;   in Loop: Header=BB6_2063 Depth=2
	s_or_b32 exec_lo, exec_lo, s28
	s_and_saveexec_b32 s28, s13
	s_cbranch_execz .LBB6_2569
.LBB6_2568:                             ;   in Loop: Header=BB6_2063 Depth=2
	v_and_b32_e32 v2, 7, v49
	v_lshrrev_b16 v30, 3, v49
	v_ffbh_u32_e32 v3, v2
	v_and_b32_e32 v30, 15, v30
	v_min_u32_e32 v3, 32, v3
	v_cmp_eq_u32_e32 vcc_lo, 0, v30
	v_subrev_nc_u32_e32 v51, 28, v3
	v_sub_nc_u32_e32 v3, 29, v3
	v_lshlrev_b32_e32 v51, v51, v49
	v_lshlrev_b32_e32 v49, 24, v49
	v_cndmask_b32_e32 v3, v30, v3, vcc_lo
	v_and_b32_e32 v51, 7, v51
	v_and_b32_e32 v30, 0x80000000, v49
	v_lshl_add_u32 v3, v3, 23, 0x3b800000
	v_cndmask_b32_e32 v2, v2, v51, vcc_lo
	v_lshlrev_b32_e32 v2, 20, v2
	v_or3_b32 v2, v30, v3, v2
.LBB6_2569:                             ;   in Loop: Header=BB6_2063 Depth=2
	s_or_b32 exec_lo, exec_lo, s28
	s_waitcnt vmcnt(6) lgkmcnt(6)
	v_cmp_gt_i16_sdwa s28, v48, v58 src0_sel:BYTE_0 src1_sel:DWORD
	s_mov_b32 s13, 0
	s_and_saveexec_b32 s29, s28
	s_xor_b32 s28, exec_lo, s29
	s_cbranch_execz .LBB6_2803
; %bb.2570:                             ;   in Loop: Header=BB6_2063 Depth=2
	v_cmp_eq_u16_sdwa s40, v48, v59 src0_sel:BYTE_0 src1_sel:DWORD
	s_mov_b32 s13, -1
	s_and_saveexec_b32 s29, s40
; %bb.2571:                             ;   in Loop: Header=BB6_2063 Depth=2
	s_xor_b32 s13, exec_lo, -1
; %bb.2572:                             ;   in Loop: Header=BB6_2063 Depth=2
	s_or_b32 exec_lo, exec_lo, s29
	s_and_b32 s13, s13, exec_lo
	s_or_saveexec_b32 s28, s28
	v_mov_b32_e32 v3, 0x7f800001
	s_xor_b32 exec_lo, exec_lo, s28
	s_cbranch_execnz .LBB6_2804
.LBB6_2573:                             ;   in Loop: Header=BB6_2063 Depth=2
	s_or_b32 exec_lo, exec_lo, s28
	s_and_saveexec_b32 s28, s13
	s_cbranch_execz .LBB6_2575
.LBB6_2574:                             ;   in Loop: Header=BB6_2063 Depth=2
	v_and_b32_e32 v3, 7, v48
	v_lshrrev_b16 v49, 3, v48
	v_ffbh_u32_e32 v30, v3
	v_and_b32_e32 v49, 15, v49
	v_min_u32_e32 v30, 32, v30
	v_cmp_eq_u32_e32 vcc_lo, 0, v49
	v_subrev_nc_u32_e32 v51, 28, v30
	v_sub_nc_u32_e32 v30, 29, v30
	v_lshlrev_b32_e32 v51, v51, v48
	v_lshlrev_b32_e32 v48, 24, v48
	v_cndmask_b32_e32 v30, v49, v30, vcc_lo
	v_and_b32_e32 v51, 7, v51
	v_and_b32_e32 v48, 0x80000000, v48
	v_lshl_add_u32 v30, v30, 23, 0x3b800000
	v_cndmask_b32_e32 v3, v3, v51, vcc_lo
	v_lshlrev_b32_e32 v3, 20, v3
	v_or3_b32 v3, v48, v30, v3
.LBB6_2575:                             ;   in Loop: Header=BB6_2063 Depth=2
	s_or_b32 exec_lo, exec_lo, s28
	v_add_f32_e32 v2, v2, v3
	v_mov_b32_e32 v48, 0x80
	s_mov_b32 s28, exec_lo
	v_and_b32_e32 v3, 0x7f800000, v2
	v_cmpx_ne_u32_e32 0x7f800000, v3
	s_cbranch_execz .LBB6_2583
; %bb.2576:                             ;   in Loop: Header=BB6_2063 Depth=2
	v_mov_b32_e32 v48, 0
	s_mov_b32 s29, exec_lo
	v_cmpx_ne_u32_e32 0, v2
	s_cbranch_execz .LBB6_2582
; %bb.2577:                             ;   in Loop: Header=BB6_2063 Depth=2
	v_bfe_u32 v3, v2, 23, 8
	v_and_b32_e32 v30, 0x7fffff, v2
	v_sub_nc_u32_e32 v48, 0x78, v3
	v_cmp_gt_u32_e32 vcc_lo, 0x79, v3
	v_or_b32_e32 v49, 0x800000, v30
	v_cndmask_b32_e32 v48, 0, v48, vcc_lo
	v_cmp_eq_u32_e32 vcc_lo, 0, v3
	v_add_nc_u32_e32 v3, 0xffffff89, v3
	v_cndmask_b32_e64 v48, v48, 0x77, vcc_lo
	v_cndmask_b32_e32 v30, v49, v30, vcc_lo
	v_cndmask_b32_e64 v3, v3, 0xffffff8a, vcc_lo
	v_lshl_add_u32 v49, 0x100000, v48, -1
	v_lshrrev_b32_e32 v51, v48, v30
	v_lshlrev_b32_e64 v103, v48, 0x80000
	v_add_nc_u32_e32 v48, v48, v3
	v_and_b32_e32 v30, v49, v30
	v_bfe_u32 v100, v51, 20, 1
	v_cmp_eq_u32_e64 s13, v30, v103
	v_add_nc_u32_e32 v49, -1, v100
	v_cndmask_b32_e64 v30, 0, v49, s13
	v_lshrrev_b32_e32 v49, 23, v51
	s_mov_b32 s13, exec_lo
	v_add_nc_u32_e32 v30, v30, v51
	v_xor_b32_e32 v49, 1, v49
	v_and_b32_e32 v3, 0xfffff, v30
	v_add_nc_u32_e32 v30, v3, v51
                                        ; implicit-def: $vgpr3
	v_cmpx_ne_u32_e64 v48, v49
	s_xor_b32 s13, exec_lo, s13
; %bb.2578:                             ;   in Loop: Header=BB6_2063 Depth=2
	v_cmp_lt_u32_e32 vcc_lo, 0xffffff, v30
	v_sub_nc_u32_e32 v3, v48, v49
	v_cndmask_b32_e64 v48, 0, 1, vcc_lo
	v_add_co_ci_u32_e64 v3, null, 0, v3, vcc_lo
	v_lshrrev_b32_e32 v30, v48, v30
; %bb.2579:                             ;   in Loop: Header=BB6_2063 Depth=2
	s_andn2_saveexec_b32 s13, s13
; %bb.2580:                             ;   in Loop: Header=BB6_2063 Depth=2
	v_bfe_u32 v3, v30, 23, 1
; %bb.2581:                             ;   in Loop: Header=BB6_2063 Depth=2
	s_or_b32 exec_lo, exec_lo, s13
	v_lshrrev_b32_e32 v30, 20, v30
	v_cmp_gt_i32_e32 vcc_lo, 16, v3
	v_min_i32_e32 v48, 15, v3
	v_and_b32_sdwa v2, v2, v59 dst_sel:DWORD dst_unused:UNUSED_PAD src0_sel:BYTE_3 src1_sel:DWORD
	v_cndmask_b32_e32 v30, 7, v30, vcc_lo
	v_lshlrev_b32_e32 v48, 3, v48
	v_and_b32_e32 v49, 7, v30
	v_or_b32_e32 v3, v3, v30
	v_or3_b32 v2, v48, v2, v49
	v_cmp_ne_u32_e32 vcc_lo, 0, v3
	v_cndmask_b32_e32 v48, 0, v2, vcc_lo
.LBB6_2582:                             ;   in Loop: Header=BB6_2063 Depth=2
	s_or_b32 exec_lo, exec_lo, s29
.LBB6_2583:                             ;   in Loop: Header=BB6_2063 Depth=2
	s_or_b32 exec_lo, exec_lo, s28
	v_cmp_gt_i16_sdwa s28, v38, v58 src0_sel:BYTE_0 src1_sel:DWORD
	s_mov_b32 s13, 0
	s_and_saveexec_b32 s29, s28
	s_xor_b32 s28, exec_lo, s29
	s_cbranch_execz .LBB6_2805
; %bb.2584:                             ;   in Loop: Header=BB6_2063 Depth=2
	v_cmp_eq_u16_sdwa s40, v38, v59 src0_sel:BYTE_0 src1_sel:DWORD
	s_mov_b32 s13, -1
	s_and_saveexec_b32 s29, s40
; %bb.2585:                             ;   in Loop: Header=BB6_2063 Depth=2
	s_xor_b32 s13, exec_lo, -1
; %bb.2586:                             ;   in Loop: Header=BB6_2063 Depth=2
	s_or_b32 exec_lo, exec_lo, s29
	s_and_b32 s13, s13, exec_lo
	s_or_saveexec_b32 s28, s28
	v_mov_b32_e32 v2, 0x7f800001
	s_xor_b32 exec_lo, exec_lo, s28
	s_cbranch_execnz .LBB6_2806
.LBB6_2587:                             ;   in Loop: Header=BB6_2063 Depth=2
	s_or_b32 exec_lo, exec_lo, s28
	s_and_saveexec_b32 s28, s13
	s_cbranch_execz .LBB6_2589
.LBB6_2588:                             ;   in Loop: Header=BB6_2063 Depth=2
	v_and_b32_e32 v2, 7, v38
	v_lshrrev_b16 v30, 3, v38
	v_ffbh_u32_e32 v3, v2
	v_and_b32_e32 v30, 15, v30
	v_min_u32_e32 v3, 32, v3
	v_cmp_eq_u32_e32 vcc_lo, 0, v30
	v_subrev_nc_u32_e32 v49, 28, v3
	v_sub_nc_u32_e32 v3, 29, v3
	v_lshlrev_b32_e32 v49, v49, v38
	v_lshlrev_b32_e32 v38, 24, v38
	v_cndmask_b32_e32 v3, v30, v3, vcc_lo
	v_and_b32_e32 v49, 7, v49
	v_and_b32_e32 v30, 0x80000000, v38
	v_lshl_add_u32 v3, v3, 23, 0x3b800000
	v_cndmask_b32_e32 v2, v2, v49, vcc_lo
	v_lshlrev_b32_e32 v2, 20, v2
	v_or3_b32 v2, v30, v3, v2
.LBB6_2589:                             ;   in Loop: Header=BB6_2063 Depth=2
	s_or_b32 exec_lo, exec_lo, s28
	s_waitcnt vmcnt(5) lgkmcnt(5)
	v_cmp_gt_i16_sdwa s28, v37, v58 src0_sel:BYTE_0 src1_sel:DWORD
	s_mov_b32 s13, 0
	s_and_saveexec_b32 s29, s28
	s_xor_b32 s28, exec_lo, s29
	s_cbranch_execz .LBB6_2807
; %bb.2590:                             ;   in Loop: Header=BB6_2063 Depth=2
	v_cmp_eq_u16_sdwa s40, v37, v59 src0_sel:BYTE_0 src1_sel:DWORD
	s_mov_b32 s13, -1
	s_and_saveexec_b32 s29, s40
; %bb.2591:                             ;   in Loop: Header=BB6_2063 Depth=2
	s_xor_b32 s13, exec_lo, -1
; %bb.2592:                             ;   in Loop: Header=BB6_2063 Depth=2
	s_or_b32 exec_lo, exec_lo, s29
	s_and_b32 s13, s13, exec_lo
	s_or_saveexec_b32 s28, s28
	v_mov_b32_e32 v3, 0x7f800001
	s_xor_b32 exec_lo, exec_lo, s28
	s_cbranch_execnz .LBB6_2808
.LBB6_2593:                             ;   in Loop: Header=BB6_2063 Depth=2
	s_or_b32 exec_lo, exec_lo, s28
	s_and_saveexec_b32 s28, s13
	s_cbranch_execz .LBB6_2595
.LBB6_2594:                             ;   in Loop: Header=BB6_2063 Depth=2
	v_and_b32_e32 v3, 7, v37
	v_lshrrev_b16 v38, 3, v37
	v_ffbh_u32_e32 v30, v3
	v_and_b32_e32 v38, 15, v38
	v_min_u32_e32 v30, 32, v30
	v_cmp_eq_u32_e32 vcc_lo, 0, v38
	v_subrev_nc_u32_e32 v49, 28, v30
	v_sub_nc_u32_e32 v30, 29, v30
	v_lshlrev_b32_e32 v49, v49, v37
	v_lshlrev_b32_e32 v37, 24, v37
	v_cndmask_b32_e32 v30, v38, v30, vcc_lo
	v_and_b32_e32 v49, 7, v49
	v_and_b32_e32 v37, 0x80000000, v37
	v_lshl_add_u32 v30, v30, 23, 0x3b800000
	v_cndmask_b32_e32 v3, v3, v49, vcc_lo
	v_lshlrev_b32_e32 v3, 20, v3
	v_or3_b32 v3, v37, v30, v3
.LBB6_2595:                             ;   in Loop: Header=BB6_2063 Depth=2
	s_or_b32 exec_lo, exec_lo, s28
	v_add_f32_e32 v2, v2, v3
	v_mov_b32_e32 v37, 0x80
	s_mov_b32 s28, exec_lo
	v_and_b32_e32 v3, 0x7f800000, v2
	v_cmpx_ne_u32_e32 0x7f800000, v3
	s_cbranch_execz .LBB6_2603
; %bb.2596:                             ;   in Loop: Header=BB6_2063 Depth=2
	v_mov_b32_e32 v37, 0
	s_mov_b32 s29, exec_lo
	v_cmpx_ne_u32_e32 0, v2
	s_cbranch_execz .LBB6_2602
; %bb.2597:                             ;   in Loop: Header=BB6_2063 Depth=2
	v_bfe_u32 v3, v2, 23, 8
	v_and_b32_e32 v30, 0x7fffff, v2
	v_sub_nc_u32_e32 v37, 0x78, v3
	v_cmp_gt_u32_e32 vcc_lo, 0x79, v3
	v_or_b32_e32 v38, 0x800000, v30
	v_cndmask_b32_e32 v37, 0, v37, vcc_lo
	v_cmp_eq_u32_e32 vcc_lo, 0, v3
	v_add_nc_u32_e32 v3, 0xffffff89, v3
	v_cndmask_b32_e64 v37, v37, 0x77, vcc_lo
	v_cndmask_b32_e32 v30, v38, v30, vcc_lo
	v_cndmask_b32_e64 v3, v3, 0xffffff8a, vcc_lo
	v_lshl_add_u32 v38, 0x100000, v37, -1
	v_lshrrev_b32_e32 v49, v37, v30
	v_lshlrev_b32_e64 v100, v37, 0x80000
	v_add_nc_u32_e32 v37, v37, v3
	v_and_b32_e32 v30, v38, v30
	v_bfe_u32 v51, v49, 20, 1
	v_cmp_eq_u32_e64 s13, v30, v100
	v_add_nc_u32_e32 v38, -1, v51
	v_cndmask_b32_e64 v30, 0, v38, s13
	v_lshrrev_b32_e32 v38, 23, v49
	s_mov_b32 s13, exec_lo
	v_add_nc_u32_e32 v30, v30, v49
	v_xor_b32_e32 v38, 1, v38
	v_and_b32_e32 v3, 0xfffff, v30
	v_add_nc_u32_e32 v30, v3, v49
                                        ; implicit-def: $vgpr3
	v_cmpx_ne_u32_e64 v37, v38
	s_xor_b32 s13, exec_lo, s13
; %bb.2598:                             ;   in Loop: Header=BB6_2063 Depth=2
	v_cmp_lt_u32_e32 vcc_lo, 0xffffff, v30
	v_sub_nc_u32_e32 v3, v37, v38
	v_cndmask_b32_e64 v37, 0, 1, vcc_lo
	v_add_co_ci_u32_e64 v3, null, 0, v3, vcc_lo
	v_lshrrev_b32_e32 v30, v37, v30
; %bb.2599:                             ;   in Loop: Header=BB6_2063 Depth=2
	s_andn2_saveexec_b32 s13, s13
; %bb.2600:                             ;   in Loop: Header=BB6_2063 Depth=2
	v_bfe_u32 v3, v30, 23, 1
; %bb.2601:                             ;   in Loop: Header=BB6_2063 Depth=2
	s_or_b32 exec_lo, exec_lo, s13
	v_lshrrev_b32_e32 v30, 20, v30
	v_cmp_gt_i32_e32 vcc_lo, 16, v3
	v_min_i32_e32 v37, 15, v3
	v_and_b32_sdwa v2, v2, v59 dst_sel:DWORD dst_unused:UNUSED_PAD src0_sel:BYTE_3 src1_sel:DWORD
	v_cndmask_b32_e32 v30, 7, v30, vcc_lo
	v_lshlrev_b32_e32 v37, 3, v37
	v_and_b32_e32 v38, 7, v30
	v_or_b32_e32 v3, v3, v30
	v_or3_b32 v2, v37, v2, v38
	v_cmp_ne_u32_e32 vcc_lo, 0, v3
	v_cndmask_b32_e32 v37, 0, v2, vcc_lo
.LBB6_2602:                             ;   in Loop: Header=BB6_2063 Depth=2
	s_or_b32 exec_lo, exec_lo, s29
.LBB6_2603:                             ;   in Loop: Header=BB6_2063 Depth=2
	s_or_b32 exec_lo, exec_lo, s28
	v_cmp_gt_i16_sdwa s28, v35, v58 src0_sel:BYTE_0 src1_sel:DWORD
	s_mov_b32 s13, 0
	s_and_saveexec_b32 s29, s28
	s_xor_b32 s28, exec_lo, s29
	s_cbranch_execz .LBB6_2809
; %bb.2604:                             ;   in Loop: Header=BB6_2063 Depth=2
	v_cmp_eq_u16_sdwa s40, v35, v59 src0_sel:BYTE_0 src1_sel:DWORD
	s_mov_b32 s13, -1
	s_and_saveexec_b32 s29, s40
; %bb.2605:                             ;   in Loop: Header=BB6_2063 Depth=2
	s_xor_b32 s13, exec_lo, -1
; %bb.2606:                             ;   in Loop: Header=BB6_2063 Depth=2
	s_or_b32 exec_lo, exec_lo, s29
	s_and_b32 s13, s13, exec_lo
	s_or_saveexec_b32 s28, s28
	v_mov_b32_e32 v2, 0x7f800001
	s_xor_b32 exec_lo, exec_lo, s28
	s_cbranch_execnz .LBB6_2810
.LBB6_2607:                             ;   in Loop: Header=BB6_2063 Depth=2
	s_or_b32 exec_lo, exec_lo, s28
	s_and_saveexec_b32 s28, s13
	s_cbranch_execz .LBB6_2609
.LBB6_2608:                             ;   in Loop: Header=BB6_2063 Depth=2
	v_and_b32_e32 v2, 7, v35
	v_lshrrev_b16 v30, 3, v35
	v_ffbh_u32_e32 v3, v2
	v_and_b32_e32 v30, 15, v30
	v_min_u32_e32 v3, 32, v3
	v_cmp_eq_u32_e32 vcc_lo, 0, v30
	v_subrev_nc_u32_e32 v38, 28, v3
	v_sub_nc_u32_e32 v3, 29, v3
	v_lshlrev_b32_e32 v38, v38, v35
	v_lshlrev_b32_e32 v35, 24, v35
	v_cndmask_b32_e32 v3, v30, v3, vcc_lo
	v_and_b32_e32 v38, 7, v38
	v_and_b32_e32 v30, 0x80000000, v35
	v_lshl_add_u32 v3, v3, 23, 0x3b800000
	v_cndmask_b32_e32 v2, v2, v38, vcc_lo
	v_lshlrev_b32_e32 v2, 20, v2
	v_or3_b32 v2, v30, v3, v2
.LBB6_2609:                             ;   in Loop: Header=BB6_2063 Depth=2
	s_or_b32 exec_lo, exec_lo, s28
	s_waitcnt vmcnt(4) lgkmcnt(4)
	v_cmp_gt_i16_sdwa s28, v34, v58 src0_sel:BYTE_0 src1_sel:DWORD
	s_mov_b32 s13, 0
	s_and_saveexec_b32 s29, s28
	s_xor_b32 s28, exec_lo, s29
	s_cbranch_execz .LBB6_2811
; %bb.2610:                             ;   in Loop: Header=BB6_2063 Depth=2
	v_cmp_eq_u16_sdwa s40, v34, v59 src0_sel:BYTE_0 src1_sel:DWORD
	s_mov_b32 s13, -1
	s_and_saveexec_b32 s29, s40
; %bb.2611:                             ;   in Loop: Header=BB6_2063 Depth=2
	s_xor_b32 s13, exec_lo, -1
; %bb.2612:                             ;   in Loop: Header=BB6_2063 Depth=2
	s_or_b32 exec_lo, exec_lo, s29
	s_and_b32 s13, s13, exec_lo
	s_or_saveexec_b32 s28, s28
	v_mov_b32_e32 v3, 0x7f800001
	s_xor_b32 exec_lo, exec_lo, s28
	s_cbranch_execnz .LBB6_2812
.LBB6_2613:                             ;   in Loop: Header=BB6_2063 Depth=2
	s_or_b32 exec_lo, exec_lo, s28
	s_and_saveexec_b32 s28, s13
	s_cbranch_execz .LBB6_2615
.LBB6_2614:                             ;   in Loop: Header=BB6_2063 Depth=2
	v_and_b32_e32 v3, 7, v34
	v_lshrrev_b16 v35, 3, v34
	v_ffbh_u32_e32 v30, v3
	v_and_b32_e32 v35, 15, v35
	v_min_u32_e32 v30, 32, v30
	v_cmp_eq_u32_e32 vcc_lo, 0, v35
	v_subrev_nc_u32_e32 v38, 28, v30
	v_sub_nc_u32_e32 v30, 29, v30
	v_lshlrev_b32_e32 v38, v38, v34
	v_lshlrev_b32_e32 v34, 24, v34
	v_cndmask_b32_e32 v30, v35, v30, vcc_lo
	v_and_b32_e32 v38, 7, v38
	v_and_b32_e32 v34, 0x80000000, v34
	v_lshl_add_u32 v30, v30, 23, 0x3b800000
	v_cndmask_b32_e32 v3, v3, v38, vcc_lo
	v_lshlrev_b32_e32 v3, 20, v3
	v_or3_b32 v3, v34, v30, v3
.LBB6_2615:                             ;   in Loop: Header=BB6_2063 Depth=2
	s_or_b32 exec_lo, exec_lo, s28
	v_add_f32_e32 v2, v2, v3
	v_mov_b32_e32 v34, 0x80
	s_mov_b32 s28, exec_lo
	v_and_b32_e32 v3, 0x7f800000, v2
	v_cmpx_ne_u32_e32 0x7f800000, v3
	s_cbranch_execz .LBB6_2623
; %bb.2616:                             ;   in Loop: Header=BB6_2063 Depth=2
	v_mov_b32_e32 v34, 0
	s_mov_b32 s29, exec_lo
	v_cmpx_ne_u32_e32 0, v2
	s_cbranch_execz .LBB6_2622
; %bb.2617:                             ;   in Loop: Header=BB6_2063 Depth=2
	v_bfe_u32 v3, v2, 23, 8
	v_and_b32_e32 v30, 0x7fffff, v2
	v_sub_nc_u32_e32 v34, 0x78, v3
	v_cmp_gt_u32_e32 vcc_lo, 0x79, v3
	v_or_b32_e32 v35, 0x800000, v30
	v_cndmask_b32_e32 v34, 0, v34, vcc_lo
	v_cmp_eq_u32_e32 vcc_lo, 0, v3
	v_add_nc_u32_e32 v3, 0xffffff89, v3
	v_cndmask_b32_e64 v34, v34, 0x77, vcc_lo
	v_cndmask_b32_e32 v30, v35, v30, vcc_lo
	v_cndmask_b32_e64 v3, v3, 0xffffff8a, vcc_lo
	v_lshl_add_u32 v35, 0x100000, v34, -1
	v_lshrrev_b32_e32 v38, v34, v30
	v_lshlrev_b32_e64 v51, v34, 0x80000
	v_add_nc_u32_e32 v34, v34, v3
	v_and_b32_e32 v30, v35, v30
	v_bfe_u32 v49, v38, 20, 1
	v_cmp_eq_u32_e64 s13, v30, v51
	v_add_nc_u32_e32 v35, -1, v49
	v_cndmask_b32_e64 v30, 0, v35, s13
	v_lshrrev_b32_e32 v35, 23, v38
	s_mov_b32 s13, exec_lo
	v_add_nc_u32_e32 v30, v30, v38
	v_xor_b32_e32 v35, 1, v35
	v_and_b32_e32 v3, 0xfffff, v30
	v_add_nc_u32_e32 v30, v3, v38
                                        ; implicit-def: $vgpr3
	v_cmpx_ne_u32_e64 v34, v35
	s_xor_b32 s13, exec_lo, s13
; %bb.2618:                             ;   in Loop: Header=BB6_2063 Depth=2
	v_cmp_lt_u32_e32 vcc_lo, 0xffffff, v30
	v_sub_nc_u32_e32 v3, v34, v35
	v_cndmask_b32_e64 v34, 0, 1, vcc_lo
	v_add_co_ci_u32_e64 v3, null, 0, v3, vcc_lo
	v_lshrrev_b32_e32 v30, v34, v30
; %bb.2619:                             ;   in Loop: Header=BB6_2063 Depth=2
	s_andn2_saveexec_b32 s13, s13
; %bb.2620:                             ;   in Loop: Header=BB6_2063 Depth=2
	v_bfe_u32 v3, v30, 23, 1
; %bb.2621:                             ;   in Loop: Header=BB6_2063 Depth=2
	s_or_b32 exec_lo, exec_lo, s13
	v_lshrrev_b32_e32 v30, 20, v30
	v_cmp_gt_i32_e32 vcc_lo, 16, v3
	v_min_i32_e32 v34, 15, v3
	v_and_b32_sdwa v2, v2, v59 dst_sel:DWORD dst_unused:UNUSED_PAD src0_sel:BYTE_3 src1_sel:DWORD
	v_cndmask_b32_e32 v30, 7, v30, vcc_lo
	v_lshlrev_b32_e32 v34, 3, v34
	v_and_b32_e32 v35, 7, v30
	v_or_b32_e32 v3, v3, v30
	v_or3_b32 v2, v34, v2, v35
	v_cmp_ne_u32_e32 vcc_lo, 0, v3
	v_cndmask_b32_e32 v34, 0, v2, vcc_lo
.LBB6_2622:                             ;   in Loop: Header=BB6_2063 Depth=2
	s_or_b32 exec_lo, exec_lo, s29
.LBB6_2623:                             ;   in Loop: Header=BB6_2063 Depth=2
	s_or_b32 exec_lo, exec_lo, s28
	v_cmp_gt_i16_sdwa s28, v32, v58 src0_sel:BYTE_0 src1_sel:DWORD
	s_mov_b32 s13, 0
	s_and_saveexec_b32 s29, s28
	s_xor_b32 s28, exec_lo, s29
	s_cbranch_execz .LBB6_2813
; %bb.2624:                             ;   in Loop: Header=BB6_2063 Depth=2
	v_cmp_eq_u16_sdwa s40, v32, v59 src0_sel:BYTE_0 src1_sel:DWORD
	s_mov_b32 s13, -1
	s_and_saveexec_b32 s29, s40
; %bb.2625:                             ;   in Loop: Header=BB6_2063 Depth=2
	s_xor_b32 s13, exec_lo, -1
; %bb.2626:                             ;   in Loop: Header=BB6_2063 Depth=2
	s_or_b32 exec_lo, exec_lo, s29
	s_and_b32 s13, s13, exec_lo
	s_or_saveexec_b32 s28, s28
	v_mov_b32_e32 v2, 0x7f800001
	s_xor_b32 exec_lo, exec_lo, s28
	s_cbranch_execnz .LBB6_2814
.LBB6_2627:                             ;   in Loop: Header=BB6_2063 Depth=2
	s_or_b32 exec_lo, exec_lo, s28
	s_and_saveexec_b32 s28, s13
	s_cbranch_execz .LBB6_2629
.LBB6_2628:                             ;   in Loop: Header=BB6_2063 Depth=2
	v_and_b32_e32 v2, 7, v32
	v_lshrrev_b16 v30, 3, v32
	v_ffbh_u32_e32 v3, v2
	v_and_b32_e32 v30, 15, v30
	v_min_u32_e32 v3, 32, v3
	v_cmp_eq_u32_e32 vcc_lo, 0, v30
	v_subrev_nc_u32_e32 v35, 28, v3
	v_sub_nc_u32_e32 v3, 29, v3
	v_lshlrev_b32_e32 v35, v35, v32
	v_lshlrev_b32_e32 v32, 24, v32
	v_cndmask_b32_e32 v3, v30, v3, vcc_lo
	v_and_b32_e32 v35, 7, v35
	v_and_b32_e32 v30, 0x80000000, v32
	v_lshl_add_u32 v3, v3, 23, 0x3b800000
	v_cndmask_b32_e32 v2, v2, v35, vcc_lo
	v_lshlrev_b32_e32 v2, 20, v2
	v_or3_b32 v2, v30, v3, v2
.LBB6_2629:                             ;   in Loop: Header=BB6_2063 Depth=2
	s_or_b32 exec_lo, exec_lo, s28
	s_waitcnt vmcnt(3) lgkmcnt(3)
	v_cmp_gt_i16_sdwa s28, v29, v58 src0_sel:BYTE_0 src1_sel:DWORD
	s_mov_b32 s13, 0
	s_and_saveexec_b32 s29, s28
	s_xor_b32 s28, exec_lo, s29
	s_cbranch_execz .LBB6_2815
; %bb.2630:                             ;   in Loop: Header=BB6_2063 Depth=2
	v_cmp_eq_u16_sdwa s40, v29, v59 src0_sel:BYTE_0 src1_sel:DWORD
	s_mov_b32 s13, -1
	s_and_saveexec_b32 s29, s40
; %bb.2631:                             ;   in Loop: Header=BB6_2063 Depth=2
	s_xor_b32 s13, exec_lo, -1
; %bb.2632:                             ;   in Loop: Header=BB6_2063 Depth=2
	s_or_b32 exec_lo, exec_lo, s29
	s_and_b32 s13, s13, exec_lo
	s_or_saveexec_b32 s28, s28
	v_mov_b32_e32 v3, 0x7f800001
	s_xor_b32 exec_lo, exec_lo, s28
	s_cbranch_execnz .LBB6_2816
.LBB6_2633:                             ;   in Loop: Header=BB6_2063 Depth=2
	s_or_b32 exec_lo, exec_lo, s28
	s_and_saveexec_b32 s28, s13
	s_cbranch_execz .LBB6_2635
.LBB6_2634:                             ;   in Loop: Header=BB6_2063 Depth=2
	v_and_b32_e32 v3, 7, v29
	v_lshrrev_b16 v32, 3, v29
	v_ffbh_u32_e32 v30, v3
	v_and_b32_e32 v32, 15, v32
	v_min_u32_e32 v30, 32, v30
	v_cmp_eq_u32_e32 vcc_lo, 0, v32
	v_subrev_nc_u32_e32 v35, 28, v30
	v_sub_nc_u32_e32 v30, 29, v30
	v_lshlrev_b32_e32 v35, v35, v29
	v_lshlrev_b32_e32 v29, 24, v29
	v_cndmask_b32_e32 v30, v32, v30, vcc_lo
	v_and_b32_e32 v35, 7, v35
	v_and_b32_e32 v29, 0x80000000, v29
	v_lshl_add_u32 v30, v30, 23, 0x3b800000
	v_cndmask_b32_e32 v3, v3, v35, vcc_lo
	v_lshlrev_b32_e32 v3, 20, v3
	v_or3_b32 v3, v29, v30, v3
.LBB6_2635:                             ;   in Loop: Header=BB6_2063 Depth=2
	s_or_b32 exec_lo, exec_lo, s28
	v_add_f32_e32 v2, v2, v3
	v_mov_b32_e32 v29, 0x80
	s_mov_b32 s28, exec_lo
	v_and_b32_e32 v3, 0x7f800000, v2
	v_cmpx_ne_u32_e32 0x7f800000, v3
	s_cbranch_execz .LBB6_2643
; %bb.2636:                             ;   in Loop: Header=BB6_2063 Depth=2
	v_mov_b32_e32 v29, 0
	s_mov_b32 s29, exec_lo
	v_cmpx_ne_u32_e32 0, v2
	s_cbranch_execz .LBB6_2642
; %bb.2637:                             ;   in Loop: Header=BB6_2063 Depth=2
	v_bfe_u32 v3, v2, 23, 8
	v_and_b32_e32 v29, 0x7fffff, v2
	v_sub_nc_u32_e32 v30, 0x78, v3
	v_cmp_gt_u32_e32 vcc_lo, 0x79, v3
	v_or_b32_e32 v32, 0x800000, v29
	v_cndmask_b32_e32 v30, 0, v30, vcc_lo
	v_cmp_eq_u32_e32 vcc_lo, 0, v3
	v_add_nc_u32_e32 v3, 0xffffff89, v3
	v_cndmask_b32_e64 v30, v30, 0x77, vcc_lo
	v_cndmask_b32_e32 v29, v32, v29, vcc_lo
	v_cndmask_b32_e64 v3, v3, 0xffffff8a, vcc_lo
	v_lshl_add_u32 v32, 0x100000, v30, -1
	v_lshrrev_b32_e32 v35, v30, v29
	v_lshlrev_b32_e64 v49, v30, 0x80000
	v_add_nc_u32_e32 v30, v30, v3
	v_and_b32_e32 v29, v32, v29
	v_bfe_u32 v38, v35, 20, 1
	v_cmp_eq_u32_e64 s13, v29, v49
	v_add_nc_u32_e32 v32, -1, v38
	v_cndmask_b32_e64 v29, 0, v32, s13
	v_lshrrev_b32_e32 v32, 23, v35
	s_mov_b32 s13, exec_lo
	v_add_nc_u32_e32 v29, v29, v35
	v_xor_b32_e32 v32, 1, v32
	v_and_b32_e32 v3, 0xfffff, v29
	v_add_nc_u32_e32 v29, v3, v35
                                        ; implicit-def: $vgpr3
	v_cmpx_ne_u32_e64 v30, v32
	s_xor_b32 s13, exec_lo, s13
; %bb.2638:                             ;   in Loop: Header=BB6_2063 Depth=2
	v_cmp_lt_u32_e32 vcc_lo, 0xffffff, v29
	v_sub_nc_u32_e32 v3, v30, v32
	v_cndmask_b32_e64 v30, 0, 1, vcc_lo
	v_add_co_ci_u32_e64 v3, null, 0, v3, vcc_lo
	v_lshrrev_b32_e32 v29, v30, v29
; %bb.2639:                             ;   in Loop: Header=BB6_2063 Depth=2
	s_andn2_saveexec_b32 s13, s13
; %bb.2640:                             ;   in Loop: Header=BB6_2063 Depth=2
	v_bfe_u32 v3, v29, 23, 1
; %bb.2641:                             ;   in Loop: Header=BB6_2063 Depth=2
	s_or_b32 exec_lo, exec_lo, s13
	v_lshrrev_b32_e32 v29, 20, v29
	v_cmp_gt_i32_e32 vcc_lo, 16, v3
	v_min_i32_e32 v30, 15, v3
	v_and_b32_sdwa v2, v2, v59 dst_sel:DWORD dst_unused:UNUSED_PAD src0_sel:BYTE_3 src1_sel:DWORD
	v_cndmask_b32_e32 v29, 7, v29, vcc_lo
	v_lshlrev_b32_e32 v30, 3, v30
	v_and_b32_e32 v32, 7, v29
	v_or_b32_e32 v3, v3, v29
	v_or3_b32 v2, v30, v2, v32
	v_cmp_ne_u32_e32 vcc_lo, 0, v3
	v_cndmask_b32_e32 v29, 0, v2, vcc_lo
.LBB6_2642:                             ;   in Loop: Header=BB6_2063 Depth=2
	s_or_b32 exec_lo, exec_lo, s29
.LBB6_2643:                             ;   in Loop: Header=BB6_2063 Depth=2
	s_or_b32 exec_lo, exec_lo, s28
	v_cmp_gt_i16_sdwa s28, v28, v58 src0_sel:BYTE_0 src1_sel:DWORD
	s_mov_b32 s13, 0
	s_and_saveexec_b32 s29, s28
	s_xor_b32 s28, exec_lo, s29
	s_cbranch_execz .LBB6_2817
; %bb.2644:                             ;   in Loop: Header=BB6_2063 Depth=2
	v_cmp_eq_u16_sdwa s40, v28, v59 src0_sel:BYTE_0 src1_sel:DWORD
	s_mov_b32 s13, -1
	s_and_saveexec_b32 s29, s40
; %bb.2645:                             ;   in Loop: Header=BB6_2063 Depth=2
	s_xor_b32 s13, exec_lo, -1
; %bb.2646:                             ;   in Loop: Header=BB6_2063 Depth=2
	s_or_b32 exec_lo, exec_lo, s29
	s_and_b32 s13, s13, exec_lo
	s_or_saveexec_b32 s28, s28
	v_mov_b32_e32 v2, 0x7f800001
	s_xor_b32 exec_lo, exec_lo, s28
	s_cbranch_execnz .LBB6_2818
.LBB6_2647:                             ;   in Loop: Header=BB6_2063 Depth=2
	s_or_b32 exec_lo, exec_lo, s28
	s_and_saveexec_b32 s28, s13
	s_cbranch_execz .LBB6_2649
.LBB6_2648:                             ;   in Loop: Header=BB6_2063 Depth=2
	v_and_b32_e32 v2, 7, v28
	v_lshrrev_b16 v30, 3, v28
	v_ffbh_u32_e32 v3, v2
	v_and_b32_e32 v30, 15, v30
	v_min_u32_e32 v3, 32, v3
	v_cmp_eq_u32_e32 vcc_lo, 0, v30
	v_subrev_nc_u32_e32 v32, 28, v3
	v_sub_nc_u32_e32 v3, 29, v3
	v_lshlrev_b32_e32 v32, v32, v28
	v_lshlrev_b32_e32 v28, 24, v28
	v_cndmask_b32_e32 v3, v30, v3, vcc_lo
	v_and_b32_e32 v32, 7, v32
	v_and_b32_e32 v28, 0x80000000, v28
	v_lshl_add_u32 v3, v3, 23, 0x3b800000
	v_cndmask_b32_e32 v2, v2, v32, vcc_lo
	v_lshlrev_b32_e32 v2, 20, v2
	v_or3_b32 v2, v28, v3, v2
.LBB6_2649:                             ;   in Loop: Header=BB6_2063 Depth=2
	s_or_b32 exec_lo, exec_lo, s28
	s_waitcnt vmcnt(2) lgkmcnt(2)
	v_cmp_gt_i16_sdwa s28, v26, v58 src0_sel:BYTE_0 src1_sel:DWORD
	s_mov_b32 s13, 0
	s_and_saveexec_b32 s29, s28
	s_xor_b32 s28, exec_lo, s29
	s_cbranch_execz .LBB6_2819
; %bb.2650:                             ;   in Loop: Header=BB6_2063 Depth=2
	v_cmp_eq_u16_sdwa s40, v26, v59 src0_sel:BYTE_0 src1_sel:DWORD
	s_mov_b32 s13, -1
	s_and_saveexec_b32 s29, s40
; %bb.2651:                             ;   in Loop: Header=BB6_2063 Depth=2
	s_xor_b32 s13, exec_lo, -1
; %bb.2652:                             ;   in Loop: Header=BB6_2063 Depth=2
	s_or_b32 exec_lo, exec_lo, s29
	s_and_b32 s13, s13, exec_lo
	s_or_saveexec_b32 s28, s28
	v_mov_b32_e32 v3, 0x7f800001
	s_xor_b32 exec_lo, exec_lo, s28
	s_cbranch_execnz .LBB6_2820
.LBB6_2653:                             ;   in Loop: Header=BB6_2063 Depth=2
	s_or_b32 exec_lo, exec_lo, s28
	s_and_saveexec_b32 s28, s13
	s_cbranch_execz .LBB6_2655
.LBB6_2654:                             ;   in Loop: Header=BB6_2063 Depth=2
	v_and_b32_e32 v3, 7, v26
	v_lshrrev_b16 v30, 3, v26
	v_ffbh_u32_e32 v28, v3
	v_and_b32_e32 v30, 15, v30
	v_min_u32_e32 v28, 32, v28
	v_cmp_eq_u32_e32 vcc_lo, 0, v30
	v_subrev_nc_u32_e32 v32, 28, v28
	v_sub_nc_u32_e32 v28, 29, v28
	v_lshlrev_b32_e32 v32, v32, v26
	v_lshlrev_b32_e32 v26, 24, v26
	v_cndmask_b32_e32 v28, v30, v28, vcc_lo
	v_and_b32_e32 v32, 7, v32
	v_and_b32_e32 v26, 0x80000000, v26
	v_lshl_add_u32 v28, v28, 23, 0x3b800000
	v_cndmask_b32_e32 v3, v3, v32, vcc_lo
	v_lshlrev_b32_e32 v3, 20, v3
	v_or3_b32 v3, v26, v28, v3
.LBB6_2655:                             ;   in Loop: Header=BB6_2063 Depth=2
	s_or_b32 exec_lo, exec_lo, s28
	v_add_f32_e32 v2, v2, v3
	v_mov_b32_e32 v26, 0x80
	s_mov_b32 s28, exec_lo
	v_and_b32_e32 v3, 0x7f800000, v2
	v_cmpx_ne_u32_e32 0x7f800000, v3
	s_cbranch_execz .LBB6_2663
; %bb.2656:                             ;   in Loop: Header=BB6_2063 Depth=2
	v_mov_b32_e32 v26, 0
	s_mov_b32 s29, exec_lo
	v_cmpx_ne_u32_e32 0, v2
	s_cbranch_execz .LBB6_2662
; %bb.2657:                             ;   in Loop: Header=BB6_2063 Depth=2
	v_bfe_u32 v3, v2, 23, 8
	v_and_b32_e32 v26, 0x7fffff, v2
	v_sub_nc_u32_e32 v28, 0x78, v3
	v_cmp_gt_u32_e32 vcc_lo, 0x79, v3
	v_or_b32_e32 v30, 0x800000, v26
	v_cndmask_b32_e32 v28, 0, v28, vcc_lo
	v_cmp_eq_u32_e32 vcc_lo, 0, v3
	v_add_nc_u32_e32 v3, 0xffffff89, v3
	v_cndmask_b32_e64 v28, v28, 0x77, vcc_lo
	v_cndmask_b32_e32 v26, v30, v26, vcc_lo
	v_cndmask_b32_e64 v3, v3, 0xffffff8a, vcc_lo
	v_lshl_add_u32 v30, 0x100000, v28, -1
	v_lshrrev_b32_e32 v32, v28, v26
	v_lshlrev_b32_e64 v38, v28, 0x80000
	v_add_nc_u32_e32 v28, v28, v3
	v_and_b32_e32 v26, v30, v26
	v_bfe_u32 v35, v32, 20, 1
	v_cmp_eq_u32_e64 s13, v26, v38
	v_add_nc_u32_e32 v30, -1, v35
	v_cndmask_b32_e64 v26, 0, v30, s13
	v_lshrrev_b32_e32 v30, 23, v32
	s_mov_b32 s13, exec_lo
	v_add_nc_u32_e32 v26, v26, v32
	v_xor_b32_e32 v30, 1, v30
	v_and_b32_e32 v3, 0xfffff, v26
	v_add_nc_u32_e32 v26, v3, v32
                                        ; implicit-def: $vgpr3
	v_cmpx_ne_u32_e64 v28, v30
	s_xor_b32 s13, exec_lo, s13
; %bb.2658:                             ;   in Loop: Header=BB6_2063 Depth=2
	v_cmp_lt_u32_e32 vcc_lo, 0xffffff, v26
	v_sub_nc_u32_e32 v3, v28, v30
	v_cndmask_b32_e64 v28, 0, 1, vcc_lo
	v_add_co_ci_u32_e64 v3, null, 0, v3, vcc_lo
	v_lshrrev_b32_e32 v26, v28, v26
; %bb.2659:                             ;   in Loop: Header=BB6_2063 Depth=2
	s_andn2_saveexec_b32 s13, s13
; %bb.2660:                             ;   in Loop: Header=BB6_2063 Depth=2
	v_bfe_u32 v3, v26, 23, 1
; %bb.2661:                             ;   in Loop: Header=BB6_2063 Depth=2
	s_or_b32 exec_lo, exec_lo, s13
	v_lshrrev_b32_e32 v26, 20, v26
	v_cmp_gt_i32_e32 vcc_lo, 16, v3
	v_min_i32_e32 v28, 15, v3
	v_and_b32_sdwa v2, v2, v59 dst_sel:DWORD dst_unused:UNUSED_PAD src0_sel:BYTE_3 src1_sel:DWORD
	v_cndmask_b32_e32 v26, 7, v26, vcc_lo
	v_lshlrev_b32_e32 v28, 3, v28
	v_and_b32_e32 v30, 7, v26
	v_or_b32_e32 v3, v3, v26
	v_or3_b32 v2, v28, v2, v30
	v_cmp_ne_u32_e32 vcc_lo, 0, v3
	v_cndmask_b32_e32 v26, 0, v2, vcc_lo
.LBB6_2662:                             ;   in Loop: Header=BB6_2063 Depth=2
	s_or_b32 exec_lo, exec_lo, s29
.LBB6_2663:                             ;   in Loop: Header=BB6_2063 Depth=2
	s_or_b32 exec_lo, exec_lo, s28
	v_cmp_gt_i16_sdwa s28, v25, v58 src0_sel:BYTE_0 src1_sel:DWORD
	s_mov_b32 s13, 0
	s_and_saveexec_b32 s29, s28
	s_xor_b32 s28, exec_lo, s29
	s_cbranch_execz .LBB6_2821
; %bb.2664:                             ;   in Loop: Header=BB6_2063 Depth=2
	v_cmp_eq_u16_sdwa s40, v25, v59 src0_sel:BYTE_0 src1_sel:DWORD
	s_mov_b32 s13, -1
	s_and_saveexec_b32 s29, s40
; %bb.2665:                             ;   in Loop: Header=BB6_2063 Depth=2
	s_xor_b32 s13, exec_lo, -1
; %bb.2666:                             ;   in Loop: Header=BB6_2063 Depth=2
	s_or_b32 exec_lo, exec_lo, s29
	s_and_b32 s13, s13, exec_lo
	s_or_saveexec_b32 s28, s28
	v_mov_b32_e32 v2, 0x7f800001
	s_xor_b32 exec_lo, exec_lo, s28
	s_cbranch_execnz .LBB6_2822
.LBB6_2667:                             ;   in Loop: Header=BB6_2063 Depth=2
	s_or_b32 exec_lo, exec_lo, s28
	s_and_saveexec_b32 s28, s13
	s_cbranch_execz .LBB6_2669
.LBB6_2668:                             ;   in Loop: Header=BB6_2063 Depth=2
	v_and_b32_e32 v2, 7, v25
	v_lshrrev_b16 v28, 3, v25
	v_ffbh_u32_e32 v3, v2
	v_and_b32_e32 v28, 15, v28
	v_min_u32_e32 v3, 32, v3
	v_cmp_eq_u32_e32 vcc_lo, 0, v28
	v_subrev_nc_u32_e32 v30, 28, v3
	v_sub_nc_u32_e32 v3, 29, v3
	v_lshlrev_b32_e32 v30, v30, v25
	v_lshlrev_b32_e32 v25, 24, v25
	v_cndmask_b32_e32 v3, v28, v3, vcc_lo
	v_and_b32_e32 v30, 7, v30
	v_and_b32_e32 v25, 0x80000000, v25
	v_lshl_add_u32 v3, v3, 23, 0x3b800000
	v_cndmask_b32_e32 v2, v2, v30, vcc_lo
	v_lshlrev_b32_e32 v2, 20, v2
	v_or3_b32 v2, v25, v3, v2
.LBB6_2669:                             ;   in Loop: Header=BB6_2063 Depth=2
	s_or_b32 exec_lo, exec_lo, s28
	s_waitcnt vmcnt(1) lgkmcnt(1)
	v_cmp_gt_i16_sdwa s28, v24, v58 src0_sel:BYTE_0 src1_sel:DWORD
	s_mov_b32 s13, 0
	s_and_saveexec_b32 s29, s28
	s_xor_b32 s28, exec_lo, s29
	s_cbranch_execz .LBB6_2823
; %bb.2670:                             ;   in Loop: Header=BB6_2063 Depth=2
	v_cmp_eq_u16_sdwa s40, v24, v59 src0_sel:BYTE_0 src1_sel:DWORD
	s_mov_b32 s13, -1
	s_and_saveexec_b32 s29, s40
; %bb.2671:                             ;   in Loop: Header=BB6_2063 Depth=2
	s_xor_b32 s13, exec_lo, -1
; %bb.2672:                             ;   in Loop: Header=BB6_2063 Depth=2
	s_or_b32 exec_lo, exec_lo, s29
	s_and_b32 s13, s13, exec_lo
	s_or_saveexec_b32 s28, s28
	v_mov_b32_e32 v3, 0x7f800001
	s_xor_b32 exec_lo, exec_lo, s28
	s_cbranch_execnz .LBB6_2824
.LBB6_2673:                             ;   in Loop: Header=BB6_2063 Depth=2
	s_or_b32 exec_lo, exec_lo, s28
	s_and_saveexec_b32 s28, s13
	s_cbranch_execz .LBB6_2675
.LBB6_2674:                             ;   in Loop: Header=BB6_2063 Depth=2
	v_and_b32_e32 v3, 7, v24
	v_lshrrev_b16 v28, 3, v24
	v_ffbh_u32_e32 v25, v3
	v_and_b32_e32 v28, 15, v28
	v_min_u32_e32 v25, 32, v25
	v_cmp_eq_u32_e32 vcc_lo, 0, v28
	v_subrev_nc_u32_e32 v30, 28, v25
	v_sub_nc_u32_e32 v25, 29, v25
	v_lshlrev_b32_e32 v30, v30, v24
	v_lshlrev_b32_e32 v24, 24, v24
	v_cndmask_b32_e32 v25, v28, v25, vcc_lo
	v_and_b32_e32 v30, 7, v30
	v_and_b32_e32 v24, 0x80000000, v24
	v_lshl_add_u32 v25, v25, 23, 0x3b800000
	v_cndmask_b32_e32 v3, v3, v30, vcc_lo
	v_lshlrev_b32_e32 v3, 20, v3
	v_or3_b32 v3, v24, v25, v3
.LBB6_2675:                             ;   in Loop: Header=BB6_2063 Depth=2
	s_or_b32 exec_lo, exec_lo, s28
	v_add_f32_e32 v2, v2, v3
	v_mov_b32_e32 v24, 0x80
	s_mov_b32 s28, exec_lo
	v_and_b32_e32 v3, 0x7f800000, v2
	v_cmpx_ne_u32_e32 0x7f800000, v3
	s_cbranch_execz .LBB6_2683
; %bb.2676:                             ;   in Loop: Header=BB6_2063 Depth=2
	v_mov_b32_e32 v24, 0
	s_mov_b32 s29, exec_lo
	v_cmpx_ne_u32_e32 0, v2
	s_cbranch_execz .LBB6_2682
; %bb.2677:                             ;   in Loop: Header=BB6_2063 Depth=2
	v_bfe_u32 v3, v2, 23, 8
	v_and_b32_e32 v24, 0x7fffff, v2
	v_sub_nc_u32_e32 v25, 0x78, v3
	v_cmp_gt_u32_e32 vcc_lo, 0x79, v3
	v_or_b32_e32 v28, 0x800000, v24
	v_cndmask_b32_e32 v25, 0, v25, vcc_lo
	v_cmp_eq_u32_e32 vcc_lo, 0, v3
	v_add_nc_u32_e32 v3, 0xffffff89, v3
	v_cndmask_b32_e64 v25, v25, 0x77, vcc_lo
	v_cndmask_b32_e32 v24, v28, v24, vcc_lo
	v_cndmask_b32_e64 v3, v3, 0xffffff8a, vcc_lo
	v_lshl_add_u32 v28, 0x100000, v25, -1
	v_lshrrev_b32_e32 v30, v25, v24
	v_lshlrev_b32_e64 v35, v25, 0x80000
	v_add_nc_u32_e32 v25, v25, v3
	v_and_b32_e32 v24, v28, v24
	v_bfe_u32 v32, v30, 20, 1
	v_cmp_eq_u32_e64 s13, v24, v35
	v_add_nc_u32_e32 v28, -1, v32
	v_cndmask_b32_e64 v24, 0, v28, s13
	v_lshrrev_b32_e32 v28, 23, v30
	s_mov_b32 s13, exec_lo
	v_add_nc_u32_e32 v24, v24, v30
	v_xor_b32_e32 v28, 1, v28
	v_and_b32_e32 v3, 0xfffff, v24
	v_add_nc_u32_e32 v24, v3, v30
                                        ; implicit-def: $vgpr3
	v_cmpx_ne_u32_e64 v25, v28
	s_xor_b32 s13, exec_lo, s13
; %bb.2678:                             ;   in Loop: Header=BB6_2063 Depth=2
	v_cmp_lt_u32_e32 vcc_lo, 0xffffff, v24
	v_sub_nc_u32_e32 v3, v25, v28
	v_cndmask_b32_e64 v25, 0, 1, vcc_lo
	v_add_co_ci_u32_e64 v3, null, 0, v3, vcc_lo
	v_lshrrev_b32_e32 v24, v25, v24
; %bb.2679:                             ;   in Loop: Header=BB6_2063 Depth=2
	s_andn2_saveexec_b32 s13, s13
; %bb.2680:                             ;   in Loop: Header=BB6_2063 Depth=2
	v_bfe_u32 v3, v24, 23, 1
; %bb.2681:                             ;   in Loop: Header=BB6_2063 Depth=2
	s_or_b32 exec_lo, exec_lo, s13
	v_lshrrev_b32_e32 v24, 20, v24
	v_cmp_gt_i32_e32 vcc_lo, 16, v3
	v_min_i32_e32 v25, 15, v3
	v_and_b32_sdwa v2, v2, v59 dst_sel:DWORD dst_unused:UNUSED_PAD src0_sel:BYTE_3 src1_sel:DWORD
	v_cndmask_b32_e32 v24, 7, v24, vcc_lo
	v_lshlrev_b32_e32 v25, 3, v25
	v_and_b32_e32 v28, 7, v24
	v_or_b32_e32 v3, v3, v24
	v_or3_b32 v2, v25, v2, v28
	v_cmp_ne_u32_e32 vcc_lo, 0, v3
	v_cndmask_b32_e32 v24, 0, v2, vcc_lo
.LBB6_2682:                             ;   in Loop: Header=BB6_2063 Depth=2
	s_or_b32 exec_lo, exec_lo, s29
.LBB6_2683:                             ;   in Loop: Header=BB6_2063 Depth=2
	s_or_b32 exec_lo, exec_lo, s28
	v_cmp_gt_i16_sdwa s28, v22, v58 src0_sel:BYTE_0 src1_sel:DWORD
	s_mov_b32 s13, 0
	s_and_saveexec_b32 s29, s28
	s_xor_b32 s28, exec_lo, s29
	s_cbranch_execz .LBB6_2825
; %bb.2684:                             ;   in Loop: Header=BB6_2063 Depth=2
	v_cmp_eq_u16_sdwa s40, v22, v59 src0_sel:BYTE_0 src1_sel:DWORD
	s_mov_b32 s13, -1
	s_and_saveexec_b32 s29, s40
; %bb.2685:                             ;   in Loop: Header=BB6_2063 Depth=2
	s_xor_b32 s13, exec_lo, -1
; %bb.2686:                             ;   in Loop: Header=BB6_2063 Depth=2
	s_or_b32 exec_lo, exec_lo, s29
	s_and_b32 s13, s13, exec_lo
	s_or_saveexec_b32 s28, s28
	v_mov_b32_e32 v2, 0x7f800001
	s_xor_b32 exec_lo, exec_lo, s28
	s_cbranch_execnz .LBB6_2826
.LBB6_2687:                             ;   in Loop: Header=BB6_2063 Depth=2
	s_or_b32 exec_lo, exec_lo, s28
	s_and_saveexec_b32 s28, s13
	s_cbranch_execz .LBB6_2689
.LBB6_2688:                             ;   in Loop: Header=BB6_2063 Depth=2
	v_and_b32_e32 v2, 7, v22
	v_lshrrev_b16 v25, 3, v22
	v_ffbh_u32_e32 v3, v2
	v_and_b32_e32 v25, 15, v25
	v_min_u32_e32 v3, 32, v3
	v_cmp_eq_u32_e32 vcc_lo, 0, v25
	v_subrev_nc_u32_e32 v28, 28, v3
	v_sub_nc_u32_e32 v3, 29, v3
	v_lshlrev_b32_e32 v28, v28, v22
	v_lshlrev_b32_e32 v22, 24, v22
	v_cndmask_b32_e32 v3, v25, v3, vcc_lo
	v_and_b32_e32 v28, 7, v28
	v_and_b32_e32 v22, 0x80000000, v22
	v_lshl_add_u32 v3, v3, 23, 0x3b800000
	v_cndmask_b32_e32 v2, v2, v28, vcc_lo
	v_lshlrev_b32_e32 v2, 20, v2
	v_or3_b32 v2, v22, v3, v2
.LBB6_2689:                             ;   in Loop: Header=BB6_2063 Depth=2
	s_or_b32 exec_lo, exec_lo, s28
	s_waitcnt vmcnt(0) lgkmcnt(0)
	v_cmp_gt_i16_sdwa s28, v21, v58 src0_sel:BYTE_0 src1_sel:DWORD
	s_mov_b32 s13, 0
	s_and_saveexec_b32 s29, s28
	s_xor_b32 s28, exec_lo, s29
	s_cbranch_execz .LBB6_2827
; %bb.2690:                             ;   in Loop: Header=BB6_2063 Depth=2
	v_cmp_eq_u16_sdwa s40, v21, v59 src0_sel:BYTE_0 src1_sel:DWORD
	s_mov_b32 s13, -1
	s_and_saveexec_b32 s29, s40
; %bb.2691:                             ;   in Loop: Header=BB6_2063 Depth=2
	s_xor_b32 s13, exec_lo, -1
; %bb.2692:                             ;   in Loop: Header=BB6_2063 Depth=2
	s_or_b32 exec_lo, exec_lo, s29
	s_and_b32 s13, s13, exec_lo
	s_or_saveexec_b32 s28, s28
	v_mov_b32_e32 v3, 0x7f800001
	s_xor_b32 exec_lo, exec_lo, s28
	s_cbranch_execnz .LBB6_2828
.LBB6_2693:                             ;   in Loop: Header=BB6_2063 Depth=2
	s_or_b32 exec_lo, exec_lo, s28
	s_and_saveexec_b32 s28, s13
	s_cbranch_execz .LBB6_2695
.LBB6_2694:                             ;   in Loop: Header=BB6_2063 Depth=2
	v_and_b32_e32 v3, 7, v21
	v_lshrrev_b16 v25, 3, v21
	v_ffbh_u32_e32 v22, v3
	v_and_b32_e32 v25, 15, v25
	v_min_u32_e32 v22, 32, v22
	v_cmp_eq_u32_e32 vcc_lo, 0, v25
	v_subrev_nc_u32_e32 v28, 28, v22
	v_sub_nc_u32_e32 v22, 29, v22
	v_lshlrev_b32_e32 v28, v28, v21
	v_lshlrev_b32_e32 v21, 24, v21
	v_cndmask_b32_e32 v22, v25, v22, vcc_lo
	v_and_b32_e32 v28, 7, v28
	v_and_b32_e32 v21, 0x80000000, v21
	v_lshl_add_u32 v22, v22, 23, 0x3b800000
	v_cndmask_b32_e32 v3, v3, v28, vcc_lo
	v_lshlrev_b32_e32 v3, 20, v3
	v_or3_b32 v3, v21, v22, v3
.LBB6_2695:                             ;   in Loop: Header=BB6_2063 Depth=2
	s_or_b32 exec_lo, exec_lo, s28
	v_add_f32_e32 v3, v2, v3
	v_and_b32_e32 v2, 0x7f800000, v3
	v_cmp_ne_u32_e32 vcc_lo, 0x7f800000, v2
	v_mov_b32_e32 v2, 0x80
	s_and_saveexec_b32 s28, vcc_lo
	s_cbranch_execz .LBB6_2062
; %bb.2696:                             ;   in Loop: Header=BB6_2063 Depth=2
	v_mov_b32_e32 v2, 0
	s_mov_b32 s29, exec_lo
	v_cmpx_ne_u32_e32 0, v3
	s_cbranch_execz .LBB6_2061
; %bb.2697:                             ;   in Loop: Header=BB6_2063 Depth=2
	v_bfe_u32 v2, v3, 23, 8
	v_and_b32_e32 v21, 0x7fffff, v3
	v_sub_nc_u32_e32 v22, 0x78, v2
	v_cmp_gt_u32_e32 vcc_lo, 0x79, v2
	v_or_b32_e32 v25, 0x800000, v21
	v_cndmask_b32_e32 v22, 0, v22, vcc_lo
	v_cmp_eq_u32_e32 vcc_lo, 0, v2
	v_add_nc_u32_e32 v2, 0xffffff89, v2
	v_cndmask_b32_e64 v22, v22, 0x77, vcc_lo
	v_cndmask_b32_e32 v21, v25, v21, vcc_lo
	v_cndmask_b32_e64 v2, v2, 0xffffff8a, vcc_lo
	v_lshl_add_u32 v25, 0x100000, v22, -1
	v_lshrrev_b32_e32 v28, v22, v21
	v_lshlrev_b32_e64 v32, v22, 0x80000
	v_add_nc_u32_e32 v22, v22, v2
	v_and_b32_e32 v21, v25, v21
	v_bfe_u32 v30, v28, 20, 1
	v_cmp_eq_u32_e64 s13, v21, v32
	v_add_nc_u32_e32 v25, -1, v30
	v_cndmask_b32_e64 v21, 0, v25, s13
	v_lshrrev_b32_e32 v25, 23, v28
	s_mov_b32 s13, exec_lo
	v_add_nc_u32_e32 v21, v21, v28
	v_xor_b32_e32 v25, 1, v25
	v_and_b32_e32 v2, 0xfffff, v21
	v_add_nc_u32_e32 v21, v2, v28
                                        ; implicit-def: $vgpr2
	v_cmpx_ne_u32_e64 v22, v25
	s_xor_b32 s13, exec_lo, s13
; %bb.2698:                             ;   in Loop: Header=BB6_2063 Depth=2
	v_cmp_lt_u32_e32 vcc_lo, 0xffffff, v21
	v_sub_nc_u32_e32 v2, v22, v25
	v_cndmask_b32_e64 v22, 0, 1, vcc_lo
	v_add_co_ci_u32_e64 v2, null, 0, v2, vcc_lo
	v_lshrrev_b32_e32 v21, v22, v21
; %bb.2699:                             ;   in Loop: Header=BB6_2063 Depth=2
	s_andn2_saveexec_b32 s13, s13
	s_cbranch_execz .LBB6_2060
; %bb.2700:                             ;   in Loop: Header=BB6_2063 Depth=2
	v_bfe_u32 v2, v21, 23, 1
	s_branch .LBB6_2060
.LBB6_2701:                             ;   in Loop: Header=BB6_2063 Depth=2
	s_or_saveexec_b32 s28, s28
	v_mov_b32_e32 v23, 0x7f800001
	s_xor_b32 exec_lo, exec_lo, s28
	s_cbranch_execz .LBB6_2067
.LBB6_2702:                             ;   in Loop: Header=BB6_2063 Depth=2
	v_cmp_ne_u16_e32 vcc_lo, 0, v2
	v_mov_b32_e32 v23, 0
	s_andn2_b32 s13, s13, exec_lo
	s_and_b32 s29, vcc_lo, exec_lo
	s_or_b32 s13, s13, s29
	s_or_b32 exec_lo, exec_lo, s28
	s_and_saveexec_b32 s28, s13
	s_cbranch_execnz .LBB6_2068
	s_branch .LBB6_2069
.LBB6_2703:                             ;   in Loop: Header=BB6_2063 Depth=2
	s_or_saveexec_b32 s13, s13
	v_mov_b32_e32 v2, 0x7f800001
	s_xor_b32 exec_lo, exec_lo, s13
	s_cbranch_execz .LBB6_2073
.LBB6_2704:                             ;   in Loop: Header=BB6_2063 Depth=2
	v_cmp_ne_u16_sdwa s29, v3, v84 src0_sel:BYTE_0 src1_sel:DWORD
	v_mov_b32_e32 v2, 0
	s_andn2_b32 s28, s28, exec_lo
	s_and_b32 s29, s29, exec_lo
	s_or_b32 s28, s28, s29
	s_or_b32 exec_lo, exec_lo, s13
	s_and_saveexec_b32 s13, s28
	s_cbranch_execnz .LBB6_2074
	s_branch .LBB6_2075
.LBB6_2705:                             ;   in Loop: Header=BB6_2063 Depth=2
	s_or_saveexec_b32 s28, s28
	v_mov_b32_e32 v2, 0x7f800001
	s_xor_b32 exec_lo, exec_lo, s28
	s_cbranch_execz .LBB6_2087
.LBB6_2706:                             ;   in Loop: Header=BB6_2063 Depth=2
	v_cmp_ne_u16_sdwa s29, v27, v84 src0_sel:BYTE_0 src1_sel:DWORD
	v_mov_b32_e32 v2, 0
	s_andn2_b32 s13, s13, exec_lo
	s_and_b32 s29, s29, exec_lo
	s_or_b32 s13, s13, s29
	s_or_b32 exec_lo, exec_lo, s28
	s_and_saveexec_b32 s28, s13
	s_cbranch_execnz .LBB6_2088
	s_branch .LBB6_2089
.LBB6_2707:                             ;   in Loop: Header=BB6_2063 Depth=2
	s_or_saveexec_b32 s28, s28
	v_mov_b32_e32 v3, 0x7f800001
	s_xor_b32 exec_lo, exec_lo, s28
	s_cbranch_execz .LBB6_2093
.LBB6_2708:                             ;   in Loop: Header=BB6_2063 Depth=2
	v_cmp_ne_u16_sdwa s29, v30, v84 src0_sel:BYTE_0 src1_sel:DWORD
	v_mov_b32_e32 v3, 0
	s_andn2_b32 s13, s13, exec_lo
	s_and_b32 s29, s29, exec_lo
	s_or_b32 s13, s13, s29
	s_or_b32 exec_lo, exec_lo, s28
	s_and_saveexec_b32 s28, s13
	s_cbranch_execnz .LBB6_2094
	s_branch .LBB6_2095
.LBB6_2709:                             ;   in Loop: Header=BB6_2063 Depth=2
	s_or_saveexec_b32 s28, s28
	v_mov_b32_e32 v2, 0x7f800001
	s_xor_b32 exec_lo, exec_lo, s28
	s_cbranch_execz .LBB6_2107
.LBB6_2710:                             ;   in Loop: Header=BB6_2063 Depth=2
	v_cmp_ne_u16_sdwa s29, v33, v84 src0_sel:BYTE_0 src1_sel:DWORD
	v_mov_b32_e32 v2, 0
	s_andn2_b32 s13, s13, exec_lo
	s_and_b32 s29, s29, exec_lo
	s_or_b32 s13, s13, s29
	s_or_b32 exec_lo, exec_lo, s28
	s_and_saveexec_b32 s28, s13
	s_cbranch_execnz .LBB6_2108
	s_branch .LBB6_2109
.LBB6_2711:                             ;   in Loop: Header=BB6_2063 Depth=2
	s_or_saveexec_b32 s28, s28
	v_mov_b32_e32 v3, 0x7f800001
	s_xor_b32 exec_lo, exec_lo, s28
	s_cbranch_execz .LBB6_2113
.LBB6_2712:                             ;   in Loop: Header=BB6_2063 Depth=2
	v_cmp_ne_u16_sdwa s29, v125, v84 src0_sel:BYTE_0 src1_sel:DWORD
	v_mov_b32_e32 v3, 0
	s_andn2_b32 s13, s13, exec_lo
	s_and_b32 s29, s29, exec_lo
	s_or_b32 s13, s13, s29
	s_or_b32 exec_lo, exec_lo, s28
	s_and_saveexec_b32 s28, s13
	s_cbranch_execnz .LBB6_2114
	s_branch .LBB6_2115
.LBB6_2713:                             ;   in Loop: Header=BB6_2063 Depth=2
	s_or_saveexec_b32 s28, s28
	v_mov_b32_e32 v2, 0x7f800001
	s_xor_b32 exec_lo, exec_lo, s28
	s_cbranch_execz .LBB6_2127
.LBB6_2714:                             ;   in Loop: Header=BB6_2063 Depth=2
	v_cmp_ne_u16_sdwa s29, v36, v84 src0_sel:BYTE_0 src1_sel:DWORD
	v_mov_b32_e32 v2, 0
	s_andn2_b32 s13, s13, exec_lo
	s_and_b32 s29, s29, exec_lo
	s_or_b32 s13, s13, s29
	s_or_b32 exec_lo, exec_lo, s28
	s_and_saveexec_b32 s28, s13
	s_cbranch_execnz .LBB6_2128
	s_branch .LBB6_2129
.LBB6_2715:                             ;   in Loop: Header=BB6_2063 Depth=2
	s_or_saveexec_b32 s28, s28
	v_mov_b32_e32 v3, 0x7f800001
	s_xor_b32 exec_lo, exec_lo, s28
	s_cbranch_execz .LBB6_2133
.LBB6_2716:                             ;   in Loop: Header=BB6_2063 Depth=2
	v_cmp_ne_u16_sdwa s29, v124, v84 src0_sel:BYTE_0 src1_sel:DWORD
	v_mov_b32_e32 v3, 0
	s_andn2_b32 s13, s13, exec_lo
	s_and_b32 s29, s29, exec_lo
	s_or_b32 s13, s13, s29
	s_or_b32 exec_lo, exec_lo, s28
	s_and_saveexec_b32 s28, s13
	s_cbranch_execnz .LBB6_2134
	s_branch .LBB6_2135
.LBB6_2717:                             ;   in Loop: Header=BB6_2063 Depth=2
	s_or_saveexec_b32 s28, s28
	v_mov_b32_e32 v2, 0x7f800001
	s_xor_b32 exec_lo, exec_lo, s28
	s_cbranch_execz .LBB6_2147
.LBB6_2718:                             ;   in Loop: Header=BB6_2063 Depth=2
	v_cmp_ne_u16_sdwa s29, v39, v84 src0_sel:BYTE_0 src1_sel:DWORD
	v_mov_b32_e32 v2, 0
	s_andn2_b32 s13, s13, exec_lo
	s_and_b32 s29, s29, exec_lo
	s_or_b32 s13, s13, s29
	s_or_b32 exec_lo, exec_lo, s28
	s_and_saveexec_b32 s28, s13
	s_cbranch_execnz .LBB6_2148
	s_branch .LBB6_2149
.LBB6_2719:                             ;   in Loop: Header=BB6_2063 Depth=2
	s_or_saveexec_b32 s28, s28
	v_mov_b32_e32 v3, 0x7f800001
	s_xor_b32 exec_lo, exec_lo, s28
	s_cbranch_execz .LBB6_2153
.LBB6_2720:                             ;   in Loop: Header=BB6_2063 Depth=2
	v_cmp_ne_u16_sdwa s29, v57, v84 src0_sel:BYTE_0 src1_sel:DWORD
	v_mov_b32_e32 v3, 0
	s_andn2_b32 s13, s13, exec_lo
	s_and_b32 s29, s29, exec_lo
	s_or_b32 s13, s13, s29
	s_or_b32 exec_lo, exec_lo, s28
	s_and_saveexec_b32 s28, s13
	s_cbranch_execnz .LBB6_2154
	s_branch .LBB6_2155
.LBB6_2721:                             ;   in Loop: Header=BB6_2063 Depth=2
	s_or_saveexec_b32 s28, s28
	v_mov_b32_e32 v2, 0x7f800001
	s_xor_b32 exec_lo, exec_lo, s28
	s_cbranch_execz .LBB6_2167
.LBB6_2722:                             ;   in Loop: Header=BB6_2063 Depth=2
	v_cmp_ne_u16_sdwa s29, v98, v84 src0_sel:BYTE_0 src1_sel:DWORD
	v_mov_b32_e32 v2, 0
	s_andn2_b32 s13, s13, exec_lo
	s_and_b32 s29, s29, exec_lo
	s_or_b32 s13, s13, s29
	s_or_b32 exec_lo, exec_lo, s28
	s_and_saveexec_b32 s28, s13
	s_cbranch_execnz .LBB6_2168
	s_branch .LBB6_2169
.LBB6_2723:                             ;   in Loop: Header=BB6_2063 Depth=2
	s_or_saveexec_b32 s28, s28
	v_mov_b32_e32 v3, 0x7f800001
	s_xor_b32 exec_lo, exec_lo, s28
	s_cbranch_execz .LBB6_2173
.LBB6_2724:                             ;   in Loop: Header=BB6_2063 Depth=2
	v_cmp_ne_u16_sdwa s29, v123, v84 src0_sel:BYTE_0 src1_sel:DWORD
	v_mov_b32_e32 v3, 0
	s_andn2_b32 s13, s13, exec_lo
	s_and_b32 s29, s29, exec_lo
	s_or_b32 s13, s13, s29
	s_or_b32 exec_lo, exec_lo, s28
	s_and_saveexec_b32 s28, s13
	s_cbranch_execnz .LBB6_2174
	s_branch .LBB6_2175
.LBB6_2725:                             ;   in Loop: Header=BB6_2063 Depth=2
	s_or_saveexec_b32 s28, s28
	v_mov_b32_e32 v2, 0x7f800001
	s_xor_b32 exec_lo, exec_lo, s28
	s_cbranch_execz .LBB6_2187
.LBB6_2726:                             ;   in Loop: Header=BB6_2063 Depth=2
	v_cmp_ne_u16_sdwa s29, v101, v84 src0_sel:BYTE_0 src1_sel:DWORD
	v_mov_b32_e32 v2, 0
	s_andn2_b32 s13, s13, exec_lo
	s_and_b32 s29, s29, exec_lo
	s_or_b32 s13, s13, s29
	s_or_b32 exec_lo, exec_lo, s28
	s_and_saveexec_b32 s28, s13
	s_cbranch_execnz .LBB6_2188
	s_branch .LBB6_2189
.LBB6_2727:                             ;   in Loop: Header=BB6_2063 Depth=2
	s_or_saveexec_b32 s28, s28
	v_mov_b32_e32 v3, 0x7f800001
	s_xor_b32 exec_lo, exec_lo, s28
	s_cbranch_execz .LBB6_2193
.LBB6_2728:                             ;   in Loop: Header=BB6_2063 Depth=2
	v_cmp_ne_u16_sdwa s29, v122, v84 src0_sel:BYTE_0 src1_sel:DWORD
	v_mov_b32_e32 v3, 0
	s_andn2_b32 s13, s13, exec_lo
	s_and_b32 s29, s29, exec_lo
	s_or_b32 s13, s13, s29
	s_or_b32 exec_lo, exec_lo, s28
	s_and_saveexec_b32 s28, s13
	s_cbranch_execnz .LBB6_2194
	s_branch .LBB6_2195
.LBB6_2729:                             ;   in Loop: Header=BB6_2063 Depth=2
	s_or_saveexec_b32 s28, s28
	v_mov_b32_e32 v2, 0x7f800001
	s_xor_b32 exec_lo, exec_lo, s28
	s_cbranch_execz .LBB6_2207
.LBB6_2730:                             ;   in Loop: Header=BB6_2063 Depth=2
	v_cmp_ne_u16_sdwa s29, v112, v84 src0_sel:BYTE_0 src1_sel:DWORD
	v_mov_b32_e32 v2, 0
	s_andn2_b32 s13, s13, exec_lo
	s_and_b32 s29, s29, exec_lo
	s_or_b32 s13, s13, s29
	s_or_b32 exec_lo, exec_lo, s28
	s_and_saveexec_b32 s28, s13
	s_cbranch_execnz .LBB6_2208
	s_branch .LBB6_2209
.LBB6_2731:                             ;   in Loop: Header=BB6_2063 Depth=2
	s_or_saveexec_b32 s28, s28
	v_mov_b32_e32 v3, 0x7f800001
	s_xor_b32 exec_lo, exec_lo, s28
	s_cbranch_execz .LBB6_2213
.LBB6_2732:                             ;   in Loop: Header=BB6_2063 Depth=2
	v_cmp_ne_u16_sdwa s29, v121, v84 src0_sel:BYTE_0 src1_sel:DWORD
	v_mov_b32_e32 v3, 0
	s_andn2_b32 s13, s13, exec_lo
	s_and_b32 s29, s29, exec_lo
	s_or_b32 s13, s13, s29
	s_or_b32 exec_lo, exec_lo, s28
	s_and_saveexec_b32 s28, s13
	s_cbranch_execnz .LBB6_2214
	s_branch .LBB6_2215
.LBB6_2733:                             ;   in Loop: Header=BB6_2063 Depth=2
	s_or_saveexec_b32 s28, s28
	v_mov_b32_e32 v2, 0x7f800001
	s_xor_b32 exec_lo, exec_lo, s28
	s_cbranch_execz .LBB6_2227
.LBB6_2734:                             ;   in Loop: Header=BB6_2063 Depth=2
	v_cmp_ne_u16_sdwa s29, v115, v84 src0_sel:BYTE_0 src1_sel:DWORD
	v_mov_b32_e32 v2, 0
	s_andn2_b32 s13, s13, exec_lo
	s_and_b32 s29, s29, exec_lo
	s_or_b32 s13, s13, s29
	s_or_b32 exec_lo, exec_lo, s28
	s_and_saveexec_b32 s28, s13
	s_cbranch_execnz .LBB6_2228
	s_branch .LBB6_2229
.LBB6_2735:                             ;   in Loop: Header=BB6_2063 Depth=2
	s_or_saveexec_b32 s28, s28
	v_mov_b32_e32 v3, 0x7f800001
	s_xor_b32 exec_lo, exec_lo, s28
	s_cbranch_execz .LBB6_2233
.LBB6_2736:                             ;   in Loop: Header=BB6_2063 Depth=2
	v_cmp_ne_u16_sdwa s29, v120, v84 src0_sel:BYTE_0 src1_sel:DWORD
	v_mov_b32_e32 v3, 0
	s_andn2_b32 s13, s13, exec_lo
	s_and_b32 s29, s29, exec_lo
	s_or_b32 s13, s13, s29
	s_or_b32 exec_lo, exec_lo, s28
	s_and_saveexec_b32 s28, s13
	s_cbranch_execnz .LBB6_2234
	s_branch .LBB6_2235
.LBB6_2737:                             ;   in Loop: Header=BB6_2063 Depth=2
	s_or_saveexec_b32 s28, s28
	v_mov_b32_e32 v2, 0x7f800001
	s_xor_b32 exec_lo, exec_lo, s28
	s_cbranch_execz .LBB6_2247
.LBB6_2738:                             ;   in Loop: Header=BB6_2063 Depth=2
	v_cmp_ne_u16_sdwa s29, v74, v84 src0_sel:BYTE_0 src1_sel:DWORD
	v_mov_b32_e32 v2, 0
	s_andn2_b32 s13, s13, exec_lo
	s_and_b32 s29, s29, exec_lo
	s_or_b32 s13, s13, s29
	s_or_b32 exec_lo, exec_lo, s28
	s_and_saveexec_b32 s28, s13
	s_cbranch_execnz .LBB6_2248
	s_branch .LBB6_2249
.LBB6_2739:                             ;   in Loop: Header=BB6_2063 Depth=2
	s_or_saveexec_b32 s28, s28
	v_mov_b32_e32 v3, 0x7f800001
	s_xor_b32 exec_lo, exec_lo, s28
	s_cbranch_execz .LBB6_2253
.LBB6_2740:                             ;   in Loop: Header=BB6_2063 Depth=2
	v_cmp_ne_u16_sdwa s29, v111, v84 src0_sel:BYTE_0 src1_sel:DWORD
	v_mov_b32_e32 v3, 0
	s_andn2_b32 s13, s13, exec_lo
	s_and_b32 s29, s29, exec_lo
	s_or_b32 s13, s13, s29
	s_or_b32 exec_lo, exec_lo, s28
	s_and_saveexec_b32 s28, s13
	s_cbranch_execnz .LBB6_2254
	s_branch .LBB6_2255
.LBB6_2741:                             ;   in Loop: Header=BB6_2063 Depth=2
	s_or_saveexec_b32 s28, s28
	v_mov_b32_e32 v2, 0x7f800001
	s_xor_b32 exec_lo, exec_lo, s28
	s_cbranch_execz .LBB6_2267
.LBB6_2742:                             ;   in Loop: Header=BB6_2063 Depth=2
	v_cmp_ne_u16_sdwa s29, v77, v84 src0_sel:BYTE_0 src1_sel:DWORD
	v_mov_b32_e32 v2, 0
	s_andn2_b32 s13, s13, exec_lo
	s_and_b32 s29, s29, exec_lo
	s_or_b32 s13, s13, s29
	s_or_b32 exec_lo, exec_lo, s28
	s_and_saveexec_b32 s28, s13
	s_cbranch_execnz .LBB6_2268
	s_branch .LBB6_2269
.LBB6_2743:                             ;   in Loop: Header=BB6_2063 Depth=2
	s_or_saveexec_b32 s28, s28
	v_mov_b32_e32 v3, 0x7f800001
	s_xor_b32 exec_lo, exec_lo, s28
	s_cbranch_execz .LBB6_2273
.LBB6_2744:                             ;   in Loop: Header=BB6_2063 Depth=2
	v_cmp_ne_u16_sdwa s29, v110, v84 src0_sel:BYTE_0 src1_sel:DWORD
	v_mov_b32_e32 v3, 0
	s_andn2_b32 s13, s13, exec_lo
	s_and_b32 s29, s29, exec_lo
	s_or_b32 s13, s13, s29
	s_or_b32 exec_lo, exec_lo, s28
	s_and_saveexec_b32 s28, s13
	s_cbranch_execnz .LBB6_2274
	s_branch .LBB6_2275
.LBB6_2745:                             ;   in Loop: Header=BB6_2063 Depth=2
	s_or_saveexec_b32 s28, s28
	v_mov_b32_e32 v2, 0x7f800001
	s_xor_b32 exec_lo, exec_lo, s28
	s_cbranch_execz .LBB6_2287
.LBB6_2746:                             ;   in Loop: Header=BB6_2063 Depth=2
	v_cmp_ne_u16_sdwa s29, v88, v84 src0_sel:BYTE_0 src1_sel:DWORD
	v_mov_b32_e32 v2, 0
	s_andn2_b32 s13, s13, exec_lo
	s_and_b32 s29, s29, exec_lo
	s_or_b32 s13, s13, s29
	s_or_b32 exec_lo, exec_lo, s28
	s_and_saveexec_b32 s28, s13
	s_cbranch_execnz .LBB6_2288
	s_branch .LBB6_2289
.LBB6_2747:                             ;   in Loop: Header=BB6_2063 Depth=2
	s_or_saveexec_b32 s28, s28
	v_mov_b32_e32 v3, 0x7f800001
	s_xor_b32 exec_lo, exec_lo, s28
	s_cbranch_execz .LBB6_2293
.LBB6_2748:                             ;   in Loop: Header=BB6_2063 Depth=2
	v_cmp_ne_u16_sdwa s29, v109, v84 src0_sel:BYTE_0 src1_sel:DWORD
	v_mov_b32_e32 v3, 0
	s_andn2_b32 s13, s13, exec_lo
	s_and_b32 s29, s29, exec_lo
	s_or_b32 s13, s13, s29
	s_or_b32 exec_lo, exec_lo, s28
	s_and_saveexec_b32 s28, s13
	s_cbranch_execnz .LBB6_2294
	s_branch .LBB6_2295
.LBB6_2749:                             ;   in Loop: Header=BB6_2063 Depth=2
	s_or_saveexec_b32 s28, s28
	v_mov_b32_e32 v2, 0x7f800001
	s_xor_b32 exec_lo, exec_lo, s28
	s_cbranch_execz .LBB6_2307
.LBB6_2750:                             ;   in Loop: Header=BB6_2063 Depth=2
	v_cmp_ne_u16_sdwa s29, v91, v84 src0_sel:BYTE_0 src1_sel:DWORD
	v_mov_b32_e32 v2, 0
	s_andn2_b32 s13, s13, exec_lo
	s_and_b32 s29, s29, exec_lo
	s_or_b32 s13, s13, s29
	s_or_b32 exec_lo, exec_lo, s28
	s_and_saveexec_b32 s28, s13
	s_cbranch_execnz .LBB6_2308
	s_branch .LBB6_2309
.LBB6_2751:                             ;   in Loop: Header=BB6_2063 Depth=2
	s_or_saveexec_b32 s28, s28
	v_mov_b32_e32 v3, 0x7f800001
	s_xor_b32 exec_lo, exec_lo, s28
	s_cbranch_execz .LBB6_2313
.LBB6_2752:                             ;   in Loop: Header=BB6_2063 Depth=2
	v_cmp_ne_u16_sdwa s29, v108, v84 src0_sel:BYTE_0 src1_sel:DWORD
	v_mov_b32_e32 v3, 0
	s_andn2_b32 s13, s13, exec_lo
	s_and_b32 s29, s29, exec_lo
	s_or_b32 s13, s13, s29
	s_or_b32 exec_lo, exec_lo, s28
	s_and_saveexec_b32 s28, s13
	s_cbranch_execnz .LBB6_2314
	s_branch .LBB6_2315
.LBB6_2753:                             ;   in Loop: Header=BB6_2063 Depth=2
	s_or_saveexec_b32 s28, s28
	v_mov_b32_e32 v2, 0x7f800001
	s_xor_b32 exec_lo, exec_lo, s28
	s_cbranch_execz .LBB6_2327
.LBB6_2754:                             ;   in Loop: Header=BB6_2063 Depth=2
	v_cmp_ne_u16_sdwa s29, v94, v84 src0_sel:BYTE_0 src1_sel:DWORD
	v_mov_b32_e32 v2, 0
	s_andn2_b32 s13, s13, exec_lo
	s_and_b32 s29, s29, exec_lo
	s_or_b32 s13, s13, s29
	s_or_b32 exec_lo, exec_lo, s28
	s_and_saveexec_b32 s28, s13
	s_cbranch_execnz .LBB6_2328
	s_branch .LBB6_2329
.LBB6_2755:                             ;   in Loop: Header=BB6_2063 Depth=2
	s_or_saveexec_b32 s28, s28
	v_mov_b32_e32 v3, 0x7f800001
	s_xor_b32 exec_lo, exec_lo, s28
	s_cbranch_execz .LBB6_2333
.LBB6_2756:                             ;   in Loop: Header=BB6_2063 Depth=2
	v_cmp_ne_u16_sdwa s29, v107, v84 src0_sel:BYTE_0 src1_sel:DWORD
	v_mov_b32_e32 v3, 0
	s_andn2_b32 s13, s13, exec_lo
	s_and_b32 s29, s29, exec_lo
	s_or_b32 s13, s13, s29
	s_or_b32 exec_lo, exec_lo, s28
	s_and_saveexec_b32 s28, s13
	s_cbranch_execnz .LBB6_2334
	s_branch .LBB6_2335
.LBB6_2757:                             ;   in Loop: Header=BB6_2063 Depth=2
	s_or_saveexec_b32 s28, s28
	v_mov_b32_e32 v2, 0x7f800001
	s_xor_b32 exec_lo, exec_lo, s28
	s_cbranch_execz .LBB6_2347
.LBB6_2758:                             ;   in Loop: Header=BB6_2063 Depth=2
	v_cmp_ne_u16_sdwa s29, v105, v84 src0_sel:BYTE_0 src1_sel:DWORD
	v_mov_b32_e32 v2, 0
	s_andn2_b32 s13, s13, exec_lo
	s_and_b32 s29, s29, exec_lo
	s_or_b32 s13, s13, s29
	s_or_b32 exec_lo, exec_lo, s28
	s_and_saveexec_b32 s28, s13
	s_cbranch_execnz .LBB6_2348
	s_branch .LBB6_2349
.LBB6_2759:                             ;   in Loop: Header=BB6_2063 Depth=2
	s_or_saveexec_b32 s28, s28
	v_mov_b32_e32 v3, 0x7f800001
	s_xor_b32 exec_lo, exec_lo, s28
	s_cbranch_execz .LBB6_2353
.LBB6_2760:                             ;   in Loop: Header=BB6_2063 Depth=2
	v_cmp_ne_u16_sdwa s29, v106, v84 src0_sel:BYTE_0 src1_sel:DWORD
	v_mov_b32_e32 v3, 0
	s_andn2_b32 s13, s13, exec_lo
	s_and_b32 s29, s29, exec_lo
	s_or_b32 s13, s13, s29
	s_or_b32 exec_lo, exec_lo, s28
	s_and_saveexec_b32 s28, s13
	s_cbranch_execnz .LBB6_2354
	s_branch .LBB6_2355
.LBB6_2761:                             ;   in Loop: Header=BB6_2063 Depth=2
	s_or_saveexec_b32 s28, s28
	v_mov_b32_e32 v2, 0x7f800001
	s_xor_b32 exec_lo, exec_lo, s28
	s_cbranch_execz .LBB6_2367
.LBB6_2762:                             ;   in Loop: Header=BB6_2063 Depth=2
	v_cmp_ne_u16_sdwa s29, v95, v84 src0_sel:BYTE_0 src1_sel:DWORD
	v_mov_b32_e32 v2, 0
	s_andn2_b32 s13, s13, exec_lo
	s_and_b32 s29, s29, exec_lo
	s_or_b32 s13, s13, s29
	s_or_b32 exec_lo, exec_lo, s28
	s_and_saveexec_b32 s28, s13
	s_cbranch_execnz .LBB6_2368
	s_branch .LBB6_2369
.LBB6_2763:                             ;   in Loop: Header=BB6_2063 Depth=2
	s_or_saveexec_b32 s28, s28
	v_mov_b32_e32 v3, 0x7f800001
	s_xor_b32 exec_lo, exec_lo, s28
	s_cbranch_execz .LBB6_2373
.LBB6_2764:                             ;   in Loop: Header=BB6_2063 Depth=2
	v_cmp_ne_u16_sdwa s29, v104, v84 src0_sel:BYTE_0 src1_sel:DWORD
	v_mov_b32_e32 v3, 0
	s_andn2_b32 s13, s13, exec_lo
	s_and_b32 s29, s29, exec_lo
	s_or_b32 s13, s13, s29
	s_or_b32 exec_lo, exec_lo, s28
	s_and_saveexec_b32 s28, s13
	s_cbranch_execnz .LBB6_2374
	s_branch .LBB6_2375
.LBB6_2765:                             ;   in Loop: Header=BB6_2063 Depth=2
	s_or_saveexec_b32 s28, s28
	v_mov_b32_e32 v2, 0x7f800001
	s_xor_b32 exec_lo, exec_lo, s28
	s_cbranch_execz .LBB6_2387
.LBB6_2766:                             ;   in Loop: Header=BB6_2063 Depth=2
	v_cmp_ne_u16_sdwa s29, v92, v84 src0_sel:BYTE_0 src1_sel:DWORD
	v_mov_b32_e32 v2, 0
	s_andn2_b32 s13, s13, exec_lo
	s_and_b32 s29, s29, exec_lo
	s_or_b32 s13, s13, s29
	s_or_b32 exec_lo, exec_lo, s28
	s_and_saveexec_b32 s28, s13
	s_cbranch_execnz .LBB6_2388
	s_branch .LBB6_2389
.LBB6_2767:                             ;   in Loop: Header=BB6_2063 Depth=2
	s_or_saveexec_b32 s28, s28
	v_mov_b32_e32 v3, 0x7f800001
	s_xor_b32 exec_lo, exec_lo, s28
	s_cbranch_execz .LBB6_2393
.LBB6_2768:                             ;   in Loop: Header=BB6_2063 Depth=2
	v_cmp_ne_u16_sdwa s29, v93, v84 src0_sel:BYTE_0 src1_sel:DWORD
	v_mov_b32_e32 v3, 0
	s_andn2_b32 s13, s13, exec_lo
	s_and_b32 s29, s29, exec_lo
	s_or_b32 s13, s13, s29
	s_or_b32 exec_lo, exec_lo, s28
	s_and_saveexec_b32 s28, s13
	s_cbranch_execnz .LBB6_2394
	s_branch .LBB6_2395
.LBB6_2769:                             ;   in Loop: Header=BB6_2063 Depth=2
	s_or_saveexec_b32 s28, s28
	v_mov_b32_e32 v2, 0x7f800001
	s_xor_b32 exec_lo, exec_lo, s28
	s_cbranch_execz .LBB6_2407
.LBB6_2770:                             ;   in Loop: Header=BB6_2063 Depth=2
	v_cmp_ne_u16_sdwa s29, v89, v84 src0_sel:BYTE_0 src1_sel:DWORD
	v_mov_b32_e32 v2, 0
	s_andn2_b32 s13, s13, exec_lo
	s_and_b32 s29, s29, exec_lo
	s_or_b32 s13, s13, s29
	s_or_b32 exec_lo, exec_lo, s28
	s_and_saveexec_b32 s28, s13
	s_cbranch_execnz .LBB6_2408
	s_branch .LBB6_2409
.LBB6_2771:                             ;   in Loop: Header=BB6_2063 Depth=2
	s_or_saveexec_b32 s28, s28
	v_mov_b32_e32 v3, 0x7f800001
	s_xor_b32 exec_lo, exec_lo, s28
	s_cbranch_execz .LBB6_2413
.LBB6_2772:                             ;   in Loop: Header=BB6_2063 Depth=2
	v_cmp_ne_u16_sdwa s29, v90, v84 src0_sel:BYTE_0 src1_sel:DWORD
	v_mov_b32_e32 v3, 0
	s_andn2_b32 s13, s13, exec_lo
	s_and_b32 s29, s29, exec_lo
	s_or_b32 s13, s13, s29
	s_or_b32 exec_lo, exec_lo, s28
	s_and_saveexec_b32 s28, s13
	s_cbranch_execnz .LBB6_2414
	s_branch .LBB6_2415
.LBB6_2773:                             ;   in Loop: Header=BB6_2063 Depth=2
	s_or_saveexec_b32 s28, s28
	v_mov_b32_e32 v2, 0x7f800001
	s_xor_b32 exec_lo, exec_lo, s28
	s_cbranch_execz .LBB6_2427
.LBB6_2774:                             ;   in Loop: Header=BB6_2063 Depth=2
	v_cmp_ne_u16_sdwa s29, v78, v84 src0_sel:BYTE_0 src1_sel:DWORD
	v_mov_b32_e32 v2, 0
	s_andn2_b32 s13, s13, exec_lo
	s_and_b32 s29, s29, exec_lo
	s_or_b32 s13, s13, s29
	s_or_b32 exec_lo, exec_lo, s28
	s_and_saveexec_b32 s28, s13
	s_cbranch_execnz .LBB6_2428
	s_branch .LBB6_2429
.LBB6_2775:                             ;   in Loop: Header=BB6_2063 Depth=2
	s_or_saveexec_b32 s28, s28
	v_mov_b32_e32 v3, 0x7f800001
	s_xor_b32 exec_lo, exec_lo, s28
	s_cbranch_execz .LBB6_2433
.LBB6_2776:                             ;   in Loop: Header=BB6_2063 Depth=2
	v_cmp_ne_u16_sdwa s29, v79, v84 src0_sel:BYTE_0 src1_sel:DWORD
	v_mov_b32_e32 v3, 0
	s_andn2_b32 s13, s13, exec_lo
	s_and_b32 s29, s29, exec_lo
	s_or_b32 s13, s13, s29
	s_or_b32 exec_lo, exec_lo, s28
	s_and_saveexec_b32 s28, s13
	s_cbranch_execnz .LBB6_2434
	s_branch .LBB6_2435
.LBB6_2777:                             ;   in Loop: Header=BB6_2063 Depth=2
	s_or_saveexec_b32 s28, s28
	v_mov_b32_e32 v2, 0x7f800001
	s_xor_b32 exec_lo, exec_lo, s28
	s_cbranch_execz .LBB6_2447
.LBB6_2778:                             ;   in Loop: Header=BB6_2063 Depth=2
	v_cmp_ne_u16_sdwa s29, v75, v84 src0_sel:BYTE_0 src1_sel:DWORD
	v_mov_b32_e32 v2, 0
	s_andn2_b32 s13, s13, exec_lo
	s_and_b32 s29, s29, exec_lo
	s_or_b32 s13, s13, s29
	s_or_b32 exec_lo, exec_lo, s28
	s_and_saveexec_b32 s28, s13
	s_cbranch_execnz .LBB6_2448
	s_branch .LBB6_2449
.LBB6_2779:                             ;   in Loop: Header=BB6_2063 Depth=2
	s_or_saveexec_b32 s28, s28
	v_mov_b32_e32 v3, 0x7f800001
	s_xor_b32 exec_lo, exec_lo, s28
	s_cbranch_execz .LBB6_2453
.LBB6_2780:                             ;   in Loop: Header=BB6_2063 Depth=2
	v_cmp_ne_u16_sdwa s29, v76, v84 src0_sel:BYTE_0 src1_sel:DWORD
	v_mov_b32_e32 v3, 0
	s_andn2_b32 s13, s13, exec_lo
	s_and_b32 s29, s29, exec_lo
	s_or_b32 s13, s13, s29
	s_or_b32 exec_lo, exec_lo, s28
	s_and_saveexec_b32 s28, s13
	s_cbranch_execnz .LBB6_2454
	s_branch .LBB6_2455
.LBB6_2781:                             ;   in Loop: Header=BB6_2063 Depth=2
	s_or_saveexec_b32 s28, s28
	v_mov_b32_e32 v2, 0x7f800001
	s_xor_b32 exec_lo, exec_lo, s28
	s_cbranch_execz .LBB6_2467
.LBB6_2782:                             ;   in Loop: Header=BB6_2063 Depth=2
	v_cmp_ne_u16_sdwa s29, v72, v84 src0_sel:BYTE_0 src1_sel:DWORD
	v_mov_b32_e32 v2, 0
	s_andn2_b32 s13, s13, exec_lo
	s_and_b32 s29, s29, exec_lo
	s_or_b32 s13, s13, s29
	s_or_b32 exec_lo, exec_lo, s28
	s_and_saveexec_b32 s28, s13
	s_cbranch_execnz .LBB6_2468
	s_branch .LBB6_2469
.LBB6_2783:                             ;   in Loop: Header=BB6_2063 Depth=2
	s_or_saveexec_b32 s28, s28
	v_mov_b32_e32 v3, 0x7f800001
	s_xor_b32 exec_lo, exec_lo, s28
	s_cbranch_execz .LBB6_2473
.LBB6_2784:                             ;   in Loop: Header=BB6_2063 Depth=2
	v_cmp_ne_u16_sdwa s29, v73, v84 src0_sel:BYTE_0 src1_sel:DWORD
	v_mov_b32_e32 v3, 0
	s_andn2_b32 s13, s13, exec_lo
	s_and_b32 s29, s29, exec_lo
	s_or_b32 s13, s13, s29
	s_or_b32 exec_lo, exec_lo, s28
	s_and_saveexec_b32 s28, s13
	s_cbranch_execnz .LBB6_2474
	s_branch .LBB6_2475
.LBB6_2785:                             ;   in Loop: Header=BB6_2063 Depth=2
	s_or_saveexec_b32 s28, s28
	v_mov_b32_e32 v2, 0x7f800001
	s_xor_b32 exec_lo, exec_lo, s28
	s_cbranch_execz .LBB6_2487
.LBB6_2786:                             ;   in Loop: Header=BB6_2063 Depth=2
	v_cmp_ne_u16_sdwa s29, v113, v84 src0_sel:BYTE_0 src1_sel:DWORD
	v_mov_b32_e32 v2, 0
	s_andn2_b32 s13, s13, exec_lo
	s_and_b32 s29, s29, exec_lo
	s_or_b32 s13, s13, s29
	s_or_b32 exec_lo, exec_lo, s28
	s_and_saveexec_b32 s28, s13
	s_cbranch_execnz .LBB6_2488
	s_branch .LBB6_2489
.LBB6_2787:                             ;   in Loop: Header=BB6_2063 Depth=2
	s_or_saveexec_b32 s28, s28
	v_mov_b32_e32 v3, 0x7f800001
	s_xor_b32 exec_lo, exec_lo, s28
	s_cbranch_execz .LBB6_2493
.LBB6_2788:                             ;   in Loop: Header=BB6_2063 Depth=2
	v_cmp_ne_u16_sdwa s29, v114, v84 src0_sel:BYTE_0 src1_sel:DWORD
	v_mov_b32_e32 v3, 0
	s_andn2_b32 s13, s13, exec_lo
	s_and_b32 s29, s29, exec_lo
	s_or_b32 s13, s13, s29
	s_or_b32 exec_lo, exec_lo, s28
	s_and_saveexec_b32 s28, s13
	s_cbranch_execnz .LBB6_2494
	s_branch .LBB6_2495
.LBB6_2789:                             ;   in Loop: Header=BB6_2063 Depth=2
	s_or_saveexec_b32 s28, s28
	v_mov_b32_e32 v2, 0x7f800001
	s_xor_b32 exec_lo, exec_lo, s28
	s_cbranch_execz .LBB6_2507
.LBB6_2790:                             ;   in Loop: Header=BB6_2063 Depth=2
	v_cmp_ne_u16_sdwa s29, v102, v84 src0_sel:BYTE_0 src1_sel:DWORD
	v_mov_b32_e32 v2, 0
	s_andn2_b32 s13, s13, exec_lo
	s_and_b32 s29, s29, exec_lo
	s_or_b32 s13, s13, s29
	s_or_b32 exec_lo, exec_lo, s28
	s_and_saveexec_b32 s28, s13
	s_cbranch_execnz .LBB6_2508
	s_branch .LBB6_2509
.LBB6_2791:                             ;   in Loop: Header=BB6_2063 Depth=2
	s_or_saveexec_b32 s28, s28
	v_mov_b32_e32 v3, 0x7f800001
	s_xor_b32 exec_lo, exec_lo, s28
	s_cbranch_execz .LBB6_2513
.LBB6_2792:                             ;   in Loop: Header=BB6_2063 Depth=2
	v_cmp_ne_u16_sdwa s29, v103, v84 src0_sel:BYTE_0 src1_sel:DWORD
	v_mov_b32_e32 v3, 0
	s_andn2_b32 s13, s13, exec_lo
	s_and_b32 s29, s29, exec_lo
	s_or_b32 s13, s13, s29
	s_or_b32 exec_lo, exec_lo, s28
	s_and_saveexec_b32 s28, s13
	s_cbranch_execnz .LBB6_2514
	s_branch .LBB6_2515
.LBB6_2793:                             ;   in Loop: Header=BB6_2063 Depth=2
	s_or_saveexec_b32 s28, s28
	v_mov_b32_e32 v2, 0x7f800001
	s_xor_b32 exec_lo, exec_lo, s28
	s_cbranch_execz .LBB6_2527
.LBB6_2794:                             ;   in Loop: Header=BB6_2063 Depth=2
	v_cmp_ne_u16_sdwa s29, v99, v84 src0_sel:BYTE_0 src1_sel:DWORD
	v_mov_b32_e32 v2, 0
	s_andn2_b32 s13, s13, exec_lo
	s_and_b32 s29, s29, exec_lo
	s_or_b32 s13, s13, s29
	s_or_b32 exec_lo, exec_lo, s28
	s_and_saveexec_b32 s28, s13
	s_cbranch_execnz .LBB6_2528
	s_branch .LBB6_2529
.LBB6_2795:                             ;   in Loop: Header=BB6_2063 Depth=2
	s_or_saveexec_b32 s28, s28
	v_mov_b32_e32 v3, 0x7f800001
	s_xor_b32 exec_lo, exec_lo, s28
	s_cbranch_execz .LBB6_2533
.LBB6_2796:                             ;   in Loop: Header=BB6_2063 Depth=2
	v_cmp_ne_u16_sdwa s29, v100, v84 src0_sel:BYTE_0 src1_sel:DWORD
	v_mov_b32_e32 v3, 0
	s_andn2_b32 s13, s13, exec_lo
	s_and_b32 s29, s29, exec_lo
	s_or_b32 s13, s13, s29
	s_or_b32 exec_lo, exec_lo, s28
	s_and_saveexec_b32 s28, s13
	s_cbranch_execnz .LBB6_2534
	s_branch .LBB6_2535
.LBB6_2797:                             ;   in Loop: Header=BB6_2063 Depth=2
	s_or_saveexec_b32 s28, s28
	v_mov_b32_e32 v2, 0x7f800001
	s_xor_b32 exec_lo, exec_lo, s28
	s_cbranch_execz .LBB6_2547
.LBB6_2798:                             ;   in Loop: Header=BB6_2063 Depth=2
	v_cmp_ne_u16_sdwa s29, v51, v84 src0_sel:BYTE_0 src1_sel:DWORD
	v_mov_b32_e32 v2, 0
	s_andn2_b32 s13, s13, exec_lo
	s_and_b32 s29, s29, exec_lo
	s_or_b32 s13, s13, s29
	s_or_b32 exec_lo, exec_lo, s28
	s_and_saveexec_b32 s28, s13
	s_cbranch_execnz .LBB6_2548
	s_branch .LBB6_2549
.LBB6_2799:                             ;   in Loop: Header=BB6_2063 Depth=2
	s_or_saveexec_b32 s28, s28
	v_mov_b32_e32 v3, 0x7f800001
	s_xor_b32 exec_lo, exec_lo, s28
	s_cbranch_execz .LBB6_2553
.LBB6_2800:                             ;   in Loop: Header=BB6_2063 Depth=2
	v_cmp_ne_u16_sdwa s29, v50, v84 src0_sel:BYTE_0 src1_sel:DWORD
	v_mov_b32_e32 v3, 0
	s_andn2_b32 s13, s13, exec_lo
	s_and_b32 s29, s29, exec_lo
	s_or_b32 s13, s13, s29
	s_or_b32 exec_lo, exec_lo, s28
	s_and_saveexec_b32 s28, s13
	s_cbranch_execnz .LBB6_2554
	s_branch .LBB6_2555
.LBB6_2801:                             ;   in Loop: Header=BB6_2063 Depth=2
	s_or_saveexec_b32 s28, s28
	v_mov_b32_e32 v2, 0x7f800001
	s_xor_b32 exec_lo, exec_lo, s28
	s_cbranch_execz .LBB6_2567
.LBB6_2802:                             ;   in Loop: Header=BB6_2063 Depth=2
	v_cmp_ne_u16_sdwa s29, v49, v84 src0_sel:BYTE_0 src1_sel:DWORD
	v_mov_b32_e32 v2, 0
	s_andn2_b32 s13, s13, exec_lo
	s_and_b32 s29, s29, exec_lo
	s_or_b32 s13, s13, s29
	s_or_b32 exec_lo, exec_lo, s28
	s_and_saveexec_b32 s28, s13
	s_cbranch_execnz .LBB6_2568
	s_branch .LBB6_2569
.LBB6_2803:                             ;   in Loop: Header=BB6_2063 Depth=2
	s_or_saveexec_b32 s28, s28
	v_mov_b32_e32 v3, 0x7f800001
	s_xor_b32 exec_lo, exec_lo, s28
	s_cbranch_execz .LBB6_2573
.LBB6_2804:                             ;   in Loop: Header=BB6_2063 Depth=2
	v_cmp_ne_u16_sdwa s29, v48, v84 src0_sel:BYTE_0 src1_sel:DWORD
	v_mov_b32_e32 v3, 0
	s_andn2_b32 s13, s13, exec_lo
	s_and_b32 s29, s29, exec_lo
	s_or_b32 s13, s13, s29
	s_or_b32 exec_lo, exec_lo, s28
	s_and_saveexec_b32 s28, s13
	s_cbranch_execnz .LBB6_2574
	s_branch .LBB6_2575
.LBB6_2805:                             ;   in Loop: Header=BB6_2063 Depth=2
	s_or_saveexec_b32 s28, s28
	v_mov_b32_e32 v2, 0x7f800001
	s_xor_b32 exec_lo, exec_lo, s28
	s_cbranch_execz .LBB6_2587
.LBB6_2806:                             ;   in Loop: Header=BB6_2063 Depth=2
	v_cmp_ne_u16_sdwa s29, v38, v84 src0_sel:BYTE_0 src1_sel:DWORD
	v_mov_b32_e32 v2, 0
	s_andn2_b32 s13, s13, exec_lo
	s_and_b32 s29, s29, exec_lo
	s_or_b32 s13, s13, s29
	s_or_b32 exec_lo, exec_lo, s28
	s_and_saveexec_b32 s28, s13
	s_cbranch_execnz .LBB6_2588
	s_branch .LBB6_2589
.LBB6_2807:                             ;   in Loop: Header=BB6_2063 Depth=2
	s_or_saveexec_b32 s28, s28
	v_mov_b32_e32 v3, 0x7f800001
	s_xor_b32 exec_lo, exec_lo, s28
	s_cbranch_execz .LBB6_2593
.LBB6_2808:                             ;   in Loop: Header=BB6_2063 Depth=2
	v_cmp_ne_u16_sdwa s29, v37, v84 src0_sel:BYTE_0 src1_sel:DWORD
	v_mov_b32_e32 v3, 0
	s_andn2_b32 s13, s13, exec_lo
	s_and_b32 s29, s29, exec_lo
	s_or_b32 s13, s13, s29
	s_or_b32 exec_lo, exec_lo, s28
	s_and_saveexec_b32 s28, s13
	s_cbranch_execnz .LBB6_2594
	s_branch .LBB6_2595
.LBB6_2809:                             ;   in Loop: Header=BB6_2063 Depth=2
	s_or_saveexec_b32 s28, s28
	v_mov_b32_e32 v2, 0x7f800001
	s_xor_b32 exec_lo, exec_lo, s28
	s_cbranch_execz .LBB6_2607
.LBB6_2810:                             ;   in Loop: Header=BB6_2063 Depth=2
	v_cmp_ne_u16_sdwa s29, v35, v84 src0_sel:BYTE_0 src1_sel:DWORD
	v_mov_b32_e32 v2, 0
	s_andn2_b32 s13, s13, exec_lo
	s_and_b32 s29, s29, exec_lo
	s_or_b32 s13, s13, s29
	s_or_b32 exec_lo, exec_lo, s28
	s_and_saveexec_b32 s28, s13
	s_cbranch_execnz .LBB6_2608
	s_branch .LBB6_2609
.LBB6_2811:                             ;   in Loop: Header=BB6_2063 Depth=2
	s_or_saveexec_b32 s28, s28
	v_mov_b32_e32 v3, 0x7f800001
	s_xor_b32 exec_lo, exec_lo, s28
	s_cbranch_execz .LBB6_2613
.LBB6_2812:                             ;   in Loop: Header=BB6_2063 Depth=2
	v_cmp_ne_u16_sdwa s29, v34, v84 src0_sel:BYTE_0 src1_sel:DWORD
	v_mov_b32_e32 v3, 0
	s_andn2_b32 s13, s13, exec_lo
	s_and_b32 s29, s29, exec_lo
	s_or_b32 s13, s13, s29
	s_or_b32 exec_lo, exec_lo, s28
	s_and_saveexec_b32 s28, s13
	s_cbranch_execnz .LBB6_2614
	s_branch .LBB6_2615
.LBB6_2813:                             ;   in Loop: Header=BB6_2063 Depth=2
	s_or_saveexec_b32 s28, s28
	v_mov_b32_e32 v2, 0x7f800001
	s_xor_b32 exec_lo, exec_lo, s28
	s_cbranch_execz .LBB6_2627
.LBB6_2814:                             ;   in Loop: Header=BB6_2063 Depth=2
	v_cmp_ne_u16_sdwa s29, v32, v84 src0_sel:BYTE_0 src1_sel:DWORD
	v_mov_b32_e32 v2, 0
	s_andn2_b32 s13, s13, exec_lo
	s_and_b32 s29, s29, exec_lo
	s_or_b32 s13, s13, s29
	s_or_b32 exec_lo, exec_lo, s28
	s_and_saveexec_b32 s28, s13
	s_cbranch_execnz .LBB6_2628
	s_branch .LBB6_2629
.LBB6_2815:                             ;   in Loop: Header=BB6_2063 Depth=2
	s_or_saveexec_b32 s28, s28
	v_mov_b32_e32 v3, 0x7f800001
	s_xor_b32 exec_lo, exec_lo, s28
	s_cbranch_execz .LBB6_2633
.LBB6_2816:                             ;   in Loop: Header=BB6_2063 Depth=2
	v_cmp_ne_u16_sdwa s29, v29, v84 src0_sel:BYTE_0 src1_sel:DWORD
	v_mov_b32_e32 v3, 0
	s_andn2_b32 s13, s13, exec_lo
	s_and_b32 s29, s29, exec_lo
	s_or_b32 s13, s13, s29
	s_or_b32 exec_lo, exec_lo, s28
	s_and_saveexec_b32 s28, s13
	s_cbranch_execnz .LBB6_2634
	s_branch .LBB6_2635
.LBB6_2817:                             ;   in Loop: Header=BB6_2063 Depth=2
	s_or_saveexec_b32 s28, s28
	v_mov_b32_e32 v2, 0x7f800001
	s_xor_b32 exec_lo, exec_lo, s28
	s_cbranch_execz .LBB6_2647
.LBB6_2818:                             ;   in Loop: Header=BB6_2063 Depth=2
	v_cmp_ne_u16_sdwa s29, v28, v84 src0_sel:BYTE_0 src1_sel:DWORD
	v_mov_b32_e32 v2, 0
	s_andn2_b32 s13, s13, exec_lo
	s_and_b32 s29, s29, exec_lo
	s_or_b32 s13, s13, s29
	s_or_b32 exec_lo, exec_lo, s28
	s_and_saveexec_b32 s28, s13
	s_cbranch_execnz .LBB6_2648
	s_branch .LBB6_2649
.LBB6_2819:                             ;   in Loop: Header=BB6_2063 Depth=2
	s_or_saveexec_b32 s28, s28
	v_mov_b32_e32 v3, 0x7f800001
	s_xor_b32 exec_lo, exec_lo, s28
	s_cbranch_execz .LBB6_2653
.LBB6_2820:                             ;   in Loop: Header=BB6_2063 Depth=2
	v_cmp_ne_u16_sdwa s29, v26, v84 src0_sel:BYTE_0 src1_sel:DWORD
	v_mov_b32_e32 v3, 0
	s_andn2_b32 s13, s13, exec_lo
	s_and_b32 s29, s29, exec_lo
	s_or_b32 s13, s13, s29
	s_or_b32 exec_lo, exec_lo, s28
	s_and_saveexec_b32 s28, s13
	s_cbranch_execnz .LBB6_2654
	s_branch .LBB6_2655
.LBB6_2821:                             ;   in Loop: Header=BB6_2063 Depth=2
	s_or_saveexec_b32 s28, s28
	v_mov_b32_e32 v2, 0x7f800001
	s_xor_b32 exec_lo, exec_lo, s28
	s_cbranch_execz .LBB6_2667
.LBB6_2822:                             ;   in Loop: Header=BB6_2063 Depth=2
	v_cmp_ne_u16_sdwa s29, v25, v84 src0_sel:BYTE_0 src1_sel:DWORD
	v_mov_b32_e32 v2, 0
	s_andn2_b32 s13, s13, exec_lo
	s_and_b32 s29, s29, exec_lo
	s_or_b32 s13, s13, s29
	s_or_b32 exec_lo, exec_lo, s28
	s_and_saveexec_b32 s28, s13
	s_cbranch_execnz .LBB6_2668
	s_branch .LBB6_2669
.LBB6_2823:                             ;   in Loop: Header=BB6_2063 Depth=2
	s_or_saveexec_b32 s28, s28
	v_mov_b32_e32 v3, 0x7f800001
	s_xor_b32 exec_lo, exec_lo, s28
	s_cbranch_execz .LBB6_2673
.LBB6_2824:                             ;   in Loop: Header=BB6_2063 Depth=2
	v_cmp_ne_u16_sdwa s29, v24, v84 src0_sel:BYTE_0 src1_sel:DWORD
	v_mov_b32_e32 v3, 0
	s_andn2_b32 s13, s13, exec_lo
	s_and_b32 s29, s29, exec_lo
	s_or_b32 s13, s13, s29
	s_or_b32 exec_lo, exec_lo, s28
	s_and_saveexec_b32 s28, s13
	s_cbranch_execnz .LBB6_2674
	s_branch .LBB6_2675
.LBB6_2825:                             ;   in Loop: Header=BB6_2063 Depth=2
	s_or_saveexec_b32 s28, s28
	v_mov_b32_e32 v2, 0x7f800001
	s_xor_b32 exec_lo, exec_lo, s28
	s_cbranch_execz .LBB6_2687
.LBB6_2826:                             ;   in Loop: Header=BB6_2063 Depth=2
	v_cmp_ne_u16_sdwa s29, v22, v84 src0_sel:BYTE_0 src1_sel:DWORD
	v_mov_b32_e32 v2, 0
	s_andn2_b32 s13, s13, exec_lo
	s_and_b32 s29, s29, exec_lo
	s_or_b32 s13, s13, s29
	s_or_b32 exec_lo, exec_lo, s28
	s_and_saveexec_b32 s28, s13
	s_cbranch_execnz .LBB6_2688
	s_branch .LBB6_2689
.LBB6_2827:                             ;   in Loop: Header=BB6_2063 Depth=2
	s_or_saveexec_b32 s28, s28
	v_mov_b32_e32 v3, 0x7f800001
	s_xor_b32 exec_lo, exec_lo, s28
	s_cbranch_execz .LBB6_2693
.LBB6_2828:                             ;   in Loop: Header=BB6_2063 Depth=2
	v_cmp_ne_u16_sdwa s29, v21, v84 src0_sel:BYTE_0 src1_sel:DWORD
	v_mov_b32_e32 v3, 0
	s_andn2_b32 s13, s13, exec_lo
	s_and_b32 s29, s29, exec_lo
	s_or_b32 s13, s13, s29
	s_or_b32 exec_lo, exec_lo, s28
	s_and_saveexec_b32 s28, s13
	s_cbranch_execnz .LBB6_2694
	s_branch .LBB6_2695
.LBB6_2829:                             ;   in Loop: Header=BB6_49 Depth=1
	s_or_b32 exec_lo, exec_lo, s27
.LBB6_2830:                             ;   in Loop: Header=BB6_49 Depth=1
	s_or_b32 exec_lo, exec_lo, s26
	v_and_b32_e32 v3, 0xfffffc00, v17
	v_cmp_ne_u32_e32 vcc_lo, v17, v3
	s_and_b32 exec_lo, exec_lo, vcc_lo
	s_cbranch_execz .LBB6_2858
; %bb.2831:                             ;   in Loop: Header=BB6_49 Depth=1
	v_add_nc_u32_e32 v2, v18, v20
	v_lshlrev_b32_e32 v10, 5, v19
	v_and_b32_e32 v2, 0xffffffe0, v2
	v_sub_nc_u32_e32 v2, v18, v2
	v_sub_nc_u32_e32 v10, v2, v10
	v_and_b32_e32 v2, 0x3ff, v17
	v_sub_nc_u32_e32 v2, v2, v10
	v_cmp_lt_i32_e32 vcc_lo, 0, v2
	s_and_b32 exec_lo, exec_lo, vcc_lo
	s_cbranch_execz .LBB6_2858
; %bb.2832:                             ;   in Loop: Header=BB6_49 Depth=1
	s_trap 2
	ds_read_b128 v[11:14], v0
	ds_read_b64 v[17:18], v0
	v_add3_u32 v3, v3, v16, v10
	s_mov_b32 s26, 0
	v_ashrrev_i32_e32 v15, 31, v3
	s_waitcnt lgkmcnt(1)
	v_add_co_u32 v10, vcc_lo, v11, v3
	v_add_co_ci_u32_e64 v11, null, v12, v15, vcc_lo
	v_add_co_u32 v12, vcc_lo, v13, v3
	v_add_co_ci_u32_e64 v13, null, v14, v15, vcc_lo
	s_waitcnt lgkmcnt(0)
	v_add_co_u32 v14, vcc_lo, v17, v3
	v_add_co_ci_u32_e64 v15, null, v18, v15, vcc_lo
	s_branch .LBB6_2836
.LBB6_2833:                             ;   in Loop: Header=BB6_2836 Depth=2
	s_or_b32 exec_lo, exec_lo, s13
	v_lshrrev_b32_e32 v17, 20, v17
	v_cmp_gt_i32_e32 vcc_lo, 16, v16
	v_min_i32_e32 v18, 15, v16
	v_and_b32_sdwa v3, v3, v59 dst_sel:DWORD dst_unused:UNUSED_PAD src0_sel:BYTE_3 src1_sel:DWORD
	v_cndmask_b32_e32 v17, 7, v17, vcc_lo
	v_lshlrev_b32_e32 v18, 3, v18
	v_and_b32_e32 v19, 7, v17
	v_or_b32_e32 v16, v16, v17
	v_or3_b32 v3, v18, v3, v19
	v_cmp_ne_u32_e32 vcc_lo, 0, v16
	v_cndmask_b32_e32 v16, 0, v3, vcc_lo
.LBB6_2834:                             ;   in Loop: Header=BB6_2836 Depth=2
	s_or_b32 exec_lo, exec_lo, s28
.LBB6_2835:                             ;   in Loop: Header=BB6_2836 Depth=2
	s_or_b32 exec_lo, exec_lo, s27
	v_sub_nc_u32_e32 v2, v2, v40
	v_add_co_u32 v10, vcc_lo, v10, v40
	v_add_co_ci_u32_e64 v11, null, 0, v11, vcc_lo
	v_add_co_u32 v12, vcc_lo, v12, v40
	flat_store_byte v[14:15], v16 glc slc
	v_add_co_ci_u32_e64 v13, null, 0, v13, vcc_lo
	v_cmp_gt_i32_e32 vcc_lo, 1, v2
	v_add_co_u32 v14, s13, v14, v40
	v_add_co_ci_u32_e64 v15, null, 0, v15, s13
	s_or_b32 s26, vcc_lo, s26
	s_andn2_b32 exec_lo, exec_lo, s26
	s_cbranch_execz .LBB6_2858
.LBB6_2836:                             ;   Parent Loop BB6_49 Depth=1
                                        ; =>  This Inner Loop Header: Depth=2
	flat_load_ubyte v17, v[10:11] slc
	flat_load_ubyte v3, v[12:13] slc
	s_mov_b32 s13, 0
	s_mov_b32 s27, exec_lo
	s_waitcnt vmcnt(1) lgkmcnt(1)
	v_cmpx_lt_i16_e32 0x7f, v17
	s_xor_b32 s27, exec_lo, s27
	s_cbranch_execz .LBB6_2854
; %bb.2837:                             ;   in Loop: Header=BB6_2836 Depth=2
	s_mov_b32 s13, -1
	s_mov_b32 s28, exec_lo
	v_cmpx_eq_u16_e32 0x80, v17
; %bb.2838:                             ;   in Loop: Header=BB6_2836 Depth=2
	s_xor_b32 s13, exec_lo, -1
; %bb.2839:                             ;   in Loop: Header=BB6_2836 Depth=2
	s_or_b32 exec_lo, exec_lo, s28
	s_and_b32 s13, s13, exec_lo
	s_or_saveexec_b32 s27, s27
	v_mov_b32_e32 v16, 0x7f800001
	s_xor_b32 exec_lo, exec_lo, s27
	s_cbranch_execnz .LBB6_2855
.LBB6_2840:                             ;   in Loop: Header=BB6_2836 Depth=2
	s_or_b32 exec_lo, exec_lo, s27
	s_and_saveexec_b32 s27, s13
	s_cbranch_execz .LBB6_2842
.LBB6_2841:                             ;   in Loop: Header=BB6_2836 Depth=2
	v_and_b32_e32 v16, 0xffff, v17
	v_lshlrev_b32_e32 v17, 24, v17
	v_and_b32_e32 v18, 7, v16
	v_bfe_u32 v21, v16, 3, 4
	v_and_b32_e32 v17, 0x80000000, v17
	v_ffbh_u32_e32 v19, v18
	v_cmp_eq_u32_e32 vcc_lo, 0, v21
	v_min_u32_e32 v19, 32, v19
	v_subrev_nc_u32_e32 v20, 28, v19
	v_sub_nc_u32_e32 v19, 29, v19
	v_lshlrev_b32_e32 v16, v20, v16
	v_cndmask_b32_e32 v19, v21, v19, vcc_lo
	v_and_b32_e32 v16, 7, v16
	v_cndmask_b32_e32 v16, v18, v16, vcc_lo
	v_lshl_add_u32 v18, v19, 23, 0x3b800000
	v_lshlrev_b32_e32 v16, 20, v16
	v_or3_b32 v16, v17, v18, v16
.LBB6_2842:                             ;   in Loop: Header=BB6_2836 Depth=2
	s_or_b32 exec_lo, exec_lo, s27
	s_waitcnt vmcnt(0) lgkmcnt(0)
	v_cmp_gt_i16_sdwa s27, v3, v58 src0_sel:BYTE_0 src1_sel:DWORD
	s_mov_b32 s13, 0
	s_and_saveexec_b32 s28, s27
	s_xor_b32 s27, exec_lo, s28
	s_cbranch_execz .LBB6_2856
; %bb.2843:                             ;   in Loop: Header=BB6_2836 Depth=2
	v_cmp_eq_u16_sdwa s29, v3, v59 src0_sel:BYTE_0 src1_sel:DWORD
	s_mov_b32 s13, -1
	s_and_saveexec_b32 s28, s29
; %bb.2844:                             ;   in Loop: Header=BB6_2836 Depth=2
	s_xor_b32 s13, exec_lo, -1
; %bb.2845:                             ;   in Loop: Header=BB6_2836 Depth=2
	s_or_b32 exec_lo, exec_lo, s28
	s_and_b32 s13, s13, exec_lo
	s_or_saveexec_b32 s27, s27
	v_mov_b32_e32 v17, 0x7f800001
	s_xor_b32 exec_lo, exec_lo, s27
	s_cbranch_execnz .LBB6_2857
.LBB6_2846:                             ;   in Loop: Header=BB6_2836 Depth=2
	s_or_b32 exec_lo, exec_lo, s27
	s_and_saveexec_b32 s27, s13
	s_cbranch_execz .LBB6_2848
.LBB6_2847:                             ;   in Loop: Header=BB6_2836 Depth=2
	v_and_b32_e32 v17, 7, v3
	v_lshrrev_b16 v19, 3, v3
	v_ffbh_u32_e32 v18, v17
	v_and_b32_e32 v19, 15, v19
	v_min_u32_e32 v18, 32, v18
	v_cmp_eq_u32_e32 vcc_lo, 0, v19
	v_subrev_nc_u32_e32 v20, 28, v18
	v_sub_nc_u32_e32 v18, 29, v18
	v_lshlrev_b32_e32 v20, v20, v3
	v_lshlrev_b32_e32 v3, 24, v3
	v_cndmask_b32_e32 v18, v19, v18, vcc_lo
	v_and_b32_e32 v20, 7, v20
	v_and_b32_e32 v3, 0x80000000, v3
	v_lshl_add_u32 v18, v18, 23, 0x3b800000
	v_cndmask_b32_e32 v17, v17, v20, vcc_lo
	v_lshlrev_b32_e32 v17, 20, v17
	v_or3_b32 v17, v3, v18, v17
.LBB6_2848:                             ;   in Loop: Header=BB6_2836 Depth=2
	s_or_b32 exec_lo, exec_lo, s27
	v_add_f32_e32 v3, v16, v17
	v_and_b32_e32 v16, 0x7f800000, v3
	v_cmp_ne_u32_e32 vcc_lo, 0x7f800000, v16
	v_mov_b32_e32 v16, 0x80
	s_and_saveexec_b32 s27, vcc_lo
	s_cbranch_execz .LBB6_2835
; %bb.2849:                             ;   in Loop: Header=BB6_2836 Depth=2
	v_mov_b32_e32 v16, 0
	s_mov_b32 s28, exec_lo
	v_cmpx_ne_u32_e32 0, v3
	s_cbranch_execz .LBB6_2834
; %bb.2850:                             ;   in Loop: Header=BB6_2836 Depth=2
	v_bfe_u32 v16, v3, 23, 8
	v_and_b32_e32 v17, 0x7fffff, v3
	v_sub_nc_u32_e32 v18, 0x78, v16
	v_cmp_gt_u32_e32 vcc_lo, 0x79, v16
	v_or_b32_e32 v19, 0x800000, v17
	v_cndmask_b32_e32 v18, 0, v18, vcc_lo
	v_cmp_eq_u32_e32 vcc_lo, 0, v16
	v_add_nc_u32_e32 v16, 0xffffff89, v16
	v_cndmask_b32_e64 v18, v18, 0x77, vcc_lo
	v_cndmask_b32_e32 v17, v19, v17, vcc_lo
	v_cndmask_b32_e64 v16, v16, 0xffffff8a, vcc_lo
	v_lshl_add_u32 v19, 0x100000, v18, -1
	v_lshrrev_b32_e32 v20, v18, v17
	v_lshlrev_b32_e64 v22, v18, 0x80000
	v_add_nc_u32_e32 v18, v18, v16
	v_and_b32_e32 v17, v19, v17
	v_bfe_u32 v21, v20, 20, 1
	v_cmp_eq_u32_e64 s13, v17, v22
	v_add_nc_u32_e32 v19, -1, v21
	v_cndmask_b32_e64 v17, 0, v19, s13
	v_lshrrev_b32_e32 v19, 23, v20
	s_mov_b32 s13, exec_lo
	v_add_nc_u32_e32 v17, v17, v20
	v_xor_b32_e32 v19, 1, v19
	v_and_b32_e32 v16, 0xfffff, v17
	v_add_nc_u32_e32 v17, v16, v20
                                        ; implicit-def: $vgpr16
	v_cmpx_ne_u32_e64 v18, v19
	s_xor_b32 s13, exec_lo, s13
; %bb.2851:                             ;   in Loop: Header=BB6_2836 Depth=2
	v_cmp_lt_u32_e32 vcc_lo, 0xffffff, v17
	v_sub_nc_u32_e32 v16, v18, v19
	v_cndmask_b32_e64 v18, 0, 1, vcc_lo
	v_add_co_ci_u32_e64 v16, null, 0, v16, vcc_lo
	v_lshrrev_b32_e32 v17, v18, v17
; %bb.2852:                             ;   in Loop: Header=BB6_2836 Depth=2
	s_andn2_saveexec_b32 s13, s13
	s_cbranch_execz .LBB6_2833
; %bb.2853:                             ;   in Loop: Header=BB6_2836 Depth=2
	v_bfe_u32 v16, v17, 23, 1
	s_branch .LBB6_2833
.LBB6_2854:                             ;   in Loop: Header=BB6_2836 Depth=2
	s_or_saveexec_b32 s27, s27
	v_mov_b32_e32 v16, 0x7f800001
	s_xor_b32 exec_lo, exec_lo, s27
	s_cbranch_execz .LBB6_2840
.LBB6_2855:                             ;   in Loop: Header=BB6_2836 Depth=2
	v_cmp_ne_u16_e32 vcc_lo, 0, v17
	v_mov_b32_e32 v16, 0
	s_andn2_b32 s13, s13, exec_lo
	s_and_b32 s28, vcc_lo, exec_lo
	s_or_b32 s13, s13, s28
	s_or_b32 exec_lo, exec_lo, s27
	s_and_saveexec_b32 s27, s13
	s_cbranch_execnz .LBB6_2841
	s_branch .LBB6_2842
.LBB6_2856:                             ;   in Loop: Header=BB6_2836 Depth=2
	s_or_saveexec_b32 s27, s27
	v_mov_b32_e32 v17, 0x7f800001
	s_xor_b32 exec_lo, exec_lo, s27
	s_cbranch_execz .LBB6_2846
.LBB6_2857:                             ;   in Loop: Header=BB6_2836 Depth=2
	v_cmp_ne_u16_sdwa s28, v3, v84 src0_sel:BYTE_0 src1_sel:DWORD
	v_mov_b32_e32 v17, 0
	s_andn2_b32 s13, s13, exec_lo
	s_and_b32 s28, s28, exec_lo
	s_or_b32 s13, s13, s28
	s_or_b32 exec_lo, exec_lo, s27
	s_and_saveexec_b32 s27, s13
	s_cbranch_execnz .LBB6_2847
	s_branch .LBB6_2848
.LBB6_2858:                             ;   in Loop: Header=BB6_49 Depth=1
	s_or_b32 exec_lo, exec_lo, s14
	v_cmp_ne_u32_e64 s13, 0, v85
	s_and_saveexec_b32 s14, s6
	s_cbranch_execz .LBB6_2877
.LBB6_2859:                             ;   in Loop: Header=BB6_49 Depth=1
	s_and_saveexec_b32 s26, s20
	s_xor_b32 s26, exec_lo, s26
	s_cbranch_execz .LBB6_2874
; %bb.2860:                             ;   in Loop: Header=BB6_49 Depth=1
	s_and_saveexec_b32 s27, s10
	s_cbranch_execz .LBB6_2873
; %bb.2861:                             ;   in Loop: Header=BB6_49 Depth=1
	s_mov_b32 s29, exec_lo
	s_mov_b32 s28, exec_lo
	v_mbcnt_lo_u32_b32 v2, s29, 0
	s_waitcnt vmcnt(0) lgkmcnt(0)
	s_waitcnt_vscnt null, 0x0
	buffer_gl1_inv
	buffer_gl0_inv
	v_cmpx_eq_u32_e32 0, v2
	s_cbranch_execz .LBB6_2863
; %bb.2862:                             ;   in Loop: Header=BB6_49 Depth=1
	s_bcnt1_i32_b32 s29, s29
	v_mov_b32_e32 v3, v84
	v_mov_b32_e32 v2, s29
	ds_add_u64 v0, v[2:3]
	s_trap 2
.LBB6_2863:                             ;   in Loop: Header=BB6_49 Depth=1
	s_or_b32 exec_lo, exec_lo, s28
	s_trap 2
	ds_read_b64 v[2:3], v0
	s_waitcnt lgkmcnt(0)
	buffer_gl0_inv
	v_add_co_u32 v70, vcc_lo, v70, v119
	v_add_co_ci_u32_e64 v71, null, 0, v71, vcc_lo
	s_mov_b32 s28, exec_lo
	v_cmpx_lt_u64_e64 v[2:3], v[70:71]
	s_cbranch_execz .LBB6_2872
; %bb.2864:                             ;   in Loop: Header=BB6_49 Depth=1
	s_mov_b32 s29, 0
	s_mov_b32 s42, 0
                                        ; implicit-def: $sgpr40
                                        ; implicit-def: $sgpr41
	s_inst_prefetch 0x1
	s_branch .LBB6_2866
	.p2align	6
.LBB6_2865:                             ;   in Loop: Header=BB6_2866 Depth=2
	s_or_b32 exec_lo, exec_lo, s44
	s_and_b32 s43, exec_lo, s45
	s_or_b32 s29, s43, s29
	s_andn2_b32 s40, s40, exec_lo
	s_and_b32 s43, s41, exec_lo
	s_or_b32 s40, s40, s43
	s_andn2_b32 exec_lo, exec_lo, s29
	s_cbranch_execz .LBB6_2870
.LBB6_2866:                             ;   Parent Loop BB6_49 Depth=1
                                        ; =>  This Inner Loop Header: Depth=2
	s_add_i32 s42, s42, 1
	s_cmpk_lg_i32 s42, 0x2710
	s_cselect_b32 s43, -1, 0
	s_and_b32 vcc_lo, exec_lo, s43
	s_cbranch_vccz .LBB6_2868
; %bb.2867:                             ;   in Loop: Header=BB6_2866 Depth=2
	s_mov_b32 s45, -1
	s_or_b32 s41, s41, exec_lo
	s_and_saveexec_b32 s44, s43
	s_cbranch_execz .LBB6_2865
	s_branch .LBB6_2869
	.p2align	6
.LBB6_2868:                             ;   in Loop: Header=BB6_2866 Depth=2
	s_trap 2
	ds_read_b64 v[2:3], v0
	s_andn2_b32 s43, s43, exec_lo
	s_mov_b32 s42, 0
	s_waitcnt lgkmcnt(0)
	flat_load_dword v2, v[2:3] glc dlc
	s_waitcnt vmcnt(0) lgkmcnt(0)
	buffer_gl1_inv
	buffer_gl0_inv
	v_cmp_eq_u32_e32 vcc_lo, 0, v2
	s_and_b32 s44, vcc_lo, exec_lo
	s_or_b32 s43, s43, s44
	s_mov_b32 s45, -1
	s_or_b32 s41, s41, exec_lo
	s_and_saveexec_b32 s44, s43
	s_cbranch_execz .LBB6_2865
.LBB6_2869:                             ;   in Loop: Header=BB6_2866 Depth=2
	s_sleep 1
	s_trap 2
	ds_read_b64 v[2:3], v0
	s_waitcnt lgkmcnt(0)
	buffer_gl0_inv
	s_andn2_b32 s41, s41, exec_lo
	v_cmp_ge_u64_e32 vcc_lo, v[2:3], v[70:71]
	s_orn2_b32 s45, vcc_lo, exec_lo
	s_branch .LBB6_2865
.LBB6_2870:                             ;   in Loop: Header=BB6_49 Depth=1
	s_inst_prefetch 0x2
	s_or_b32 exec_lo, exec_lo, s29
	s_and_saveexec_b32 s29, s40
	s_xor_b32 s29, exec_lo, s29
	s_cbranch_execz .LBB6_2872
; %bb.2871:                             ;   in Loop: Header=BB6_49 Depth=1
	ds_write_b32 v0, v42
	s_trap 2
.LBB6_2872:                             ;   in Loop: Header=BB6_49 Depth=1
	s_or_b32 exec_lo, exec_lo, s28
	;;#ASMSTART
	s_wakeup
	;;#ASMEND
.LBB6_2873:                             ;   in Loop: Header=BB6_49 Depth=1
	s_or_b32 exec_lo, exec_lo, s27
.LBB6_2874:                             ;   in Loop: Header=BB6_49 Depth=1
	s_andn2_saveexec_b32 s26, s26
	s_cbranch_execz .LBB6_2876
; %bb.2875:                             ;   in Loop: Header=BB6_49 Depth=1
	s_waitcnt vmcnt(0) lgkmcnt(0)
	s_waitcnt_vscnt null, 0x0
	buffer_gl1_inv
	buffer_gl0_inv
	s_barrier
.LBB6_2876:                             ;   in Loop: Header=BB6_49 Depth=1
	s_or_b32 exec_lo, exec_lo, s26
.LBB6_2877:                             ;   in Loop: Header=BB6_49 Depth=1
	s_or_b32 exec_lo, exec_lo, s14
	v_and_b32_e32 v2, 16, v117
	v_cmp_ne_u32_e32 vcc_lo, 0, v2
	s_and_b32 s14, vcc_lo, s13
	s_and_saveexec_b32 s13, s14
	s_cbranch_execz .LBB6_2879
; %bb.2878:                             ;   in Loop: Header=BB6_49 Depth=1
	s_waitcnt vmcnt(0) lgkmcnt(0)
	s_waitcnt_vscnt null, 0x0
	buffer_gl1_inv
	buffer_gl0_inv
.LBB6_2879:                             ;   in Loop: Header=BB6_49 Depth=1
	s_or_b32 exec_lo, exec_lo, s13
	v_cmp_ne_u32_e32 vcc_lo, 0, v2
	s_xor_b32 s13, s7, -1
	s_and_b32 s14, vcc_lo, s13
	s_and_saveexec_b32 s13, s14
	s_cbranch_execz .LBB6_2881
; %bb.2880:                             ;   in Loop: Header=BB6_49 Depth=1
	s_waitcnt vmcnt(0) lgkmcnt(0)
	s_waitcnt_vscnt null, 0x0
	flat_store_dword v[82:83], v42
.LBB6_2881:                             ;   in Loop: Header=BB6_49 Depth=1
	s_or_b32 exec_lo, exec_lo, s13
	v_and_b32_e32 v2, 48, v117
	s_mov_b32 s13, exec_lo
	v_cmpx_ne_u32_e32 0, v2
	s_cbranch_execz .LBB6_2883
; %bb.2882:                             ;   in Loop: Header=BB6_49 Depth=1
	v_add_co_u32 v8, vcc_lo, v8, 1
	v_add_co_ci_u32_e64 v9, null, 0, v9, vcc_lo
	s_waitcnt vmcnt(0) lgkmcnt(0)
	s_waitcnt_vscnt null, 0x0
	flat_store_dwordx2 v[64:65], v[8:9]
.LBB6_2883:                             ;   in Loop: Header=BB6_49 Depth=1
	s_or_b32 exec_lo, exec_lo, s13
	v_mov_b32_e32 v2, v97
.LBB6_2884:                             ;   in Loop: Header=BB6_49 Depth=1
	s_or_b32 exec_lo, exec_lo, s25
	s_and_saveexec_b32 s14, s24
	s_cbranch_execz .LBB6_48
; %bb.2885:                             ;   in Loop: Header=BB6_49 Depth=1
	v_sub_nc_u32_e32 v2, v96, v2
	v_and_b32_e32 v3, 12, v117
	s_mov_b32 s24, exec_lo
	v_min_i32_e32 v10, v97, v2
	v_cmpx_ne_u32_e32 0, v3
	s_cbranch_execz .LBB6_2911
; %bb.2886:                             ;   in Loop: Header=BB6_49 Depth=1
	v_and_b32_e32 v2, 8, v117
	s_mov_b32 s25, exec_lo
	s_waitcnt vmcnt(0)
	v_add_co_u32 v14, vcc_lo, v68, v2
	v_add_co_ci_u32_e64 v15, null, 0, v69, vcc_lo
	s_waitcnt lgkmcnt(0)
	v_add_co_u32 v12, vcc_lo, v8, 1
	v_add_co_ci_u32_e64 v13, null, 0, v9, vcc_lo
	v_cmpx_lt_u64_e64 v[14:15], v[12:13]
	s_cbranch_execz .LBB6_2898
; %bb.2887:                             ;   in Loop: Header=BB6_49 Depth=1
	v_and_b32_e32 v3, 64, v117
	s_mov_b32 s26, 0
	s_mov_b32 s40, 0
                                        ; implicit-def: $sgpr27
                                        ; implicit-def: $sgpr28
                                        ; implicit-def: $sgpr29
	v_cmp_eq_u32_e32 vcc_lo, 0, v3
	s_branch .LBB6_2891
.LBB6_2888:                             ;   in Loop: Header=BB6_2891 Depth=2
	s_waitcnt vmcnt(0) lgkmcnt(0)
	v_add_co_u32 v14, s13, v68, v2
	v_add_co_ci_u32_e64 v15, null, 0, v69, s13
	s_or_b32 s43, s43, exec_lo
	v_cmp_ge_u64_e64 s13, v[14:15], v[12:13]
	s_orn2_b32 s42, s13, exec_lo
.LBB6_2889:                             ;   in Loop: Header=BB6_2891 Depth=2
	s_or_b32 exec_lo, exec_lo, s45
	s_andn2_b32 s13, s29, exec_lo
	s_and_b32 s29, s43, exec_lo
	s_andn2_b32 s28, s28, exec_lo
	s_and_b32 s42, s42, exec_lo
	s_or_b32 s29, s13, s29
	s_or_b32 s28, s28, s42
.LBB6_2890:                             ;   in Loop: Header=BB6_2891 Depth=2
	s_or_b32 exec_lo, exec_lo, s41
	s_and_b32 s13, exec_lo, s28
	s_or_b32 s26, s13, s26
	s_andn2_b32 s13, s27, exec_lo
	s_and_b32 s27, s29, exec_lo
	s_or_b32 s27, s13, s27
	s_andn2_b32 exec_lo, exec_lo, s26
	s_cbranch_execz .LBB6_2895
.LBB6_2891:                             ;   Parent Loop BB6_49 Depth=1
                                        ; =>  This Inner Loop Header: Depth=2
	s_sleep 1
	s_waitcnt vmcnt(0) lgkmcnt(0)
	flat_load_dwordx2 v[68:69], v[64:65] glc dlc
	s_or_b32 s29, s29, exec_lo
	s_or_b32 s28, s28, exec_lo
                                        ; implicit-def: $vgpr3
	s_and_saveexec_b32 s41, vcc_lo
	s_cbranch_execz .LBB6_2890
; %bb.2892:                             ;   in Loop: Header=BB6_2891 Depth=2
	s_cmpk_lt_i32 s40, 0x270f
	s_mov_b32 s42, -1
	s_cselect_b32 s44, -1, 0
	s_cmpk_gt_i32 s40, 0x270e
	s_cbranch_scc0 .LBB6_2894
; %bb.2893:                             ;   in Loop: Header=BB6_2891 Depth=2
	s_trap 2
	ds_read_b64 v[14:15], v0
	s_andn2_b32 s40, s44, exec_lo
	s_mov_b32 s43, 0
	s_waitcnt vmcnt(0) lgkmcnt(0)
	s_waitcnt_vscnt null, 0x0
	flat_load_dword v3, v[14:15] glc dlc
	s_waitcnt vmcnt(0) lgkmcnt(0)
	buffer_gl1_inv
	buffer_gl0_inv
	v_cmp_eq_u32_e64 s13, 0, v3
	s_and_b32 s13, s13, exec_lo
	s_or_b32 s44, s40, s13
	s_mov_b32 s40, 0
	s_and_saveexec_b32 s45, s44
	s_cbranch_execz .LBB6_2889
	s_branch .LBB6_2888
.LBB6_2894:                             ;   in Loop: Header=BB6_2891 Depth=2
	s_add_i32 s40, s40, 1
	s_mov_b32 s43, -1
                                        ; implicit-def: $vgpr3
	s_and_saveexec_b32 s45, s44
	s_cbranch_execz .LBB6_2889
	s_branch .LBB6_2888
.LBB6_2895:                             ;   in Loop: Header=BB6_49 Depth=1
	s_or_b32 exec_lo, exec_lo, s26
	s_xor_b32 s13, s27, -1
	s_and_saveexec_b32 s26, s13
	s_xor_b32 s13, exec_lo, s26
	s_cbranch_execz .LBB6_2897
; %bb.2896:                             ;   in Loop: Header=BB6_49 Depth=1
	v_or_b32_e32 v117, 64, v117
	s_waitcnt vmcnt(0) lgkmcnt(0)
	s_waitcnt_vscnt null, 0x0
	ds_write_b32 v0, v3
	s_trap 2
.LBB6_2897:                             ;   in Loop: Header=BB6_49 Depth=1
	s_or_b32 exec_lo, exec_lo, s13
.LBB6_2898:                             ;   in Loop: Header=BB6_49 Depth=1
	s_or_b32 exec_lo, exec_lo, s25
	v_and_b32_e32 v3, 0x108, v117
	;;#ASMSTART
	s_wakeup
	;;#ASMEND
	v_cmp_ne_u32_e32 vcc_lo, 0x108, v3
	v_and_b32_e32 v3, 7, v8
	s_and_saveexec_b32 s13, vcc_lo
	s_xor_b32 s13, exec_lo, s13
                                        ; implicit-def: $vgpr16
; %bb.2899:                             ;   in Loop: Header=BB6_49 Depth=1
	v_mov_b32_e32 v16, v84
; %bb.2900:                             ;   in Loop: Header=BB6_49 Depth=1
	s_andn2_saveexec_b32 s13, s13
	s_cbranch_execz .LBB6_2902
; %bb.2901:                             ;   in Loop: Header=BB6_49 Depth=1
	v_mad_u64_u32 v[8:9], null, v3, 24, v[6:7]
	v_ashrrev_i32_e32 v11, 31, v10
	v_mov_b32_e32 v16, v84
	flat_store_dwordx2 v[8:9], v[10:11] offset:8
.LBB6_2902:                             ;   in Loop: Header=BB6_49 Depth=1
	s_or_b32 exec_lo, exec_lo, s13
	v_and_b32_e32 v8, 0x100, v117
	s_mov_b32 s13, -1
	v_cmp_ne_u32_e32 vcc_lo, 0, v8
                                        ; implicit-def: $vgpr8_vgpr9
	s_and_saveexec_b32 s25, vcc_lo
	s_cbranch_execz .LBB6_2906
; %bb.2903:                             ;   in Loop: Header=BB6_49 Depth=1
	v_mad_u64_u32 v[14:15], null, v3, 24, v[6:7]
	v_mov_b32_e32 v8, v15
	v_mad_u64_u32 v[8:9], null, v16, 24, v[8:9]
	v_mov_b32_e32 v15, v8
	flat_load_dword v8, v[14:15]
	s_waitcnt vmcnt(0) lgkmcnt(0)
	v_cmp_eq_u32_e64 s13, 1, v8
	v_cmp_ne_u32_e32 vcc_lo, 1, v8
                                        ; implicit-def: $vgpr8_vgpr9
	s_and_saveexec_b32 s26, s13
	s_cbranch_execz .LBB6_2905
; %bb.2904:                             ;   in Loop: Header=BB6_49 Depth=1
	flat_load_dword v8, v[14:15] offset:4 glc dlc
	s_waitcnt vmcnt(0) lgkmcnt(0)
	v_ashrrev_i32_e32 v9, 31, v8
.LBB6_2905:                             ;   in Loop: Header=BB6_49 Depth=1
	s_or_b32 exec_lo, exec_lo, s26
	s_orn2_b32 s13, vcc_lo, exec_lo
.LBB6_2906:                             ;   in Loop: Header=BB6_49 Depth=1
	s_or_b32 exec_lo, exec_lo, s25
	s_and_saveexec_b32 s25, s13
	s_cbranch_execz .LBB6_2908
; %bb.2907:                             ;   in Loop: Header=BB6_49 Depth=1
	v_ashrrev_i32_e32 v8, 31, v118
	v_mul_lo_u32 v11, v16, v118
	v_mul_lo_u32 v14, v3, v8
	v_mad_u64_u32 v[8:9], null, v3, v118, 0
	v_add3_u32 v9, v9, v14, v11
.LBB6_2908:                             ;   in Loop: Header=BB6_49 Depth=1
	s_or_b32 exec_lo, exec_lo, s25
	v_cmp_eq_u32_e32 vcc_lo, 0, v2
	v_mov_b32_e32 v2, 0x90
	v_and_b32_e32 v14, 0x2000, v117
	s_mov_b32 s13, exec_lo
	v_cndmask_b32_e32 v11, 0xc8, v2, vcc_lo
	v_add_co_u32 v2, vcc_lo, v66, v8
	v_add_co_ci_u32_e64 v3, null, v67, v9, vcc_lo
	v_add_nc_u32_e32 v8, v0, v11
	ds_write_b64 v8, v[2:3] offset:584
	v_cmpx_ne_u32_e32 0, v14
	s_cbranch_execz .LBB6_2910
; %bb.2909:                             ;   in Loop: Header=BB6_49 Depth=1
	ds_read_b64 v[2:3], v0 offset:872
	s_waitcnt lgkmcnt(0)
	v_add_co_u32 v2, vcc_lo, v2, 1
	v_add_co_ci_u32_e64 v3, null, 0, v3, vcc_lo
	ds_write_b64 v0, v[2:3] offset:872
.LBB6_2910:                             ;   in Loop: Header=BB6_49 Depth=1
	s_or_b32 exec_lo, exec_lo, s13
	v_mov_b32_e32 v8, v12
	v_mov_b32_e32 v9, v13
.LBB6_2911:                             ;   in Loop: Header=BB6_49 Depth=1
	s_or_b32 exec_lo, exec_lo, s24
	s_and_saveexec_b32 s13, s6
	s_cbranch_execz .LBB6_2930
; %bb.2912:                             ;   in Loop: Header=BB6_49 Depth=1
	s_and_saveexec_b32 s24, s20
	s_xor_b32 s24, exec_lo, s24
	s_cbranch_execz .LBB6_2927
; %bb.2913:                             ;   in Loop: Header=BB6_49 Depth=1
	s_and_saveexec_b32 s25, s10
	s_cbranch_execz .LBB6_2926
; %bb.2914:                             ;   in Loop: Header=BB6_49 Depth=1
	s_mov_b32 s27, exec_lo
	s_mov_b32 s26, exec_lo
	v_mbcnt_lo_u32_b32 v2, s27, 0
	s_waitcnt vmcnt(0) lgkmcnt(0)
	s_waitcnt_vscnt null, 0x0
	buffer_gl1_inv
	buffer_gl0_inv
	v_cmpx_eq_u32_e32 0, v2
	s_cbranch_execz .LBB6_2916
; %bb.2915:                             ;   in Loop: Header=BB6_49 Depth=1
	s_bcnt1_i32_b32 s27, s27
	v_mov_b32_e32 v3, v84
	v_mov_b32_e32 v2, s27
	ds_add_u64 v0, v[2:3]
	s_trap 2
.LBB6_2916:                             ;   in Loop: Header=BB6_49 Depth=1
	s_or_b32 exec_lo, exec_lo, s26
	s_trap 2
	ds_read_b64 v[2:3], v0
	s_waitcnt lgkmcnt(0)
	buffer_gl0_inv
	v_add_co_u32 v70, vcc_lo, v70, v119
	v_add_co_ci_u32_e64 v71, null, 0, v71, vcc_lo
	s_mov_b32 s26, exec_lo
	v_cmpx_lt_u64_e64 v[2:3], v[70:71]
	s_cbranch_execz .LBB6_2925
; %bb.2917:                             ;   in Loop: Header=BB6_49 Depth=1
	s_mov_b32 s27, 0
	s_mov_b32 s40, 0
                                        ; implicit-def: $sgpr28
                                        ; implicit-def: $sgpr29
	s_inst_prefetch 0x1
	s_branch .LBB6_2919
	.p2align	6
.LBB6_2918:                             ;   in Loop: Header=BB6_2919 Depth=2
	s_or_b32 exec_lo, exec_lo, s42
	s_and_b32 s41, exec_lo, s43
	s_or_b32 s27, s41, s27
	s_andn2_b32 s28, s28, exec_lo
	s_and_b32 s41, s29, exec_lo
	s_or_b32 s28, s28, s41
	s_andn2_b32 exec_lo, exec_lo, s27
	s_cbranch_execz .LBB6_2923
.LBB6_2919:                             ;   Parent Loop BB6_49 Depth=1
                                        ; =>  This Inner Loop Header: Depth=2
	s_add_i32 s40, s40, 1
	s_cmpk_lg_i32 s40, 0x2710
	s_cselect_b32 s41, -1, 0
	s_and_b32 vcc_lo, exec_lo, s41
	s_cbranch_vccz .LBB6_2921
; %bb.2920:                             ;   in Loop: Header=BB6_2919 Depth=2
	s_mov_b32 s43, -1
	s_or_b32 s29, s29, exec_lo
	s_and_saveexec_b32 s42, s41
	s_cbranch_execz .LBB6_2918
	s_branch .LBB6_2922
	.p2align	6
.LBB6_2921:                             ;   in Loop: Header=BB6_2919 Depth=2
	s_trap 2
	ds_read_b64 v[2:3], v0
	s_andn2_b32 s41, s41, exec_lo
	s_mov_b32 s40, 0
	s_waitcnt lgkmcnt(0)
	flat_load_dword v2, v[2:3] glc dlc
	s_waitcnt vmcnt(0) lgkmcnt(0)
	buffer_gl1_inv
	buffer_gl0_inv
	v_cmp_eq_u32_e32 vcc_lo, 0, v2
	s_and_b32 s42, vcc_lo, exec_lo
	s_or_b32 s41, s41, s42
	s_mov_b32 s43, -1
	s_or_b32 s29, s29, exec_lo
	s_and_saveexec_b32 s42, s41
	s_cbranch_execz .LBB6_2918
.LBB6_2922:                             ;   in Loop: Header=BB6_2919 Depth=2
	s_sleep 1
	s_trap 2
	ds_read_b64 v[2:3], v0
	s_waitcnt lgkmcnt(0)
	buffer_gl0_inv
	s_andn2_b32 s29, s29, exec_lo
	v_cmp_ge_u64_e32 vcc_lo, v[2:3], v[70:71]
	s_orn2_b32 s43, vcc_lo, exec_lo
	s_branch .LBB6_2918
.LBB6_2923:                             ;   in Loop: Header=BB6_49 Depth=1
	s_inst_prefetch 0x2
	s_or_b32 exec_lo, exec_lo, s27
	s_and_saveexec_b32 s27, s28
	s_xor_b32 s27, exec_lo, s27
	s_cbranch_execz .LBB6_2925
; %bb.2924:                             ;   in Loop: Header=BB6_49 Depth=1
	ds_write_b32 v0, v42
	s_trap 2
.LBB6_2925:                             ;   in Loop: Header=BB6_49 Depth=1
	s_or_b32 exec_lo, exec_lo, s26
	;;#ASMSTART
	s_wakeup
	;;#ASMEND
.LBB6_2926:                             ;   in Loop: Header=BB6_49 Depth=1
	s_or_b32 exec_lo, exec_lo, s25
.LBB6_2927:                             ;   in Loop: Header=BB6_49 Depth=1
	s_andn2_saveexec_b32 s24, s24
	s_cbranch_execz .LBB6_2929
; %bb.2928:                             ;   in Loop: Header=BB6_49 Depth=1
	s_waitcnt vmcnt(0) lgkmcnt(0)
	s_waitcnt_vscnt null, 0x0
	buffer_gl1_inv
	buffer_gl0_inv
	s_barrier
.LBB6_2929:                             ;   in Loop: Header=BB6_49 Depth=1
	s_or_b32 exec_lo, exec_lo, s24
.LBB6_2930:                             ;   in Loop: Header=BB6_49 Depth=1
	s_or_b32 exec_lo, exec_lo, s13
	s_trap 2
	ds_read_b32 v2, v0
	v_cmp_lt_i32_e32 vcc_lo, 0, v10
	s_waitcnt lgkmcnt(0)
	v_readfirstlane_b32 s13, v2
	v_and_b32_e32 v2, 16, v117
	s_cmp_eq_u32 s13, 0
	v_cmp_ne_u32_e64 s13, 0, v2
	s_cselect_b32 s24, -1, 0
	s_and_b32 s24, vcc_lo, s24
	s_and_b32 s24, s13, s24
	s_and_saveexec_b32 s13, s24
	s_cbranch_execz .LBB6_2932
; %bb.2931:                             ;   in Loop: Header=BB6_49 Depth=1
	s_waitcnt vmcnt(0)
	s_waitcnt_vscnt null, 0x0
	buffer_gl1_inv
	buffer_gl0_inv
.LBB6_2932:                             ;   in Loop: Header=BB6_49 Depth=1
	s_or_b32 exec_lo, exec_lo, s13
	v_cmp_ne_u32_e32 vcc_lo, 0, v2
	s_xor_b32 s13, s7, -1
	s_and_b32 s24, vcc_lo, s13
	s_and_saveexec_b32 s13, s24
	s_cbranch_execz .LBB6_2934
; %bb.2933:                             ;   in Loop: Header=BB6_49 Depth=1
	s_waitcnt vmcnt(0)
	s_waitcnt_vscnt null, 0x0
	flat_store_dword v[82:83], v42
.LBB6_2934:                             ;   in Loop: Header=BB6_49 Depth=1
	s_or_b32 exec_lo, exec_lo, s13
	v_and_b32_e32 v2, 48, v117
	s_mov_b32 s13, exec_lo
	v_cmpx_ne_u32_e32 0, v2
	s_cbranch_execz .LBB6_47
; %bb.2935:                             ;   in Loop: Header=BB6_49 Depth=1
	v_add_co_u32 v8, vcc_lo, v8, 1
	v_add_co_ci_u32_e64 v9, null, 0, v9, vcc_lo
	s_waitcnt vmcnt(0) lgkmcnt(0)
	s_waitcnt_vscnt null, 0x0
	flat_store_dwordx2 v[64:65], v[8:9]
	s_branch .LBB6_47
.LBB6_2936:
	s_or_b32 exec_lo, exec_lo, s21
	buffer_load_dword v58, off, s[0:3], s33 offset:188 ; 4-byte Folded Reload
.LBB6_2937:
	s_or_b32 exec_lo, exec_lo, s19
                                        ; implicit-def: $vgpr52_vgpr53
                                        ; implicit-def: $vgpr4_vgpr5
                                        ; implicit-def: $vgpr118
                                        ; implicit-def: $vgpr68_vgpr69
                                        ; implicit-def: $vgpr66_vgpr67
                                        ; implicit-def: $vgpr64_vgpr65
                                        ; implicit-def: $vgpr0
                                        ; implicit-def: $vgpr32
                                        ; implicit-def: $vgpr80
.LBB6_2938:
	s_andn2_saveexec_b32 s14, s18
	s_cbranch_execz .LBB6_5820
; %bb.2939:
	v_mov_b32_e32 v70, 0
	v_mov_b32_e32 v71, 0
	s_mov_b32 s18, exec_lo
	v_cmpx_ne_u64_e32 0, v[4:5]
	s_cbranch_execz .LBB6_5819
; %bb.2940:
	v_ashrrev_i32_e32 v2, 31, v0
	v_and_b32_e32 v3, 31, v31
	v_lshrrev_b32_e32 v87, 5, v1
	s_ashr_i32 s7, s16, 31
	v_cmp_eq_u32_e32 vcc_lo, 32, v1
	v_lshrrev_b32_e32 v2, 27, v2
	s_lshr_b32 s7, s7, 24
	s_waitcnt vmcnt(1) lgkmcnt(1)
	v_mov_b32_e32 v82, 0
	v_mov_b32_e32 v70, 0
	v_cmp_ge_i32_e64 s5, v0, v1
	v_add_nc_u32_e32 v2, v0, v2
	v_cmp_ne_u32_e64 s6, 32, v1
	s_waitcnt vmcnt(0)
	v_cmp_ne_u32_sdwa s19, v1, v58 src0_sel:DWORD src1_sel:WORD_0
	v_mov_b32_e32 v30, 0
	v_and_b32_e32 v112, 0x1fe0, v1
	v_and_b32_e32 v10, 0xffffffe0, v2
	v_ashrrev_i32_e32 v114, 5, v2
	v_mov_b32_e32 v83, 0
	v_mov_b32_e32 v115, 0x7f
	;; [unrolled: 1-line block ×3, first 2 shown]
	v_sub_nc_u32_e32 v40, v0, v10
	v_lshlrev_b32_e32 v2, 11, v114
	v_mov_b32_e32 v41, 0xffff
	s_add_i32 s12, s16, s7
	v_cmp_eq_u32_e64 s7, 0, v3
	v_lshlrev_b32_e32 v42, 11, v87
	v_lshl_add_u32 v43, v40, 4, v2
	v_lshlrev_b32_e32 v44, 9, v87
	v_lshlrev_b32_e32 v45, 10, v87
	v_cmp_le_i32_e64 s10, v40, v32
	v_cmp_gt_i32_e64 s11, 1, v40
	v_ashrrev_i32_e32 v46, 31, v43
	v_mov_b32_e32 v47, 24
	v_mov_b32_e32 v56, 0xff
	;; [unrolled: 1-line block ×4, first 2 shown]
	s_ashr_i32 s21, s12, 8
	s_mov_b32 s20, 0
	s_xor_b32 s22, vcc_lo, -1
	buffer_store_dword v58, off, s[0:3], s33 offset:188 ; 4-byte Folded Spill
	s_trap 2
	s_branch .LBB6_2943
.LBB6_2941:                             ;   in Loop: Header=BB6_2943 Depth=1
	s_or_b32 exec_lo, exec_lo, s12
.LBB6_2942:                             ;   in Loop: Header=BB6_2943 Depth=1
	s_or_b32 exec_lo, exec_lo, s13
	v_add_co_u32 v82, vcc_lo, v82, v80
	v_add_co_ci_u32_e64 v83, null, 0, v83, vcc_lo
	v_cmp_ge_u64_e32 vcc_lo, v[82:83], v[4:5]
	s_or_b32 s20, vcc_lo, s20
	s_andn2_b32 exec_lo, exec_lo, s20
	s_cbranch_execz .LBB6_5818
.LBB6_2943:                             ; =>This Loop Header: Depth=1
                                        ;     Child Loop BB6_2952 Depth 2
                                        ;     Child Loop BB6_2976 Depth 2
                                        ;     Child Loop BB6_2995 Depth 2
                                        ;     Child Loop BB6_3020 Depth 2
                                        ;     Child Loop BB6_4561 Depth 2
                                        ;     Child Loop BB6_4953 Depth 2
                                        ;     Child Loop BB6_5726 Depth 2
                                        ;     Child Loop BB6_5756 Depth 2
                                        ;     Child Loop BB6_5779 Depth 2
                                        ;     Child Loop BB6_5803 Depth 2
	v_sub_co_u32 v2, vcc_lo, v4, v82
	v_sub_co_ci_u32_e64 v3, null, v5, v83, vcc_lo
	v_cmp_lt_u64_e32 vcc_lo, v[80:81], v[2:3]
	v_cndmask_b32_e32 v84, v2, v80, vcc_lo
	v_cndmask_b32_e64 v85, v3, 0, vcc_lo
	v_add_nc_u32_e32 v2, 15, v84
	v_cmp_eq_u64_e32 vcc_lo, 0, v[84:85]
	v_and_b32_e32 v2, 0x7ffffff0, v2
	s_or_b32 s23, s5, vcc_lo
	s_xor_b32 s12, s23, -1
	v_max_i32_e32 v58, s21, v2
	v_mov_b32_e32 v2, 0
	s_and_saveexec_b32 s24, s12
	s_cbranch_execz .LBB6_5772
; %bb.2944:                             ;   in Loop: Header=BB6_2943 Depth=1
	s_and_saveexec_b32 s13, s4
	s_cbranch_execz .LBB6_2946
; %bb.2945:                             ;   in Loop: Header=BB6_2943 Depth=1
	s_trap 2
	ds_read2_b64 v[10:13], v0 offset1:1
	ds_read_b64 v[2:3], v0
	v_add_co_u32 v14, vcc_lo, v82, v52
	v_add_co_ci_u32_e64 v15, null, v83, v53, vcc_lo
	s_waitcnt lgkmcnt(1)
	v_add_co_u32 v10, vcc_lo, v10, v14
	v_add_co_ci_u32_e64 v11, null, v11, v15, vcc_lo
	s_waitcnt lgkmcnt(0)
	v_add_co_u32 v16, vcc_lo, v2, v14
	v_add_co_ci_u32_e64 v17, null, v3, v15, vcc_lo
	v_cmp_ne_u64_e32 vcc_lo, 0, v[2:3]
	v_add_co_u32 v2, s12, v12, v14
	v_add_co_ci_u32_e64 v3, null, v13, v15, s12
	v_cndmask_b32_e32 v13, 0, v17, vcc_lo
	v_cndmask_b32_e32 v12, 0, v16, vcc_lo
	ds_write_b64 v0, v[10:11]
	ds_write_b64 v0, v[2:3]
	;; [unrolled: 1-line block ×3, first 2 shown]
.LBB6_2946:                             ;   in Loop: Header=BB6_2943 Depth=1
	s_or_b32 exec_lo, exec_lo, s13
	v_and_b32_e32 v2, 4, v117
	s_mov_b32 s13, exec_lo
	v_cmpx_ne_u32_e32 0, v2
	s_cbranch_execz .LBB6_2968
; %bb.2947:                             ;   in Loop: Header=BB6_2943 Depth=1
	s_waitcnt lgkmcnt(0)
	v_add_co_u32 v10, vcc_lo, v8, 1
	v_add_co_ci_u32_e64 v11, null, 0, v9, vcc_lo
	s_mov_b32 s25, exec_lo
	s_waitcnt vmcnt(0)
	v_cmpx_lt_u64_e64 v[68:69], v[10:11]
	s_cbranch_execz .LBB6_2959
; %bb.2948:                             ;   in Loop: Header=BB6_2943 Depth=1
	v_and_b32_e32 v2, 64, v117
	s_mov_b32 s26, 0
	s_mov_b32 s40, 0
                                        ; implicit-def: $sgpr27
                                        ; implicit-def: $sgpr28
                                        ; implicit-def: $sgpr29
	v_cmp_eq_u32_e32 vcc_lo, 0, v2
	s_branch .LBB6_2952
.LBB6_2949:                             ;   in Loop: Header=BB6_2952 Depth=2
	s_waitcnt vmcnt(0) lgkmcnt(0)
	v_cmp_ge_u64_e64 s12, v[68:69], v[10:11]
	s_or_b32 s43, s43, exec_lo
	s_orn2_b32 s42, s12, exec_lo
.LBB6_2950:                             ;   in Loop: Header=BB6_2952 Depth=2
	s_or_b32 exec_lo, exec_lo, s45
	s_andn2_b32 s12, s29, exec_lo
	s_and_b32 s29, s43, exec_lo
	s_andn2_b32 s28, s28, exec_lo
	s_and_b32 s42, s42, exec_lo
	s_or_b32 s29, s12, s29
	s_or_b32 s28, s28, s42
.LBB6_2951:                             ;   in Loop: Header=BB6_2952 Depth=2
	s_or_b32 exec_lo, exec_lo, s41
	s_and_b32 s12, exec_lo, s28
	s_or_b32 s26, s12, s26
	s_andn2_b32 s12, s27, exec_lo
	s_and_b32 s27, s29, exec_lo
	s_or_b32 s27, s12, s27
	s_andn2_b32 exec_lo, exec_lo, s26
	s_cbranch_execz .LBB6_2956
.LBB6_2952:                             ;   Parent Loop BB6_2943 Depth=1
                                        ; =>  This Inner Loop Header: Depth=2
	s_sleep 1
	s_waitcnt vmcnt(0) lgkmcnt(0)
	flat_load_dwordx2 v[68:69], v[64:65] glc dlc
	s_or_b32 s29, s29, exec_lo
	s_or_b32 s28, s28, exec_lo
                                        ; implicit-def: $vgpr2
	s_and_saveexec_b32 s41, vcc_lo
	s_cbranch_execz .LBB6_2951
; %bb.2953:                             ;   in Loop: Header=BB6_2952 Depth=2
	s_cmpk_lt_i32 s40, 0x270f
	s_mov_b32 s42, -1
	s_cselect_b32 s44, -1, 0
	s_cmpk_gt_i32 s40, 0x270e
	s_cbranch_scc0 .LBB6_2955
; %bb.2954:                             ;   in Loop: Header=BB6_2952 Depth=2
	s_trap 2
	ds_read_b64 v[2:3], v0
	s_andn2_b32 s40, s44, exec_lo
	s_mov_b32 s43, 0
	s_waitcnt vmcnt(0) lgkmcnt(0)
	s_waitcnt_vscnt null, 0x0
	flat_load_dword v2, v[2:3] glc dlc
	s_waitcnt vmcnt(0) lgkmcnt(0)
	buffer_gl1_inv
	buffer_gl0_inv
	v_cmp_eq_u32_e64 s12, 0, v2
	s_and_b32 s12, s12, exec_lo
	s_or_b32 s44, s40, s12
	s_mov_b32 s40, 0
	s_and_saveexec_b32 s45, s44
	s_cbranch_execz .LBB6_2950
	s_branch .LBB6_2949
.LBB6_2955:                             ;   in Loop: Header=BB6_2952 Depth=2
	s_add_i32 s40, s40, 1
	s_mov_b32 s43, -1
                                        ; implicit-def: $vgpr2
	s_and_saveexec_b32 s45, s44
	s_cbranch_execz .LBB6_2950
	s_branch .LBB6_2949
.LBB6_2956:                             ;   in Loop: Header=BB6_2943 Depth=1
	s_or_b32 exec_lo, exec_lo, s26
	s_xor_b32 s12, s27, -1
	s_and_saveexec_b32 s26, s12
	s_xor_b32 s12, exec_lo, s26
	s_cbranch_execz .LBB6_2958
; %bb.2957:                             ;   in Loop: Header=BB6_2943 Depth=1
	v_or_b32_e32 v117, 64, v117
	s_waitcnt vmcnt(0) lgkmcnt(0)
	s_waitcnt_vscnt null, 0x0
	ds_write_b32 v0, v2
	s_trap 2
.LBB6_2958:                             ;   in Loop: Header=BB6_2943 Depth=1
	s_or_b32 exec_lo, exec_lo, s12
.LBB6_2959:                             ;   in Loop: Header=BB6_2943 Depth=1
	s_or_b32 exec_lo, exec_lo, s25
	v_and_b32_e32 v2, 0x100, v117
	s_mov_b32 s12, -1
	;;#ASMSTART
	s_wakeup
	;;#ASMEND
	v_cmp_ne_u32_e32 vcc_lo, 0, v2
	v_and_b32_e32 v2, 7, v8
                                        ; implicit-def: $vgpr8_vgpr9
	s_and_saveexec_b32 s25, vcc_lo
	s_cbranch_execz .LBB6_2963
; %bb.2960:                             ;   in Loop: Header=BB6_2943 Depth=1
	v_mad_u64_u32 v[12:13], null, v2, 24, v[6:7]
	s_mov_b32 s26, exec_lo
                                        ; implicit-def: $vgpr8_vgpr9
	flat_load_dword v3, v[12:13]
	s_waitcnt vmcnt(0) lgkmcnt(0)
	v_cmp_ne_u32_e32 vcc_lo, 1, v3
	v_cmpx_eq_u32_e32 1, v3
	s_cbranch_execz .LBB6_2962
; %bb.2961:                             ;   in Loop: Header=BB6_2943 Depth=1
	flat_load_dword v8, v[12:13] offset:4 glc dlc
	s_waitcnt vmcnt(0) lgkmcnt(0)
	v_ashrrev_i32_e32 v9, 31, v8
.LBB6_2962:                             ;   in Loop: Header=BB6_2943 Depth=1
	s_or_b32 exec_lo, exec_lo, s26
	s_orn2_b32 s12, vcc_lo, exec_lo
.LBB6_2963:                             ;   in Loop: Header=BB6_2943 Depth=1
	s_or_b32 exec_lo, exec_lo, s25
	s_and_saveexec_b32 s25, s12
; %bb.2964:                             ;   in Loop: Header=BB6_2943 Depth=1
	v_mad_i64_i32 v[8:9], null, v2, v118, 0
; %bb.2965:                             ;   in Loop: Header=BB6_2943 Depth=1
	s_or_b32 exec_lo, exec_lo, s25
	v_add_co_u32 v2, vcc_lo, v66, v8
	v_and_b32_e32 v12, 0x2000, v117
	v_add_co_ci_u32_e64 v3, null, v67, v9, vcc_lo
	s_mov_b32 s12, exec_lo
	ds_write_b64 v0, v[2:3] offset:728
	v_cmpx_ne_u32_e32 0, v12
	s_cbranch_execz .LBB6_2967
; %bb.2966:                             ;   in Loop: Header=BB6_2943 Depth=1
	ds_read_b64 v[2:3], v0 offset:872
	s_waitcnt lgkmcnt(0)
	v_add_co_u32 v2, vcc_lo, v2, 1
	v_add_co_ci_u32_e64 v3, null, 0, v3, vcc_lo
	ds_write_b64 v0, v[2:3] offset:872
.LBB6_2967:                             ;   in Loop: Header=BB6_2943 Depth=1
	s_or_b32 exec_lo, exec_lo, s12
	v_mov_b32_e32 v8, v10
	v_mov_b32_e32 v9, v11
.LBB6_2968:                             ;   in Loop: Header=BB6_2943 Depth=1
	s_or_b32 exec_lo, exec_lo, s13
	s_and_saveexec_b32 s12, s6
	s_cbranch_execz .LBB6_2987
; %bb.2969:                             ;   in Loop: Header=BB6_2943 Depth=1
	s_and_saveexec_b32 s13, s19
	s_xor_b32 s13, exec_lo, s13
	s_cbranch_execz .LBB6_2984
; %bb.2970:                             ;   in Loop: Header=BB6_2943 Depth=1
	s_and_saveexec_b32 s25, s7
	s_cbranch_execz .LBB6_2983
; %bb.2971:                             ;   in Loop: Header=BB6_2943 Depth=1
	s_mov_b32 s27, exec_lo
	s_mov_b32 s26, exec_lo
	v_mbcnt_lo_u32_b32 v2, s27, 0
	s_waitcnt vmcnt(0) lgkmcnt(0)
	s_waitcnt_vscnt null, 0x0
	buffer_gl1_inv
	buffer_gl0_inv
	v_cmpx_eq_u32_e32 0, v2
	s_cbranch_execz .LBB6_2973
; %bb.2972:                             ;   in Loop: Header=BB6_2943 Depth=1
	s_bcnt1_i32_b32 s27, s27
	v_mov_b32_e32 v29, s27
	ds_add_u64 v0, v[29:30]
	s_trap 2
.LBB6_2973:                             ;   in Loop: Header=BB6_2943 Depth=1
	s_or_b32 exec_lo, exec_lo, s26
	s_trap 2
	ds_read_b64 v[2:3], v0
	s_waitcnt lgkmcnt(0)
	buffer_gl0_inv
	v_add_co_u32 v70, vcc_lo, v70, v87
	v_add_co_ci_u32_e64 v71, null, 0, v71, vcc_lo
	s_mov_b32 s26, exec_lo
	v_cmpx_lt_u64_e64 v[2:3], v[70:71]
	s_cbranch_execz .LBB6_2982
; %bb.2974:                             ;   in Loop: Header=BB6_2943 Depth=1
	s_mov_b32 s27, 0
	s_mov_b32 s40, 0
                                        ; implicit-def: $sgpr28
                                        ; implicit-def: $sgpr29
	s_inst_prefetch 0x1
	s_branch .LBB6_2976
	.p2align	6
.LBB6_2975:                             ;   in Loop: Header=BB6_2976 Depth=2
	s_or_b32 exec_lo, exec_lo, s42
	s_and_b32 s41, exec_lo, s43
	s_or_b32 s27, s41, s27
	s_andn2_b32 s28, s28, exec_lo
	s_and_b32 s41, s29, exec_lo
	s_or_b32 s28, s28, s41
	s_andn2_b32 exec_lo, exec_lo, s27
	s_cbranch_execz .LBB6_2980
.LBB6_2976:                             ;   Parent Loop BB6_2943 Depth=1
                                        ; =>  This Inner Loop Header: Depth=2
	s_add_i32 s40, s40, 1
	s_cmpk_lg_i32 s40, 0x2710
	s_cselect_b32 s41, -1, 0
	s_and_b32 vcc_lo, exec_lo, s41
	s_cbranch_vccz .LBB6_2978
; %bb.2977:                             ;   in Loop: Header=BB6_2976 Depth=2
	s_mov_b32 s43, -1
	s_or_b32 s29, s29, exec_lo
	s_and_saveexec_b32 s42, s41
	s_cbranch_execz .LBB6_2975
	s_branch .LBB6_2979
	.p2align	6
.LBB6_2978:                             ;   in Loop: Header=BB6_2976 Depth=2
	s_trap 2
	ds_read_b64 v[2:3], v0
	s_andn2_b32 s41, s41, exec_lo
	s_mov_b32 s40, 0
	s_waitcnt lgkmcnt(0)
	flat_load_dword v2, v[2:3] glc dlc
	s_waitcnt vmcnt(0) lgkmcnt(0)
	buffer_gl1_inv
	buffer_gl0_inv
	v_cmp_eq_u32_e32 vcc_lo, 0, v2
	s_and_b32 s42, vcc_lo, exec_lo
	s_or_b32 s41, s41, s42
	s_mov_b32 s43, -1
	s_or_b32 s29, s29, exec_lo
	s_and_saveexec_b32 s42, s41
	s_cbranch_execz .LBB6_2975
.LBB6_2979:                             ;   in Loop: Header=BB6_2976 Depth=2
	s_sleep 1
	s_trap 2
	ds_read_b64 v[2:3], v0
	s_waitcnt lgkmcnt(0)
	buffer_gl0_inv
	s_andn2_b32 s29, s29, exec_lo
	v_cmp_ge_u64_e32 vcc_lo, v[2:3], v[70:71]
	s_orn2_b32 s43, vcc_lo, exec_lo
	s_branch .LBB6_2975
.LBB6_2980:                             ;   in Loop: Header=BB6_2943 Depth=1
	s_inst_prefetch 0x2
	s_or_b32 exec_lo, exec_lo, s27
	s_and_saveexec_b32 s27, s28
	s_xor_b32 s27, exec_lo, s27
	s_cbranch_execz .LBB6_2982
; %bb.2981:                             ;   in Loop: Header=BB6_2943 Depth=1
	v_mov_b32_e32 v2, 1
	ds_write_b32 v0, v2
	s_trap 2
.LBB6_2982:                             ;   in Loop: Header=BB6_2943 Depth=1
	s_or_b32 exec_lo, exec_lo, s26
	;;#ASMSTART
	s_wakeup
	;;#ASMEND
.LBB6_2983:                             ;   in Loop: Header=BB6_2943 Depth=1
	s_or_b32 exec_lo, exec_lo, s25
.LBB6_2984:                             ;   in Loop: Header=BB6_2943 Depth=1
	s_andn2_saveexec_b32 s13, s13
	s_cbranch_execz .LBB6_2986
; %bb.2985:                             ;   in Loop: Header=BB6_2943 Depth=1
	s_waitcnt vmcnt(0) lgkmcnt(0)
	s_waitcnt_vscnt null, 0x0
	buffer_gl1_inv
	buffer_gl0_inv
	s_barrier
.LBB6_2986:                             ;   in Loop: Header=BB6_2943 Depth=1
	s_or_b32 exec_lo, exec_lo, s13
.LBB6_2987:                             ;   in Loop: Header=BB6_2943 Depth=1
	s_or_b32 exec_lo, exec_lo, s12
	s_trap 2
	ds_read_b32 v2, v0
	v_and_b32_e32 v3, 0x4000, v117
	v_cmp_ne_u32_e32 vcc_lo, 0, v3
	s_and_b32 s13, s22, vcc_lo
	s_and_saveexec_b32 s12, s13
	s_cbranch_execz .LBB6_3006
; %bb.2988:                             ;   in Loop: Header=BB6_2943 Depth=1
	s_and_saveexec_b32 s13, s19
	s_xor_b32 s13, exec_lo, s13
	s_cbranch_execz .LBB6_3003
; %bb.2989:                             ;   in Loop: Header=BB6_2943 Depth=1
	s_and_saveexec_b32 s25, s7
	s_cbranch_execz .LBB6_3002
; %bb.2990:                             ;   in Loop: Header=BB6_2943 Depth=1
	s_mov_b32 s27, exec_lo
	s_mov_b32 s26, exec_lo
	v_mbcnt_lo_u32_b32 v3, s27, 0
	s_waitcnt vmcnt(0) lgkmcnt(0)
	s_waitcnt_vscnt null, 0x0
	buffer_gl1_inv
	buffer_gl0_inv
	v_cmpx_eq_u32_e32 0, v3
	s_cbranch_execz .LBB6_2992
; %bb.2991:                             ;   in Loop: Header=BB6_2943 Depth=1
	s_bcnt1_i32_b32 s27, s27
	v_mov_b32_e32 v29, s27
	ds_add_u64 v0, v[29:30]
	s_trap 2
.LBB6_2992:                             ;   in Loop: Header=BB6_2943 Depth=1
	s_or_b32 exec_lo, exec_lo, s26
	s_trap 2
	ds_read_b64 v[10:11], v0
	s_waitcnt lgkmcnt(0)
	buffer_gl0_inv
	v_add_co_u32 v70, vcc_lo, v70, v87
	v_add_co_ci_u32_e64 v71, null, 0, v71, vcc_lo
	s_mov_b32 s26, exec_lo
	v_cmpx_lt_u64_e64 v[10:11], v[70:71]
	s_cbranch_execz .LBB6_3001
; %bb.2993:                             ;   in Loop: Header=BB6_2943 Depth=1
	s_mov_b32 s27, 0
	s_mov_b32 s40, 0
                                        ; implicit-def: $sgpr28
                                        ; implicit-def: $sgpr29
	s_inst_prefetch 0x1
	s_branch .LBB6_2995
	.p2align	6
.LBB6_2994:                             ;   in Loop: Header=BB6_2995 Depth=2
	s_or_b32 exec_lo, exec_lo, s42
	s_and_b32 s41, exec_lo, s43
	s_or_b32 s27, s41, s27
	s_andn2_b32 s28, s28, exec_lo
	s_and_b32 s41, s29, exec_lo
	s_or_b32 s28, s28, s41
	s_andn2_b32 exec_lo, exec_lo, s27
	s_cbranch_execz .LBB6_2999
.LBB6_2995:                             ;   Parent Loop BB6_2943 Depth=1
                                        ; =>  This Inner Loop Header: Depth=2
	s_add_i32 s40, s40, 1
	s_cmpk_lg_i32 s40, 0x2710
	s_cselect_b32 s41, -1, 0
	s_and_b32 vcc_lo, exec_lo, s41
	s_cbranch_vccz .LBB6_2997
; %bb.2996:                             ;   in Loop: Header=BB6_2995 Depth=2
	s_mov_b32 s43, -1
	s_or_b32 s29, s29, exec_lo
	s_and_saveexec_b32 s42, s41
	s_cbranch_execz .LBB6_2994
	s_branch .LBB6_2998
	.p2align	6
.LBB6_2997:                             ;   in Loop: Header=BB6_2995 Depth=2
	s_trap 2
	ds_read_b64 v[10:11], v0
	s_andn2_b32 s41, s41, exec_lo
	s_mov_b32 s40, 0
	s_waitcnt lgkmcnt(0)
	flat_load_dword v3, v[10:11] glc dlc
	s_waitcnt vmcnt(0) lgkmcnt(0)
	buffer_gl1_inv
	buffer_gl0_inv
	v_cmp_eq_u32_e32 vcc_lo, 0, v3
	s_and_b32 s42, vcc_lo, exec_lo
	s_or_b32 s41, s41, s42
	s_mov_b32 s43, -1
	s_or_b32 s29, s29, exec_lo
	s_and_saveexec_b32 s42, s41
	s_cbranch_execz .LBB6_2994
.LBB6_2998:                             ;   in Loop: Header=BB6_2995 Depth=2
	s_sleep 1
	s_trap 2
	ds_read_b64 v[10:11], v0
	s_waitcnt lgkmcnt(0)
	buffer_gl0_inv
	s_andn2_b32 s29, s29, exec_lo
	v_cmp_ge_u64_e32 vcc_lo, v[10:11], v[70:71]
	s_orn2_b32 s43, vcc_lo, exec_lo
	s_branch .LBB6_2994
.LBB6_2999:                             ;   in Loop: Header=BB6_2943 Depth=1
	s_inst_prefetch 0x2
	s_or_b32 exec_lo, exec_lo, s27
	s_and_saveexec_b32 s27, s28
	s_xor_b32 s27, exec_lo, s27
	s_cbranch_execz .LBB6_3001
; %bb.3000:                             ;   in Loop: Header=BB6_2943 Depth=1
	v_mov_b32_e32 v3, 1
	ds_write_b32 v0, v3
	s_trap 2
.LBB6_3001:                             ;   in Loop: Header=BB6_2943 Depth=1
	s_or_b32 exec_lo, exec_lo, s26
	;;#ASMSTART
	s_wakeup
	;;#ASMEND
.LBB6_3002:                             ;   in Loop: Header=BB6_2943 Depth=1
	s_or_b32 exec_lo, exec_lo, s25
.LBB6_3003:                             ;   in Loop: Header=BB6_2943 Depth=1
	s_andn2_saveexec_b32 s13, s13
	s_cbranch_execz .LBB6_3005
; %bb.3004:                             ;   in Loop: Header=BB6_2943 Depth=1
	s_waitcnt vmcnt(0) lgkmcnt(0)
	s_waitcnt_vscnt null, 0x0
	buffer_gl1_inv
	buffer_gl0_inv
	s_barrier
.LBB6_3005:                             ;   in Loop: Header=BB6_2943 Depth=1
	s_or_b32 exec_lo, exec_lo, s13
.LBB6_3006:                             ;   in Loop: Header=BB6_2943 Depth=1
	s_or_b32 exec_lo, exec_lo, s12
	s_trap 2
	ds_read_b64 v[85:86], v0
	v_min_u32_e32 v58, v58, v84
	s_waitcnt lgkmcnt(0)
	v_cmp_eq_u64_e32 vcc_lo, 0, v[85:86]
	s_cbranch_vccnz .LBB6_3014
; %bb.3007:                             ;   in Loop: Header=BB6_2943 Depth=1
	s_trap 2
	ds_read_b64 v[96:97], v0
	s_waitcnt lgkmcnt(0)
	v_cmp_eq_u64_e32 vcc_lo, 0, v[96:97]
	s_cbranch_vccnz .LBB6_3014
; %bb.3008:                             ;   in Loop: Header=BB6_2943 Depth=1
	s_mov_b32 s12, -1
	s_and_saveexec_b32 s13, s10
	s_cbranch_execz .LBB6_3010
; %bb.3009:                             ;   in Loop: Header=BB6_2943 Depth=1
	ds_read_b32 v3, v0 offset:720
	s_waitcnt lgkmcnt(0)
	v_and_b32_e32 v3, 15, v3
	v_cmp_eq_u32_e32 vcc_lo, 0, v3
	s_orn2_b32 s12, vcc_lo, exec_lo
.LBB6_3010:                             ;   in Loop: Header=BB6_2943 Depth=1
	s_or_b32 exec_lo, exec_lo, s13
	s_and_saveexec_b32 s13, s11
	s_cbranch_execz .LBB6_3012
; %bb.3011:                             ;   in Loop: Header=BB6_2943 Depth=1
	ds_read_b32 v3, v0 offset:784
	s_waitcnt lgkmcnt(0)
	v_and_b32_e32 v3, 15, v3
	v_cmp_eq_u32_e32 vcc_lo, 0, v3
	s_and_b32 s25, s12, vcc_lo
	s_andn2_b32 s12, s12, exec_lo
	s_and_b32 s25, s25, exec_lo
	s_or_b32 s12, s12, s25
.LBB6_3012:                             ;   in Loop: Header=BB6_2943 Depth=1
	s_or_b32 exec_lo, exec_lo, s13
	v_cmp_eq_u32_e32 vcc_lo, 0, v2
	s_xor_b32 s12, s12, -1
	v_mov_b32_e32 v16, 0
	v_cndmask_b32_e64 v3, 0, 1, s12
	v_mov_b32_e32 v18, v0
	v_cndmask_b32_e32 v59, 0, v58, vcc_lo
	v_mov_b32_e32 v2, v114
	s_mov_b32 s12, -1
	v_cmp_ne_u32_e32 vcc_lo, 0, v3
	v_mov_b32_e32 v17, v59
	s_cbranch_vccz .LBB6_3015
; %bb.3013:                             ;   in Loop: Header=BB6_2943 Depth=1
	s_and_saveexec_b32 s13, s12
	s_cbranch_execnz .LBB6_4948
	s_branch .LBB6_5748
.LBB6_3014:                             ;   in Loop: Header=BB6_2943 Depth=1
	s_mov_b32 s12, 0
	s_and_saveexec_b32 s13, s6
	s_cbranch_execnz .LBB6_5749
	s_branch .LBB6_5767
.LBB6_3015:                             ;   in Loop: Header=BB6_2943 Depth=1
	v_lshrrev_b32_e32 v2, 11, v59
	s_mov_b32 s13, exec_lo
	v_sub_nc_u32_e32 v60, v2, v114
	v_cmpx_lt_i32_e32 0, v60
	s_cbranch_execz .LBB6_4555
; %bb.3016:                             ;   in Loop: Header=BB6_2943 Depth=1
	s_trap 2
	ds_read_b64 v[2:3], v0
	v_add_co_u32 v98, vcc_lo, v85, v43
	v_add_co_ci_u32_e64 v99, null, v86, v46, vcc_lo
	s_mov_b32 s25, 0
	s_waitcnt lgkmcnt(0)
	v_add_co_u32 v100, vcc_lo, v2, v43
	v_add_co_ci_u32_e64 v101, null, v3, v46, vcc_lo
	v_add_co_u32 v102, vcc_lo, v96, v43
	v_add_co_ci_u32_e64 v103, null, v97, v46, vcc_lo
	s_branch .LBB6_3020
.LBB6_3017:                             ;   in Loop: Header=BB6_3020 Depth=2
	s_or_b32 exec_lo, exec_lo, s12
	v_lshrrev_b32_e32 v13, 20, v125
	v_min_i32_e32 v17, 15, v113
	v_cmp_gt_i32_e32 vcc_lo, 16, v113
	v_and_b32_sdwa v3, v3, v119 dst_sel:DWORD dst_unused:UNUSED_PAD src0_sel:BYTE_3 src1_sel:DWORD
	v_lshlrev_b32_e32 v17, 3, v17
	v_cndmask_b32_e32 v13, 7, v13, vcc_lo
	v_and_b32_e32 v17, 0xf8, v17
	v_or_b32_e32 v113, v113, v13
	v_and_b32_e32 v13, 7, v13
	v_cmp_ne_u32_e32 vcc_lo, 0, v113
	v_or3_b32 v3, v3, v17, v13
	v_lshlrev_b32_e32 v3, 8, v3
	v_cndmask_b32_e32 v13, 0, v3, vcc_lo
.LBB6_3018:                             ;   in Loop: Header=BB6_3020 Depth=2
	s_or_b32 exec_lo, exec_lo, s27
.LBB6_3019:                             ;   in Loop: Header=BB6_3020 Depth=2
	s_or_b32 exec_lo, exec_lo, s26
	v_or_b32_sdwa v3, v19, v105 dst_sel:WORD_1 dst_unused:UNUSED_PAD src0_sel:DWORD src1_sel:DWORD
	v_or_b32_sdwa v17, v18, v95 dst_sel:WORD_1 dst_unused:UNUSED_PAD src0_sel:DWORD src1_sel:DWORD
	;; [unrolled: 1-line block ×5, first 2 shown]
	v_or3_b32 v18, v104, v22, v3
	v_or_b32_sdwa v3, v26, v79 dst_sel:WORD_1 dst_unused:UNUSED_PAD src0_sel:DWORD src1_sel:DWORD
	v_or3_b32 v19, v106, v23, v19
	v_or3_b32 v20, v108, v24, v20
	;; [unrolled: 1-line block ×3, first 2 shown]
	v_or_b32_sdwa v24, v29, v93 dst_sel:WORD_1 dst_unused:UNUSED_PAD src0_sel:DWORD src1_sel:DWORD
	v_or3_b32 v21, v78, v51, v3
	v_or_b32_sdwa v3, v28, v91 dst_sel:WORD_1 dst_unused:UNUSED_PAD src0_sel:DWORD src1_sel:DWORD
	v_or_b32_sdwa v26, v37, v73 dst_sel:WORD_1 dst_unused:UNUSED_PAD src0_sel:DWORD src1_sel:DWORD
	;; [unrolled: 1-line block ×5, first 2 shown]
	v_or3_b32 v23, v90, v33, v3
	v_or_b32_sdwa v3, v39, v77 dst_sel:WORD_1 dst_unused:UNUSED_PAD src0_sel:DWORD src1_sel:DWORD
	v_or_b32_sdwa v10, v10, v111 dst_sel:WORD_1 dst_unused:UNUSED_PAD src0_sel:DWORD src1_sel:DWORD
	;; [unrolled: 1-line block ×4, first 2 shown]
	v_or3_b32 v27, v72, v48, v26
	v_or3_b32 v26, v62, v61, v28
	;; [unrolled: 1-line block ×4, first 2 shown]
	v_sub_nc_u32_e32 v60, v60, v87
	v_or3_b32 v24, v92, v34, v24
	v_add_co_u32 v98, vcc_lo, v98, v42
	v_or3_b32 v17, v94, v35, v17
	v_or3_b32 v11, v120, v14, v11
	;; [unrolled: 1-line block ×5, first 2 shown]
	v_add_co_ci_u32_e64 v99, null, 0, v99, vcc_lo
	v_add_co_u32 v100, vcc_lo, v100, v42
	global_store_dwordx4 v[102:103], v[26:29], off glc slc
	global_store_dwordx4 v[102:103], v[21:24], off offset:512 glc slc
	global_store_dwordx4 v[102:103], v[17:20], off offset:1024 glc slc
	;; [unrolled: 1-line block ×3, first 2 shown]
	v_add_co_ci_u32_e64 v101, null, 0, v101, vcc_lo
	v_cmp_gt_i32_e32 vcc_lo, 1, v60
	v_add_co_u32 v102, s12, v102, v42
	v_add_co_ci_u32_e64 v103, null, 0, v103, s12
	s_or_b32 s25, vcc_lo, s25
	s_andn2_b32 exec_lo, exec_lo, s25
	s_cbranch_execz .LBB6_4554
.LBB6_3020:                             ;   Parent Loop BB6_2943 Depth=1
                                        ; =>  This Inner Loop Header: Depth=2
	s_clause 0x3
	global_load_dwordx4 v[48:51], v[98:99], off slc
	global_load_dwordx4 v[32:35], v[98:99], off offset:512 slc
	global_load_dwordx4 v[22:25], v[98:99], off offset:1024 slc
	global_load_dwordx4 v[14:17], v[98:99], off offset:1536 slc
	s_clause 0x3
	global_load_dwordx4 v[36:39], v[100:101], off slc
	global_load_dwordx4 v[26:29], v[100:101], off offset:512 slc
	global_load_dwordx4 v[18:21], v[100:101], off offset:1024 slc
	;; [unrolled: 1-line block ×3, first 2 shown]
	s_mov_b32 s12, 0
	s_waitcnt vmcnt(7)
	v_cmp_gt_i16_sdwa s26, v48, v115 src0_sel:BYTE_0 src1_sel:DWORD
	s_and_saveexec_b32 s27, s26
	s_xor_b32 s26, exec_lo, s27
	s_cbranch_execz .LBB6_4298
; %bb.3021:                             ;   in Loop: Header=BB6_3020 Depth=2
	v_cmp_eq_u16_sdwa s28, v48, v119 src0_sel:BYTE_0 src1_sel:DWORD
	s_mov_b32 s12, -1
	s_and_saveexec_b32 s27, s28
; %bb.3022:                             ;   in Loop: Header=BB6_3020 Depth=2
	s_xor_b32 s12, exec_lo, -1
; %bb.3023:                             ;   in Loop: Header=BB6_3020 Depth=2
	s_or_b32 exec_lo, exec_lo, s27
	s_and_b32 s12, s12, exec_lo
	s_or_saveexec_b32 s26, s26
	v_mov_b32_e32 v2, 0x7f800001
	s_xor_b32 exec_lo, exec_lo, s26
	s_cbranch_execnz .LBB6_4299
.LBB6_3024:                             ;   in Loop: Header=BB6_3020 Depth=2
	s_or_b32 exec_lo, exec_lo, s26
	s_and_saveexec_b32 s26, s12
	s_cbranch_execz .LBB6_3026
.LBB6_3025:                             ;   in Loop: Header=BB6_3020 Depth=2
	v_and_b32_e32 v2, 7, v48
	v_bfe_u32 v116, v48, 3, 4
	v_lshlrev_b32_e32 v61, 24, v48
	v_ffbh_u32_e32 v3, v2
	v_cmp_eq_u32_e32 vcc_lo, 0, v116
	v_min_u32_e32 v3, 32, v3
	v_subrev_nc_u32_e32 v113, 28, v3
	v_sub_nc_u32_e32 v3, 29, v3
	v_lshlrev_b32_e32 v113, v113, v48
	v_cndmask_b32_e32 v3, v116, v3, vcc_lo
	v_and_b32_e32 v113, 7, v113
	v_lshl_add_u32 v3, v3, 23, 0x3b800000
	v_cndmask_b32_e32 v2, v2, v113, vcc_lo
	v_and_b32_e32 v113, 0x80000000, v61
	v_lshlrev_b32_e32 v2, 20, v2
	v_or3_b32 v2, v113, v3, v2
.LBB6_3026:                             ;   in Loop: Header=BB6_3020 Depth=2
	s_or_b32 exec_lo, exec_lo, s26
	s_waitcnt vmcnt(3)
	v_cmp_gt_i16_sdwa s26, v36, v115 src0_sel:BYTE_0 src1_sel:DWORD
	s_mov_b32 s12, 0
	s_and_saveexec_b32 s27, s26
	s_xor_b32 s26, exec_lo, s27
	s_cbranch_execz .LBB6_4300
; %bb.3027:                             ;   in Loop: Header=BB6_3020 Depth=2
	v_cmp_eq_u16_sdwa s28, v36, v119 src0_sel:BYTE_0 src1_sel:DWORD
	s_mov_b32 s12, -1
	s_and_saveexec_b32 s27, s28
; %bb.3028:                             ;   in Loop: Header=BB6_3020 Depth=2
	s_xor_b32 s12, exec_lo, -1
; %bb.3029:                             ;   in Loop: Header=BB6_3020 Depth=2
	s_or_b32 exec_lo, exec_lo, s27
	s_and_b32 s12, s12, exec_lo
	s_or_saveexec_b32 s26, s26
	v_mov_b32_e32 v3, 0x7f800001
	s_xor_b32 exec_lo, exec_lo, s26
	s_cbranch_execnz .LBB6_4301
.LBB6_3030:                             ;   in Loop: Header=BB6_3020 Depth=2
	s_or_b32 exec_lo, exec_lo, s26
	s_and_saveexec_b32 s26, s12
	s_cbranch_execz .LBB6_3032
.LBB6_3031:                             ;   in Loop: Header=BB6_3020 Depth=2
	v_and_b32_e32 v3, 7, v36
	v_bfe_u32 v61, v36, 3, 4
	v_lshlrev_b32_e32 v62, 24, v36
	v_ffbh_u32_e32 v113, v3
	v_cmp_eq_u32_e32 vcc_lo, 0, v61
	v_min_u32_e32 v113, 32, v113
	v_subrev_nc_u32_e32 v116, 28, v113
	v_sub_nc_u32_e32 v113, 29, v113
	v_lshlrev_b32_e32 v116, v116, v36
	v_cndmask_b32_e32 v113, v61, v113, vcc_lo
	v_and_b32_e32 v116, 7, v116
	v_lshl_add_u32 v113, v113, 23, 0x3b800000
	v_cndmask_b32_e32 v3, v3, v116, vcc_lo
	v_and_b32_e32 v116, 0x80000000, v62
	v_lshlrev_b32_e32 v3, 20, v3
	v_or3_b32 v3, v116, v113, v3
.LBB6_3032:                             ;   in Loop: Header=BB6_3020 Depth=2
	s_or_b32 exec_lo, exec_lo, s26
	v_add_f32_e32 v2, v2, v3
	v_mov_b32_e32 v61, 0x80
	s_mov_b32 s26, exec_lo
	v_and_b32_e32 v3, 0x7f800000, v2
	v_cmpx_ne_u32_e32 0x7f800000, v3
	s_cbranch_execz .LBB6_3040
; %bb.3033:                             ;   in Loop: Header=BB6_3020 Depth=2
	v_mov_b32_e32 v61, 0
	s_mov_b32 s27, exec_lo
	v_cmpx_ne_u32_e32 0, v2
	s_cbranch_execz .LBB6_3039
; %bb.3034:                             ;   in Loop: Header=BB6_3020 Depth=2
	v_bfe_u32 v3, v2, 23, 8
	v_and_b32_e32 v113, 0x7fffff, v2
	v_sub_nc_u32_e32 v116, 0x78, v3
	v_cmp_gt_u32_e32 vcc_lo, 0x79, v3
	v_or_b32_e32 v61, 0x800000, v113
	v_cndmask_b32_e32 v116, 0, v116, vcc_lo
	v_cmp_eq_u32_e32 vcc_lo, 0, v3
	v_add_nc_u32_e32 v3, 0xffffff89, v3
	v_cndmask_b32_e64 v116, v116, 0x77, vcc_lo
	v_cndmask_b32_e32 v113, v61, v113, vcc_lo
	v_cndmask_b32_e64 v3, v3, 0xffffff8a, vcc_lo
	v_lshl_add_u32 v62, 0x100000, v116, -1
	v_lshrrev_b32_e32 v61, v116, v113
	v_lshlrev_b32_e64 v72, v116, 0x80000
	v_and_b32_e32 v113, v62, v113
	v_bfe_u32 v63, v61, 20, 1
	v_cmp_eq_u32_e64 s12, v113, v72
	v_add_nc_u32_e32 v62, -1, v63
	v_lshrrev_b32_e32 v63, 23, v61
	v_cndmask_b32_e64 v113, 0, v62, s12
	s_mov_b32 s12, exec_lo
	v_add_nc_u32_e32 v62, v113, v61
	v_add_nc_u32_e32 v113, v116, v3
	v_xor_b32_e32 v116, 1, v63
	v_and_b32_e32 v3, 0xfffff, v62
	v_add_nc_u32_e32 v61, v3, v61
                                        ; implicit-def: $vgpr3
	v_cmpx_ne_u32_e64 v113, v116
	s_xor_b32 s12, exec_lo, s12
; %bb.3035:                             ;   in Loop: Header=BB6_3020 Depth=2
	v_cmp_lt_u32_e32 vcc_lo, 0xffffff, v61
	v_sub_nc_u32_e32 v3, v113, v116
	v_cndmask_b32_e64 v113, 0, 1, vcc_lo
	v_add_co_ci_u32_e64 v3, null, 0, v3, vcc_lo
	v_lshrrev_b32_e32 v61, v113, v61
; %bb.3036:                             ;   in Loop: Header=BB6_3020 Depth=2
	s_andn2_saveexec_b32 s12, s12
; %bb.3037:                             ;   in Loop: Header=BB6_3020 Depth=2
	v_bfe_u32 v3, v61, 23, 1
; %bb.3038:                             ;   in Loop: Header=BB6_3020 Depth=2
	s_or_b32 exec_lo, exec_lo, s12
	v_lshrrev_b32_e32 v113, 20, v61
	v_min_i32_e32 v116, 15, v3
	v_cmp_gt_i32_e32 vcc_lo, 16, v3
	v_and_b32_sdwa v2, v2, v119 dst_sel:DWORD dst_unused:UNUSED_PAD src0_sel:BYTE_3 src1_sel:DWORD
	v_lshlrev_b32_e32 v116, 3, v116
	v_cndmask_b32_e32 v113, 7, v113, vcc_lo
	v_and_b32_e32 v116, 0xf8, v116
	v_and_b32_e32 v61, 7, v113
	v_or_b32_e32 v3, v3, v113
	v_or3_b32 v2, v116, v2, v61
	v_cmp_ne_u32_e32 vcc_lo, 0, v3
	v_cndmask_b32_e32 v61, 0, v2, vcc_lo
.LBB6_3039:                             ;   in Loop: Header=BB6_3020 Depth=2
	s_or_b32 exec_lo, exec_lo, s27
.LBB6_3040:                             ;   in Loop: Header=BB6_3020 Depth=2
	s_or_b32 exec_lo, exec_lo, s26
	v_cmp_gt_i16_sdwa s26, v48, v115 src0_sel:BYTE_1 src1_sel:DWORD
	s_mov_b32 s12, 0
	s_and_saveexec_b32 s27, s26
	s_xor_b32 s26, exec_lo, s27
	s_cbranch_execz .LBB6_4302
; %bb.3041:                             ;   in Loop: Header=BB6_3020 Depth=2
	v_cmp_eq_u16_sdwa s28, v48, v119 src0_sel:BYTE_1 src1_sel:DWORD
	s_mov_b32 s12, -1
	s_and_saveexec_b32 s27, s28
; %bb.3042:                             ;   in Loop: Header=BB6_3020 Depth=2
	s_xor_b32 s12, exec_lo, -1
; %bb.3043:                             ;   in Loop: Header=BB6_3020 Depth=2
	s_or_b32 exec_lo, exec_lo, s27
	s_and_b32 s12, s12, exec_lo
	s_or_saveexec_b32 s26, s26
	v_mov_b32_e32 v2, 0x7f800001
	s_xor_b32 exec_lo, exec_lo, s26
	s_cbranch_execnz .LBB6_4303
.LBB6_3044:                             ;   in Loop: Header=BB6_3020 Depth=2
	s_or_b32 exec_lo, exec_lo, s26
	s_and_saveexec_b32 s26, s12
	s_cbranch_execz .LBB6_3046
.LBB6_3045:                             ;   in Loop: Header=BB6_3020 Depth=2
	v_and_b32_sdwa v2, v41, v48 dst_sel:DWORD dst_unused:UNUSED_PAD src0_sel:DWORD src1_sel:BYTE_1
	v_and_b32_e32 v3, 7, v2
	v_bfe_u32 v62, v2, 3, 4
	v_ffbh_u32_e32 v113, v3
	v_cmp_eq_u32_e32 vcc_lo, 0, v62
	v_min_u32_e32 v113, 32, v113
	v_subrev_nc_u32_e32 v116, 28, v113
	v_sub_nc_u32_e32 v113, 29, v113
	v_lshlrev_b32_e32 v2, v116, v2
	v_lshlrev_b32_sdwa v116, v47, v48 dst_sel:DWORD dst_unused:UNUSED_PAD src0_sel:DWORD src1_sel:BYTE_1
	v_cndmask_b32_e32 v113, v62, v113, vcc_lo
	v_and_b32_e32 v2, 7, v2
	v_lshl_add_u32 v113, v113, 23, 0x3b800000
	v_cndmask_b32_e32 v2, v3, v2, vcc_lo
	v_and_b32_e32 v3, 0x80000000, v116
	v_lshlrev_b32_e32 v2, 20, v2
	v_or3_b32 v2, v3, v113, v2
.LBB6_3046:                             ;   in Loop: Header=BB6_3020 Depth=2
	s_or_b32 exec_lo, exec_lo, s26
	v_cmp_gt_i16_sdwa s26, v36, v115 src0_sel:BYTE_1 src1_sel:DWORD
	s_mov_b32 s12, 0
	s_and_saveexec_b32 s27, s26
	s_xor_b32 s26, exec_lo, s27
	s_cbranch_execz .LBB6_4304
; %bb.3047:                             ;   in Loop: Header=BB6_3020 Depth=2
	v_cmp_eq_u16_sdwa s28, v36, v119 src0_sel:BYTE_1 src1_sel:DWORD
	s_mov_b32 s12, -1
	s_and_saveexec_b32 s27, s28
; %bb.3048:                             ;   in Loop: Header=BB6_3020 Depth=2
	s_xor_b32 s12, exec_lo, -1
; %bb.3049:                             ;   in Loop: Header=BB6_3020 Depth=2
	s_or_b32 exec_lo, exec_lo, s27
	s_and_b32 s12, s12, exec_lo
	s_or_saveexec_b32 s26, s26
	v_mov_b32_e32 v3, 0x7f800001
	s_xor_b32 exec_lo, exec_lo, s26
	s_cbranch_execnz .LBB6_4305
.LBB6_3050:                             ;   in Loop: Header=BB6_3020 Depth=2
	s_or_b32 exec_lo, exec_lo, s26
	s_and_saveexec_b32 s26, s12
	s_cbranch_execz .LBB6_3052
.LBB6_3051:                             ;   in Loop: Header=BB6_3020 Depth=2
	v_and_b32_sdwa v3, v41, v36 dst_sel:DWORD dst_unused:UNUSED_PAD src0_sel:DWORD src1_sel:BYTE_1
	v_and_b32_e32 v113, 7, v3
	v_bfe_u32 v63, v3, 3, 4
	v_ffbh_u32_e32 v116, v113
	v_cmp_eq_u32_e32 vcc_lo, 0, v63
	v_min_u32_e32 v116, 32, v116
	v_subrev_nc_u32_e32 v62, 28, v116
	v_sub_nc_u32_e32 v116, 29, v116
	v_lshlrev_b32_e32 v3, v62, v3
	v_lshlrev_b32_sdwa v62, v47, v36 dst_sel:DWORD dst_unused:UNUSED_PAD src0_sel:DWORD src1_sel:BYTE_1
	v_cndmask_b32_e32 v116, v63, v116, vcc_lo
	v_and_b32_e32 v3, 7, v3
	v_lshl_add_u32 v116, v116, 23, 0x3b800000
	v_cndmask_b32_e32 v3, v113, v3, vcc_lo
	v_and_b32_e32 v113, 0x80000000, v62
	v_lshlrev_b32_e32 v3, 20, v3
	v_or3_b32 v3, v113, v116, v3
.LBB6_3052:                             ;   in Loop: Header=BB6_3020 Depth=2
	s_or_b32 exec_lo, exec_lo, s26
	v_add_f32_e32 v2, v2, v3
	v_mov_b32_e32 v62, 0x8000
	s_mov_b32 s26, exec_lo
	v_and_b32_e32 v3, 0x7f800000, v2
	v_cmpx_ne_u32_e32 0x7f800000, v3
	s_cbranch_execz .LBB6_3060
; %bb.3053:                             ;   in Loop: Header=BB6_3020 Depth=2
	v_mov_b32_e32 v62, 0
	s_mov_b32 s27, exec_lo
	v_cmpx_ne_u32_e32 0, v2
	s_cbranch_execz .LBB6_3059
; %bb.3054:                             ;   in Loop: Header=BB6_3020 Depth=2
	v_bfe_u32 v3, v2, 23, 8
	v_and_b32_e32 v113, 0x7fffff, v2
	v_sub_nc_u32_e32 v116, 0x78, v3
	v_cmp_gt_u32_e32 vcc_lo, 0x79, v3
	v_or_b32_e32 v62, 0x800000, v113
	v_cndmask_b32_e32 v116, 0, v116, vcc_lo
	v_cmp_eq_u32_e32 vcc_lo, 0, v3
	v_add_nc_u32_e32 v3, 0xffffff89, v3
	v_cndmask_b32_e64 v116, v116, 0x77, vcc_lo
	v_cndmask_b32_e32 v113, v62, v113, vcc_lo
	v_cndmask_b32_e64 v3, v3, 0xffffff8a, vcc_lo
	v_lshl_add_u32 v63, 0x100000, v116, -1
	v_lshrrev_b32_e32 v62, v116, v113
	v_lshlrev_b32_e64 v73, v116, 0x80000
	v_and_b32_e32 v113, v63, v113
	v_bfe_u32 v72, v62, 20, 1
	v_cmp_eq_u32_e64 s12, v113, v73
	v_add_nc_u32_e32 v63, -1, v72
	v_lshrrev_b32_e32 v72, 23, v62
	v_cndmask_b32_e64 v113, 0, v63, s12
	s_mov_b32 s12, exec_lo
	v_add_nc_u32_e32 v63, v113, v62
	v_add_nc_u32_e32 v113, v116, v3
	v_xor_b32_e32 v116, 1, v72
	v_and_b32_e32 v3, 0xfffff, v63
	v_add_nc_u32_e32 v62, v3, v62
                                        ; implicit-def: $vgpr3
	v_cmpx_ne_u32_e64 v113, v116
	s_xor_b32 s12, exec_lo, s12
; %bb.3055:                             ;   in Loop: Header=BB6_3020 Depth=2
	v_cmp_lt_u32_e32 vcc_lo, 0xffffff, v62
	v_sub_nc_u32_e32 v3, v113, v116
	v_cndmask_b32_e64 v113, 0, 1, vcc_lo
	v_add_co_ci_u32_e64 v3, null, 0, v3, vcc_lo
	v_lshrrev_b32_e32 v62, v113, v62
; %bb.3056:                             ;   in Loop: Header=BB6_3020 Depth=2
	s_andn2_saveexec_b32 s12, s12
; %bb.3057:                             ;   in Loop: Header=BB6_3020 Depth=2
	v_bfe_u32 v3, v62, 23, 1
; %bb.3058:                             ;   in Loop: Header=BB6_3020 Depth=2
	s_or_b32 exec_lo, exec_lo, s12
	v_lshrrev_b32_e32 v113, 20, v62
	v_min_i32_e32 v116, 15, v3
	v_cmp_gt_i32_e32 vcc_lo, 16, v3
	v_and_b32_sdwa v2, v2, v119 dst_sel:DWORD dst_unused:UNUSED_PAD src0_sel:BYTE_3 src1_sel:DWORD
	v_lshlrev_b32_e32 v116, 3, v116
	v_cndmask_b32_e32 v113, 7, v113, vcc_lo
	v_and_b32_e32 v116, 0xf8, v116
	v_and_b32_e32 v62, 7, v113
	v_or_b32_e32 v3, v3, v113
	v_or3_b32 v2, v2, v116, v62
	v_cmp_ne_u32_e32 vcc_lo, 0, v3
	v_lshlrev_b32_e32 v2, 8, v2
	v_cndmask_b32_e32 v62, 0, v2, vcc_lo
.LBB6_3059:                             ;   in Loop: Header=BB6_3020 Depth=2
	s_or_b32 exec_lo, exec_lo, s27
.LBB6_3060:                             ;   in Loop: Header=BB6_3020 Depth=2
	s_or_b32 exec_lo, exec_lo, s26
	v_and_b32_sdwa v3, v48, v56 dst_sel:DWORD dst_unused:UNUSED_PAD src0_sel:WORD_1 src1_sel:DWORD
	s_mov_b32 s12, 0
	s_mov_b32 s26, exec_lo
	v_cmpx_lt_i16_e32 0x7f, v3
	s_xor_b32 s26, exec_lo, s26
	s_cbranch_execz .LBB6_4306
; %bb.3061:                             ;   in Loop: Header=BB6_3020 Depth=2
	s_mov_b32 s12, -1
	s_mov_b32 s27, exec_lo
	v_cmpx_eq_u16_e32 0x80, v3
; %bb.3062:                             ;   in Loop: Header=BB6_3020 Depth=2
	s_xor_b32 s12, exec_lo, -1
; %bb.3063:                             ;   in Loop: Header=BB6_3020 Depth=2
	s_or_b32 exec_lo, exec_lo, s27
	s_and_b32 s12, s12, exec_lo
                                        ; implicit-def: $vgpr3
	s_or_saveexec_b32 s26, s26
	v_mov_b32_e32 v2, 0x7f800001
	s_xor_b32 exec_lo, exec_lo, s26
	s_cbranch_execnz .LBB6_4307
.LBB6_3064:                             ;   in Loop: Header=BB6_3020 Depth=2
	s_or_b32 exec_lo, exec_lo, s26
	s_and_saveexec_b32 s26, s12
	s_cbranch_execz .LBB6_3066
.LBB6_3065:                             ;   in Loop: Header=BB6_3020 Depth=2
	v_bfe_u32 v2, v48, 16, 3
	v_bfe_u32 v116, v48, 19, 4
	v_lshlrev_b32_e32 v63, 8, v48
	v_ffbh_u32_e32 v3, v2
	v_cmp_eq_u32_e32 vcc_lo, 0, v116
	v_min_u32_e32 v3, 32, v3
	v_subrev_nc_u32_e32 v113, 28, v3
	v_sub_nc_u32_e32 v3, 29, v3
	v_lshlrev_b32_sdwa v113, v113, v48 dst_sel:DWORD dst_unused:UNUSED_PAD src0_sel:DWORD src1_sel:WORD_1
	v_cndmask_b32_e32 v3, v116, v3, vcc_lo
	v_and_b32_e32 v113, 7, v113
	v_lshl_add_u32 v3, v3, 23, 0x3b800000
	v_cndmask_b32_e32 v2, v2, v113, vcc_lo
	v_and_b32_e32 v113, 0x80000000, v63
	v_lshlrev_b32_e32 v2, 20, v2
	v_or3_b32 v2, v113, v3, v2
.LBB6_3066:                             ;   in Loop: Header=BB6_3020 Depth=2
	s_or_b32 exec_lo, exec_lo, s26
	v_and_b32_sdwa v113, v36, v56 dst_sel:DWORD dst_unused:UNUSED_PAD src0_sel:WORD_1 src1_sel:DWORD
	s_mov_b32 s12, 0
	s_mov_b32 s26, exec_lo
	v_cmpx_lt_i16_e32 0x7f, v113
	s_xor_b32 s26, exec_lo, s26
	s_cbranch_execz .LBB6_4308
; %bb.3067:                             ;   in Loop: Header=BB6_3020 Depth=2
	s_mov_b32 s12, -1
	s_mov_b32 s27, exec_lo
	v_cmpx_eq_u16_e32 0x80, v113
; %bb.3068:                             ;   in Loop: Header=BB6_3020 Depth=2
	s_xor_b32 s12, exec_lo, -1
; %bb.3069:                             ;   in Loop: Header=BB6_3020 Depth=2
	s_or_b32 exec_lo, exec_lo, s27
	s_and_b32 s12, s12, exec_lo
                                        ; implicit-def: $vgpr113
	s_or_saveexec_b32 s26, s26
	v_mov_b32_e32 v3, 0x7f800001
	s_xor_b32 exec_lo, exec_lo, s26
	s_cbranch_execnz .LBB6_4309
.LBB6_3070:                             ;   in Loop: Header=BB6_3020 Depth=2
	s_or_b32 exec_lo, exec_lo, s26
	s_and_saveexec_b32 s26, s12
	s_cbranch_execz .LBB6_3072
.LBB6_3071:                             ;   in Loop: Header=BB6_3020 Depth=2
	v_bfe_u32 v3, v36, 16, 3
	v_bfe_u32 v63, v36, 19, 4
	v_lshlrev_b32_e32 v72, 8, v36
	v_ffbh_u32_e32 v113, v3
	v_cmp_eq_u32_e32 vcc_lo, 0, v63
	v_min_u32_e32 v113, 32, v113
	v_subrev_nc_u32_e32 v116, 28, v113
	v_sub_nc_u32_e32 v113, 29, v113
	v_lshlrev_b32_sdwa v116, v116, v36 dst_sel:DWORD dst_unused:UNUSED_PAD src0_sel:DWORD src1_sel:WORD_1
	v_cndmask_b32_e32 v113, v63, v113, vcc_lo
	v_and_b32_e32 v116, 7, v116
	v_lshl_add_u32 v113, v113, 23, 0x3b800000
	v_cndmask_b32_e32 v3, v3, v116, vcc_lo
	v_and_b32_e32 v116, 0x80000000, v72
	v_lshlrev_b32_e32 v3, 20, v3
	v_or3_b32 v3, v116, v113, v3
.LBB6_3072:                             ;   in Loop: Header=BB6_3020 Depth=2
	s_or_b32 exec_lo, exec_lo, s26
	v_add_f32_e32 v2, v2, v3
	v_mov_b32_e32 v63, 0x80
	s_mov_b32 s26, exec_lo
	v_and_b32_e32 v3, 0x7f800000, v2
	v_cmpx_ne_u32_e32 0x7f800000, v3
	s_cbranch_execz .LBB6_3080
; %bb.3073:                             ;   in Loop: Header=BB6_3020 Depth=2
	v_mov_b32_e32 v63, 0
	s_mov_b32 s27, exec_lo
	v_cmpx_ne_u32_e32 0, v2
	s_cbranch_execz .LBB6_3079
; %bb.3074:                             ;   in Loop: Header=BB6_3020 Depth=2
	v_bfe_u32 v3, v2, 23, 8
	v_and_b32_e32 v113, 0x7fffff, v2
	v_sub_nc_u32_e32 v116, 0x78, v3
	v_cmp_gt_u32_e32 vcc_lo, 0x79, v3
	v_or_b32_e32 v63, 0x800000, v113
	v_cndmask_b32_e32 v116, 0, v116, vcc_lo
	v_cmp_eq_u32_e32 vcc_lo, 0, v3
	v_add_nc_u32_e32 v3, 0xffffff89, v3
	v_cndmask_b32_e64 v116, v116, 0x77, vcc_lo
	v_cndmask_b32_e32 v113, v63, v113, vcc_lo
	v_cndmask_b32_e64 v3, v3, 0xffffff8a, vcc_lo
	v_lshl_add_u32 v72, 0x100000, v116, -1
	v_lshrrev_b32_e32 v63, v116, v113
	v_lshlrev_b32_e64 v74, v116, 0x80000
	v_and_b32_e32 v113, v72, v113
	v_bfe_u32 v73, v63, 20, 1
	v_cmp_eq_u32_e64 s12, v113, v74
	v_add_nc_u32_e32 v72, -1, v73
	v_lshrrev_b32_e32 v73, 23, v63
	v_cndmask_b32_e64 v113, 0, v72, s12
	s_mov_b32 s12, exec_lo
	v_add_nc_u32_e32 v72, v113, v63
	v_add_nc_u32_e32 v113, v116, v3
	v_xor_b32_e32 v116, 1, v73
	v_and_b32_e32 v3, 0xfffff, v72
	v_add_nc_u32_e32 v63, v3, v63
                                        ; implicit-def: $vgpr3
	v_cmpx_ne_u32_e64 v113, v116
	s_xor_b32 s12, exec_lo, s12
; %bb.3075:                             ;   in Loop: Header=BB6_3020 Depth=2
	v_cmp_lt_u32_e32 vcc_lo, 0xffffff, v63
	v_sub_nc_u32_e32 v3, v113, v116
	v_cndmask_b32_e64 v113, 0, 1, vcc_lo
	v_add_co_ci_u32_e64 v3, null, 0, v3, vcc_lo
	v_lshrrev_b32_e32 v63, v113, v63
; %bb.3076:                             ;   in Loop: Header=BB6_3020 Depth=2
	s_andn2_saveexec_b32 s12, s12
; %bb.3077:                             ;   in Loop: Header=BB6_3020 Depth=2
	v_bfe_u32 v3, v63, 23, 1
; %bb.3078:                             ;   in Loop: Header=BB6_3020 Depth=2
	s_or_b32 exec_lo, exec_lo, s12
	v_lshrrev_b32_e32 v113, 20, v63
	v_min_i32_e32 v116, 15, v3
	v_cmp_gt_i32_e32 vcc_lo, 16, v3
	v_and_b32_sdwa v2, v2, v119 dst_sel:DWORD dst_unused:UNUSED_PAD src0_sel:BYTE_3 src1_sel:DWORD
	v_lshlrev_b32_e32 v116, 3, v116
	v_cndmask_b32_e32 v113, 7, v113, vcc_lo
	v_and_b32_e32 v116, 0xf8, v116
	v_and_b32_e32 v63, 7, v113
	v_or_b32_e32 v3, v3, v113
	v_or3_b32 v2, v116, v2, v63
	v_cmp_ne_u32_e32 vcc_lo, 0, v3
	v_cndmask_b32_e32 v63, 0, v2, vcc_lo
.LBB6_3079:                             ;   in Loop: Header=BB6_3020 Depth=2
	s_or_b32 exec_lo, exec_lo, s27
.LBB6_3080:                             ;   in Loop: Header=BB6_3020 Depth=2
	s_or_b32 exec_lo, exec_lo, s26
	v_cmp_gt_i16_sdwa s26, v48, v115 src0_sel:BYTE_3 src1_sel:DWORD
	s_mov_b32 s12, 0
	s_and_saveexec_b32 s27, s26
	s_xor_b32 s26, exec_lo, s27
	s_cbranch_execz .LBB6_4310
; %bb.3081:                             ;   in Loop: Header=BB6_3020 Depth=2
	v_cmp_eq_u16_sdwa s28, v48, v119 src0_sel:BYTE_3 src1_sel:DWORD
	s_mov_b32 s12, -1
	s_and_saveexec_b32 s27, s28
; %bb.3082:                             ;   in Loop: Header=BB6_3020 Depth=2
	s_xor_b32 s12, exec_lo, -1
; %bb.3083:                             ;   in Loop: Header=BB6_3020 Depth=2
	s_or_b32 exec_lo, exec_lo, s27
	s_and_b32 s12, s12, exec_lo
	s_or_saveexec_b32 s26, s26
	v_mov_b32_e32 v2, 0x7f800001
	s_xor_b32 exec_lo, exec_lo, s26
	s_cbranch_execnz .LBB6_4311
.LBB6_3084:                             ;   in Loop: Header=BB6_3020 Depth=2
	s_or_b32 exec_lo, exec_lo, s26
	s_and_saveexec_b32 s26, s12
	s_cbranch_execz .LBB6_3086
.LBB6_3085:                             ;   in Loop: Header=BB6_3020 Depth=2
	v_bfe_u32 v2, v48, 24, 3
	v_bfe_u32 v116, v48, 27, 4
	v_ffbh_u32_e32 v3, v2
	v_cmp_eq_u32_e32 vcc_lo, 0, v116
	v_min_u32_e32 v3, 32, v3
	v_subrev_nc_u32_e32 v113, 28, v3
	v_sub_nc_u32_e32 v3, 29, v3
	v_lshlrev_b32_sdwa v113, v113, v48 dst_sel:DWORD dst_unused:UNUSED_PAD src0_sel:DWORD src1_sel:BYTE_3
	v_cndmask_b32_e32 v3, v116, v3, vcc_lo
	v_and_b32_e32 v48, 0x80000000, v48
	v_and_b32_e32 v113, 7, v113
	v_lshl_add_u32 v3, v3, 23, 0x3b800000
	v_cndmask_b32_e32 v2, v2, v113, vcc_lo
	v_lshlrev_b32_e32 v2, 20, v2
	v_or3_b32 v2, v48, v3, v2
.LBB6_3086:                             ;   in Loop: Header=BB6_3020 Depth=2
	s_or_b32 exec_lo, exec_lo, s26
	v_cmp_gt_i16_sdwa s26, v36, v115 src0_sel:BYTE_3 src1_sel:DWORD
	s_mov_b32 s12, 0
	s_and_saveexec_b32 s27, s26
	s_xor_b32 s26, exec_lo, s27
	s_cbranch_execz .LBB6_4312
; %bb.3087:                             ;   in Loop: Header=BB6_3020 Depth=2
	v_cmp_eq_u16_sdwa s28, v36, v119 src0_sel:BYTE_3 src1_sel:DWORD
	s_mov_b32 s12, -1
	s_and_saveexec_b32 s27, s28
; %bb.3088:                             ;   in Loop: Header=BB6_3020 Depth=2
	s_xor_b32 s12, exec_lo, -1
; %bb.3089:                             ;   in Loop: Header=BB6_3020 Depth=2
	s_or_b32 exec_lo, exec_lo, s27
	s_and_b32 s12, s12, exec_lo
	s_or_saveexec_b32 s26, s26
	v_mov_b32_e32 v3, 0x7f800001
	s_xor_b32 exec_lo, exec_lo, s26
	s_cbranch_execnz .LBB6_4313
.LBB6_3090:                             ;   in Loop: Header=BB6_3020 Depth=2
	s_or_b32 exec_lo, exec_lo, s26
	s_and_saveexec_b32 s26, s12
	s_cbranch_execz .LBB6_3092
.LBB6_3091:                             ;   in Loop: Header=BB6_3020 Depth=2
	v_bfe_u32 v3, v36, 24, 3
	v_bfe_u32 v116, v36, 27, 4
	v_ffbh_u32_e32 v48, v3
	v_cmp_eq_u32_e32 vcc_lo, 0, v116
	v_min_u32_e32 v48, 32, v48
	v_subrev_nc_u32_e32 v113, 28, v48
	v_sub_nc_u32_e32 v48, 29, v48
	v_lshlrev_b32_sdwa v113, v113, v36 dst_sel:DWORD dst_unused:UNUSED_PAD src0_sel:DWORD src1_sel:BYTE_3
	v_cndmask_b32_e32 v48, v116, v48, vcc_lo
	v_and_b32_e32 v36, 0x80000000, v36
	v_and_b32_e32 v113, 7, v113
	v_lshl_add_u32 v48, v48, 23, 0x3b800000
	v_cndmask_b32_e32 v3, v3, v113, vcc_lo
	v_lshlrev_b32_e32 v3, 20, v3
	v_or3_b32 v3, v36, v48, v3
.LBB6_3092:                             ;   in Loop: Header=BB6_3020 Depth=2
	s_or_b32 exec_lo, exec_lo, s26
	v_add_f32_e32 v2, v2, v3
	v_mov_b32_e32 v36, 0x8000
	s_mov_b32 s26, exec_lo
	v_and_b32_e32 v3, 0x7f800000, v2
	v_cmpx_ne_u32_e32 0x7f800000, v3
	s_cbranch_execz .LBB6_3100
; %bb.3093:                             ;   in Loop: Header=BB6_3020 Depth=2
	v_mov_b32_e32 v36, 0
	s_mov_b32 s27, exec_lo
	v_cmpx_ne_u32_e32 0, v2
	s_cbranch_execz .LBB6_3099
; %bb.3094:                             ;   in Loop: Header=BB6_3020 Depth=2
	v_bfe_u32 v3, v2, 23, 8
	v_and_b32_e32 v36, 0x7fffff, v2
	v_sub_nc_u32_e32 v48, 0x78, v3
	v_cmp_gt_u32_e32 vcc_lo, 0x79, v3
	v_or_b32_e32 v113, 0x800000, v36
	v_cndmask_b32_e32 v48, 0, v48, vcc_lo
	v_cmp_eq_u32_e32 vcc_lo, 0, v3
	v_add_nc_u32_e32 v3, 0xffffff89, v3
	v_cndmask_b32_e64 v48, v48, 0x77, vcc_lo
	v_cndmask_b32_e32 v36, v113, v36, vcc_lo
	v_cndmask_b32_e64 v3, v3, 0xffffff8a, vcc_lo
	v_lshl_add_u32 v113, 0x100000, v48, -1
	v_lshrrev_b32_e32 v116, v48, v36
	v_lshlrev_b32_e64 v73, v48, 0x80000
	v_add_nc_u32_e32 v48, v48, v3
	v_and_b32_e32 v36, v113, v36
	v_bfe_u32 v72, v116, 20, 1
	v_cmp_eq_u32_e64 s12, v36, v73
	v_add_nc_u32_e32 v113, -1, v72
	v_cndmask_b32_e64 v36, 0, v113, s12
	v_lshrrev_b32_e32 v113, 23, v116
	s_mov_b32 s12, exec_lo
	v_add_nc_u32_e32 v36, v36, v116
	v_xor_b32_e32 v113, 1, v113
	v_and_b32_e32 v3, 0xfffff, v36
	v_add_nc_u32_e32 v36, v3, v116
                                        ; implicit-def: $vgpr3
	v_cmpx_ne_u32_e64 v48, v113
	s_xor_b32 s12, exec_lo, s12
; %bb.3095:                             ;   in Loop: Header=BB6_3020 Depth=2
	v_cmp_lt_u32_e32 vcc_lo, 0xffffff, v36
	v_sub_nc_u32_e32 v3, v48, v113
	v_cndmask_b32_e64 v48, 0, 1, vcc_lo
	v_add_co_ci_u32_e64 v3, null, 0, v3, vcc_lo
	v_lshrrev_b32_e32 v36, v48, v36
; %bb.3096:                             ;   in Loop: Header=BB6_3020 Depth=2
	s_andn2_saveexec_b32 s12, s12
; %bb.3097:                             ;   in Loop: Header=BB6_3020 Depth=2
	v_bfe_u32 v3, v36, 23, 1
; %bb.3098:                             ;   in Loop: Header=BB6_3020 Depth=2
	s_or_b32 exec_lo, exec_lo, s12
	v_lshrrev_b32_e32 v36, 20, v36
	v_min_i32_e32 v48, 15, v3
	v_cmp_gt_i32_e32 vcc_lo, 16, v3
	v_and_b32_sdwa v2, v2, v119 dst_sel:DWORD dst_unused:UNUSED_PAD src0_sel:BYTE_3 src1_sel:DWORD
	v_lshlrev_b32_e32 v48, 3, v48
	v_cndmask_b32_e32 v36, 7, v36, vcc_lo
	v_and_b32_e32 v48, 0xf8, v48
	v_and_b32_e32 v113, 7, v36
	v_or_b32_e32 v3, v3, v36
	v_or3_b32 v2, v2, v48, v113
	v_cmp_ne_u32_e32 vcc_lo, 0, v3
	v_lshlrev_b32_e32 v2, 8, v2
	v_cndmask_b32_e32 v36, 0, v2, vcc_lo
.LBB6_3099:                             ;   in Loop: Header=BB6_3020 Depth=2
	s_or_b32 exec_lo, exec_lo, s27
.LBB6_3100:                             ;   in Loop: Header=BB6_3020 Depth=2
	s_or_b32 exec_lo, exec_lo, s26
	v_cmp_gt_i16_sdwa s26, v49, v115 src0_sel:BYTE_0 src1_sel:DWORD
	s_mov_b32 s12, 0
	s_and_saveexec_b32 s27, s26
	s_xor_b32 s26, exec_lo, s27
	s_cbranch_execz .LBB6_4314
; %bb.3101:                             ;   in Loop: Header=BB6_3020 Depth=2
	v_cmp_eq_u16_sdwa s28, v49, v119 src0_sel:BYTE_0 src1_sel:DWORD
	s_mov_b32 s12, -1
	s_and_saveexec_b32 s27, s28
; %bb.3102:                             ;   in Loop: Header=BB6_3020 Depth=2
	s_xor_b32 s12, exec_lo, -1
; %bb.3103:                             ;   in Loop: Header=BB6_3020 Depth=2
	s_or_b32 exec_lo, exec_lo, s27
	s_and_b32 s12, s12, exec_lo
	s_or_saveexec_b32 s26, s26
	v_mov_b32_e32 v2, 0x7f800001
	s_xor_b32 exec_lo, exec_lo, s26
	s_cbranch_execnz .LBB6_4315
.LBB6_3104:                             ;   in Loop: Header=BB6_3020 Depth=2
	s_or_b32 exec_lo, exec_lo, s26
	s_and_saveexec_b32 s26, s12
	s_cbranch_execz .LBB6_3106
.LBB6_3105:                             ;   in Loop: Header=BB6_3020 Depth=2
	v_and_b32_e32 v2, 7, v49
	v_bfe_u32 v113, v49, 3, 4
	v_lshlrev_b32_e32 v116, 24, v49
	v_ffbh_u32_e32 v3, v2
	v_cmp_eq_u32_e32 vcc_lo, 0, v113
	v_min_u32_e32 v3, 32, v3
	v_subrev_nc_u32_e32 v48, 28, v3
	v_sub_nc_u32_e32 v3, 29, v3
	v_lshlrev_b32_e32 v48, v48, v49
	v_cndmask_b32_e32 v3, v113, v3, vcc_lo
	v_and_b32_e32 v48, 7, v48
	v_lshl_add_u32 v3, v3, 23, 0x3b800000
	v_cndmask_b32_e32 v2, v2, v48, vcc_lo
	v_and_b32_e32 v48, 0x80000000, v116
	v_lshlrev_b32_e32 v2, 20, v2
	v_or3_b32 v2, v48, v3, v2
.LBB6_3106:                             ;   in Loop: Header=BB6_3020 Depth=2
	s_or_b32 exec_lo, exec_lo, s26
	v_cmp_gt_i16_sdwa s26, v37, v115 src0_sel:BYTE_0 src1_sel:DWORD
	s_mov_b32 s12, 0
	s_and_saveexec_b32 s27, s26
	s_xor_b32 s26, exec_lo, s27
	s_cbranch_execz .LBB6_4316
; %bb.3107:                             ;   in Loop: Header=BB6_3020 Depth=2
	v_cmp_eq_u16_sdwa s28, v37, v119 src0_sel:BYTE_0 src1_sel:DWORD
	s_mov_b32 s12, -1
	s_and_saveexec_b32 s27, s28
; %bb.3108:                             ;   in Loop: Header=BB6_3020 Depth=2
	s_xor_b32 s12, exec_lo, -1
; %bb.3109:                             ;   in Loop: Header=BB6_3020 Depth=2
	s_or_b32 exec_lo, exec_lo, s27
	s_and_b32 s12, s12, exec_lo
	s_or_saveexec_b32 s26, s26
	v_mov_b32_e32 v3, 0x7f800001
	s_xor_b32 exec_lo, exec_lo, s26
	s_cbranch_execnz .LBB6_4317
.LBB6_3110:                             ;   in Loop: Header=BB6_3020 Depth=2
	s_or_b32 exec_lo, exec_lo, s26
	s_and_saveexec_b32 s26, s12
	s_cbranch_execz .LBB6_3112
.LBB6_3111:                             ;   in Loop: Header=BB6_3020 Depth=2
	v_and_b32_e32 v3, 7, v37
	v_bfe_u32 v116, v37, 3, 4
	v_lshlrev_b32_e32 v72, 24, v37
	v_ffbh_u32_e32 v48, v3
	v_cmp_eq_u32_e32 vcc_lo, 0, v116
	v_min_u32_e32 v48, 32, v48
	v_subrev_nc_u32_e32 v113, 28, v48
	v_sub_nc_u32_e32 v48, 29, v48
	v_lshlrev_b32_e32 v113, v113, v37
	v_cndmask_b32_e32 v48, v116, v48, vcc_lo
	v_and_b32_e32 v113, 7, v113
	v_lshl_add_u32 v48, v48, 23, 0x3b800000
	v_cndmask_b32_e32 v3, v3, v113, vcc_lo
	v_and_b32_e32 v113, 0x80000000, v72
	v_lshlrev_b32_e32 v3, 20, v3
	v_or3_b32 v3, v113, v48, v3
.LBB6_3112:                             ;   in Loop: Header=BB6_3020 Depth=2
	s_or_b32 exec_lo, exec_lo, s26
	v_add_f32_e32 v2, v2, v3
	v_mov_b32_e32 v48, 0x80
	s_mov_b32 s26, exec_lo
	v_and_b32_e32 v3, 0x7f800000, v2
	v_cmpx_ne_u32_e32 0x7f800000, v3
	s_cbranch_execz .LBB6_3120
; %bb.3113:                             ;   in Loop: Header=BB6_3020 Depth=2
	v_mov_b32_e32 v48, 0
	s_mov_b32 s27, exec_lo
	v_cmpx_ne_u32_e32 0, v2
	s_cbranch_execz .LBB6_3119
; %bb.3114:                             ;   in Loop: Header=BB6_3020 Depth=2
	v_bfe_u32 v3, v2, 23, 8
	v_and_b32_e32 v48, 0x7fffff, v2
	v_sub_nc_u32_e32 v113, 0x78, v3
	v_cmp_gt_u32_e32 vcc_lo, 0x79, v3
	v_or_b32_e32 v116, 0x800000, v48
	v_cndmask_b32_e32 v113, 0, v113, vcc_lo
	v_cmp_eq_u32_e32 vcc_lo, 0, v3
	v_add_nc_u32_e32 v3, 0xffffff89, v3
	v_cndmask_b32_e64 v113, v113, 0x77, vcc_lo
	v_cndmask_b32_e32 v48, v116, v48, vcc_lo
	v_cndmask_b32_e64 v3, v3, 0xffffff8a, vcc_lo
	v_lshl_add_u32 v116, 0x100000, v113, -1
	v_lshrrev_b32_e32 v72, v113, v48
	v_lshlrev_b32_e64 v74, v113, 0x80000
	v_add_nc_u32_e32 v113, v113, v3
	v_and_b32_e32 v48, v116, v48
	v_bfe_u32 v73, v72, 20, 1
	v_cmp_eq_u32_e64 s12, v48, v74
	v_add_nc_u32_e32 v116, -1, v73
	v_cndmask_b32_e64 v48, 0, v116, s12
	v_lshrrev_b32_e32 v116, 23, v72
	s_mov_b32 s12, exec_lo
	v_add_nc_u32_e32 v48, v48, v72
	v_xor_b32_e32 v116, 1, v116
	v_and_b32_e32 v3, 0xfffff, v48
	v_add_nc_u32_e32 v48, v3, v72
                                        ; implicit-def: $vgpr3
	v_cmpx_ne_u32_e64 v113, v116
	s_xor_b32 s12, exec_lo, s12
; %bb.3115:                             ;   in Loop: Header=BB6_3020 Depth=2
	v_cmp_lt_u32_e32 vcc_lo, 0xffffff, v48
	v_sub_nc_u32_e32 v3, v113, v116
	v_cndmask_b32_e64 v113, 0, 1, vcc_lo
	v_add_co_ci_u32_e64 v3, null, 0, v3, vcc_lo
	v_lshrrev_b32_e32 v48, v113, v48
; %bb.3116:                             ;   in Loop: Header=BB6_3020 Depth=2
	s_andn2_saveexec_b32 s12, s12
; %bb.3117:                             ;   in Loop: Header=BB6_3020 Depth=2
	v_bfe_u32 v3, v48, 23, 1
; %bb.3118:                             ;   in Loop: Header=BB6_3020 Depth=2
	s_or_b32 exec_lo, exec_lo, s12
	v_lshrrev_b32_e32 v48, 20, v48
	v_min_i32_e32 v113, 15, v3
	v_cmp_gt_i32_e32 vcc_lo, 16, v3
	v_and_b32_sdwa v2, v2, v119 dst_sel:DWORD dst_unused:UNUSED_PAD src0_sel:BYTE_3 src1_sel:DWORD
	v_lshlrev_b32_e32 v113, 3, v113
	v_cndmask_b32_e32 v48, 7, v48, vcc_lo
	v_and_b32_e32 v113, 0xf8, v113
	v_and_b32_e32 v116, 7, v48
	v_or_b32_e32 v3, v3, v48
	v_or3_b32 v2, v113, v2, v116
	v_cmp_ne_u32_e32 vcc_lo, 0, v3
	v_cndmask_b32_e32 v48, 0, v2, vcc_lo
.LBB6_3119:                             ;   in Loop: Header=BB6_3020 Depth=2
	s_or_b32 exec_lo, exec_lo, s27
.LBB6_3120:                             ;   in Loop: Header=BB6_3020 Depth=2
	s_or_b32 exec_lo, exec_lo, s26
	v_cmp_gt_i16_sdwa s26, v49, v115 src0_sel:BYTE_1 src1_sel:DWORD
	s_mov_b32 s12, 0
	s_and_saveexec_b32 s27, s26
	s_xor_b32 s26, exec_lo, s27
	s_cbranch_execz .LBB6_4318
; %bb.3121:                             ;   in Loop: Header=BB6_3020 Depth=2
	v_cmp_eq_u16_sdwa s28, v49, v119 src0_sel:BYTE_1 src1_sel:DWORD
	s_mov_b32 s12, -1
	s_and_saveexec_b32 s27, s28
; %bb.3122:                             ;   in Loop: Header=BB6_3020 Depth=2
	s_xor_b32 s12, exec_lo, -1
; %bb.3123:                             ;   in Loop: Header=BB6_3020 Depth=2
	s_or_b32 exec_lo, exec_lo, s27
	s_and_b32 s12, s12, exec_lo
	s_or_saveexec_b32 s26, s26
	v_mov_b32_e32 v2, 0x7f800001
	s_xor_b32 exec_lo, exec_lo, s26
	s_cbranch_execnz .LBB6_4319
.LBB6_3124:                             ;   in Loop: Header=BB6_3020 Depth=2
	s_or_b32 exec_lo, exec_lo, s26
	s_and_saveexec_b32 s26, s12
	s_cbranch_execz .LBB6_3126
.LBB6_3125:                             ;   in Loop: Header=BB6_3020 Depth=2
	v_and_b32_sdwa v2, v41, v49 dst_sel:DWORD dst_unused:UNUSED_PAD src0_sel:DWORD src1_sel:BYTE_1
	v_and_b32_e32 v3, 7, v2
	v_bfe_u32 v72, v2, 3, 4
	v_ffbh_u32_e32 v113, v3
	v_cmp_eq_u32_e32 vcc_lo, 0, v72
	v_min_u32_e32 v113, 32, v113
	v_subrev_nc_u32_e32 v116, 28, v113
	v_sub_nc_u32_e32 v113, 29, v113
	v_lshlrev_b32_e32 v2, v116, v2
	v_lshlrev_b32_sdwa v116, v47, v49 dst_sel:DWORD dst_unused:UNUSED_PAD src0_sel:DWORD src1_sel:BYTE_1
	v_cndmask_b32_e32 v113, v72, v113, vcc_lo
	v_and_b32_e32 v2, 7, v2
	v_lshl_add_u32 v113, v113, 23, 0x3b800000
	v_cndmask_b32_e32 v2, v3, v2, vcc_lo
	v_and_b32_e32 v3, 0x80000000, v116
	v_lshlrev_b32_e32 v2, 20, v2
	v_or3_b32 v2, v3, v113, v2
.LBB6_3126:                             ;   in Loop: Header=BB6_3020 Depth=2
	s_or_b32 exec_lo, exec_lo, s26
	v_cmp_gt_i16_sdwa s26, v37, v115 src0_sel:BYTE_1 src1_sel:DWORD
	s_mov_b32 s12, 0
	s_and_saveexec_b32 s27, s26
	s_xor_b32 s26, exec_lo, s27
	s_cbranch_execz .LBB6_4320
; %bb.3127:                             ;   in Loop: Header=BB6_3020 Depth=2
	v_cmp_eq_u16_sdwa s28, v37, v119 src0_sel:BYTE_1 src1_sel:DWORD
	s_mov_b32 s12, -1
	s_and_saveexec_b32 s27, s28
; %bb.3128:                             ;   in Loop: Header=BB6_3020 Depth=2
	s_xor_b32 s12, exec_lo, -1
; %bb.3129:                             ;   in Loop: Header=BB6_3020 Depth=2
	s_or_b32 exec_lo, exec_lo, s27
	s_and_b32 s12, s12, exec_lo
	s_or_saveexec_b32 s26, s26
	v_mov_b32_e32 v3, 0x7f800001
	s_xor_b32 exec_lo, exec_lo, s26
	s_cbranch_execnz .LBB6_4321
.LBB6_3130:                             ;   in Loop: Header=BB6_3020 Depth=2
	s_or_b32 exec_lo, exec_lo, s26
	s_and_saveexec_b32 s26, s12
	s_cbranch_execz .LBB6_3132
.LBB6_3131:                             ;   in Loop: Header=BB6_3020 Depth=2
	v_and_b32_sdwa v3, v41, v37 dst_sel:DWORD dst_unused:UNUSED_PAD src0_sel:DWORD src1_sel:BYTE_1
	v_and_b32_e32 v113, 7, v3
	v_bfe_u32 v73, v3, 3, 4
	v_ffbh_u32_e32 v116, v113
	v_cmp_eq_u32_e32 vcc_lo, 0, v73
	v_min_u32_e32 v116, 32, v116
	v_subrev_nc_u32_e32 v72, 28, v116
	v_sub_nc_u32_e32 v116, 29, v116
	v_lshlrev_b32_e32 v3, v72, v3
	v_lshlrev_b32_sdwa v72, v47, v37 dst_sel:DWORD dst_unused:UNUSED_PAD src0_sel:DWORD src1_sel:BYTE_1
	v_cndmask_b32_e32 v116, v73, v116, vcc_lo
	v_and_b32_e32 v3, 7, v3
	v_lshl_add_u32 v116, v116, 23, 0x3b800000
	v_cndmask_b32_e32 v3, v113, v3, vcc_lo
	v_and_b32_e32 v113, 0x80000000, v72
	v_lshlrev_b32_e32 v3, 20, v3
	v_or3_b32 v3, v113, v116, v3
.LBB6_3132:                             ;   in Loop: Header=BB6_3020 Depth=2
	s_or_b32 exec_lo, exec_lo, s26
	v_add_f32_e32 v2, v2, v3
	v_mov_b32_e32 v72, 0x8000
	s_mov_b32 s26, exec_lo
	v_and_b32_e32 v3, 0x7f800000, v2
	v_cmpx_ne_u32_e32 0x7f800000, v3
	s_cbranch_execz .LBB6_3140
; %bb.3133:                             ;   in Loop: Header=BB6_3020 Depth=2
	v_mov_b32_e32 v72, 0
	s_mov_b32 s27, exec_lo
	v_cmpx_ne_u32_e32 0, v2
	s_cbranch_execz .LBB6_3139
; %bb.3134:                             ;   in Loop: Header=BB6_3020 Depth=2
	v_bfe_u32 v3, v2, 23, 8
	v_and_b32_e32 v113, 0x7fffff, v2
	v_sub_nc_u32_e32 v116, 0x78, v3
	v_cmp_gt_u32_e32 vcc_lo, 0x79, v3
	v_or_b32_e32 v72, 0x800000, v113
	v_cndmask_b32_e32 v116, 0, v116, vcc_lo
	v_cmp_eq_u32_e32 vcc_lo, 0, v3
	v_add_nc_u32_e32 v3, 0xffffff89, v3
	v_cndmask_b32_e64 v116, v116, 0x77, vcc_lo
	v_cndmask_b32_e32 v113, v72, v113, vcc_lo
	v_cndmask_b32_e64 v3, v3, 0xffffff8a, vcc_lo
	v_lshl_add_u32 v73, 0x100000, v116, -1
	v_lshrrev_b32_e32 v72, v116, v113
	v_lshlrev_b32_e64 v75, v116, 0x80000
	v_and_b32_e32 v113, v73, v113
	v_bfe_u32 v74, v72, 20, 1
	v_cmp_eq_u32_e64 s12, v113, v75
	v_add_nc_u32_e32 v73, -1, v74
	v_lshrrev_b32_e32 v74, 23, v72
	v_cndmask_b32_e64 v113, 0, v73, s12
	s_mov_b32 s12, exec_lo
	v_add_nc_u32_e32 v73, v113, v72
	v_add_nc_u32_e32 v113, v116, v3
	v_xor_b32_e32 v116, 1, v74
	v_and_b32_e32 v3, 0xfffff, v73
	v_add_nc_u32_e32 v72, v3, v72
                                        ; implicit-def: $vgpr3
	v_cmpx_ne_u32_e64 v113, v116
	s_xor_b32 s12, exec_lo, s12
; %bb.3135:                             ;   in Loop: Header=BB6_3020 Depth=2
	v_cmp_lt_u32_e32 vcc_lo, 0xffffff, v72
	v_sub_nc_u32_e32 v3, v113, v116
	v_cndmask_b32_e64 v113, 0, 1, vcc_lo
	v_add_co_ci_u32_e64 v3, null, 0, v3, vcc_lo
	v_lshrrev_b32_e32 v72, v113, v72
; %bb.3136:                             ;   in Loop: Header=BB6_3020 Depth=2
	s_andn2_saveexec_b32 s12, s12
; %bb.3137:                             ;   in Loop: Header=BB6_3020 Depth=2
	v_bfe_u32 v3, v72, 23, 1
; %bb.3138:                             ;   in Loop: Header=BB6_3020 Depth=2
	s_or_b32 exec_lo, exec_lo, s12
	v_lshrrev_b32_e32 v113, 20, v72
	v_min_i32_e32 v116, 15, v3
	v_cmp_gt_i32_e32 vcc_lo, 16, v3
	v_and_b32_sdwa v2, v2, v119 dst_sel:DWORD dst_unused:UNUSED_PAD src0_sel:BYTE_3 src1_sel:DWORD
	v_lshlrev_b32_e32 v116, 3, v116
	v_cndmask_b32_e32 v113, 7, v113, vcc_lo
	v_and_b32_e32 v116, 0xf8, v116
	v_and_b32_e32 v72, 7, v113
	v_or_b32_e32 v3, v3, v113
	v_or3_b32 v2, v2, v116, v72
	v_cmp_ne_u32_e32 vcc_lo, 0, v3
	v_lshlrev_b32_e32 v2, 8, v2
	v_cndmask_b32_e32 v72, 0, v2, vcc_lo
.LBB6_3139:                             ;   in Loop: Header=BB6_3020 Depth=2
	s_or_b32 exec_lo, exec_lo, s27
.LBB6_3140:                             ;   in Loop: Header=BB6_3020 Depth=2
	s_or_b32 exec_lo, exec_lo, s26
	v_and_b32_sdwa v3, v49, v56 dst_sel:DWORD dst_unused:UNUSED_PAD src0_sel:WORD_1 src1_sel:DWORD
	s_mov_b32 s12, 0
	s_mov_b32 s26, exec_lo
	v_cmpx_lt_i16_e32 0x7f, v3
	s_xor_b32 s26, exec_lo, s26
	s_cbranch_execz .LBB6_4322
; %bb.3141:                             ;   in Loop: Header=BB6_3020 Depth=2
	s_mov_b32 s12, -1
	s_mov_b32 s27, exec_lo
	v_cmpx_eq_u16_e32 0x80, v3
; %bb.3142:                             ;   in Loop: Header=BB6_3020 Depth=2
	s_xor_b32 s12, exec_lo, -1
; %bb.3143:                             ;   in Loop: Header=BB6_3020 Depth=2
	s_or_b32 exec_lo, exec_lo, s27
	s_and_b32 s12, s12, exec_lo
                                        ; implicit-def: $vgpr3
	s_or_saveexec_b32 s26, s26
	v_mov_b32_e32 v2, 0x7f800001
	s_xor_b32 exec_lo, exec_lo, s26
	s_cbranch_execnz .LBB6_4323
.LBB6_3144:                             ;   in Loop: Header=BB6_3020 Depth=2
	s_or_b32 exec_lo, exec_lo, s26
	s_and_saveexec_b32 s26, s12
	s_cbranch_execz .LBB6_3146
.LBB6_3145:                             ;   in Loop: Header=BB6_3020 Depth=2
	v_bfe_u32 v2, v49, 16, 3
	v_bfe_u32 v116, v49, 19, 4
	v_lshlrev_b32_e32 v73, 8, v49
	v_ffbh_u32_e32 v3, v2
	v_cmp_eq_u32_e32 vcc_lo, 0, v116
	v_min_u32_e32 v3, 32, v3
	v_subrev_nc_u32_e32 v113, 28, v3
	v_sub_nc_u32_e32 v3, 29, v3
	v_lshlrev_b32_sdwa v113, v113, v49 dst_sel:DWORD dst_unused:UNUSED_PAD src0_sel:DWORD src1_sel:WORD_1
	v_cndmask_b32_e32 v3, v116, v3, vcc_lo
	v_and_b32_e32 v113, 7, v113
	v_lshl_add_u32 v3, v3, 23, 0x3b800000
	v_cndmask_b32_e32 v2, v2, v113, vcc_lo
	v_and_b32_e32 v113, 0x80000000, v73
	v_lshlrev_b32_e32 v2, 20, v2
	v_or3_b32 v2, v113, v3, v2
.LBB6_3146:                             ;   in Loop: Header=BB6_3020 Depth=2
	s_or_b32 exec_lo, exec_lo, s26
	v_and_b32_sdwa v113, v37, v56 dst_sel:DWORD dst_unused:UNUSED_PAD src0_sel:WORD_1 src1_sel:DWORD
	s_mov_b32 s12, 0
	s_mov_b32 s26, exec_lo
	v_cmpx_lt_i16_e32 0x7f, v113
	s_xor_b32 s26, exec_lo, s26
	s_cbranch_execz .LBB6_4324
; %bb.3147:                             ;   in Loop: Header=BB6_3020 Depth=2
	s_mov_b32 s12, -1
	s_mov_b32 s27, exec_lo
	v_cmpx_eq_u16_e32 0x80, v113
; %bb.3148:                             ;   in Loop: Header=BB6_3020 Depth=2
	s_xor_b32 s12, exec_lo, -1
; %bb.3149:                             ;   in Loop: Header=BB6_3020 Depth=2
	s_or_b32 exec_lo, exec_lo, s27
	s_and_b32 s12, s12, exec_lo
                                        ; implicit-def: $vgpr113
	s_or_saveexec_b32 s26, s26
	v_mov_b32_e32 v3, 0x7f800001
	s_xor_b32 exec_lo, exec_lo, s26
	s_cbranch_execnz .LBB6_4325
.LBB6_3150:                             ;   in Loop: Header=BB6_3020 Depth=2
	s_or_b32 exec_lo, exec_lo, s26
	s_and_saveexec_b32 s26, s12
	s_cbranch_execz .LBB6_3152
.LBB6_3151:                             ;   in Loop: Header=BB6_3020 Depth=2
	v_bfe_u32 v3, v37, 16, 3
	v_bfe_u32 v73, v37, 19, 4
	v_lshlrev_b32_e32 v74, 8, v37
	v_ffbh_u32_e32 v113, v3
	v_cmp_eq_u32_e32 vcc_lo, 0, v73
	v_min_u32_e32 v113, 32, v113
	v_subrev_nc_u32_e32 v116, 28, v113
	v_sub_nc_u32_e32 v113, 29, v113
	v_lshlrev_b32_sdwa v116, v116, v37 dst_sel:DWORD dst_unused:UNUSED_PAD src0_sel:DWORD src1_sel:WORD_1
	v_cndmask_b32_e32 v113, v73, v113, vcc_lo
	v_and_b32_e32 v116, 7, v116
	v_lshl_add_u32 v113, v113, 23, 0x3b800000
	v_cndmask_b32_e32 v3, v3, v116, vcc_lo
	v_and_b32_e32 v116, 0x80000000, v74
	v_lshlrev_b32_e32 v3, 20, v3
	v_or3_b32 v3, v116, v113, v3
.LBB6_3152:                             ;   in Loop: Header=BB6_3020 Depth=2
	s_or_b32 exec_lo, exec_lo, s26
	v_add_f32_e32 v2, v2, v3
	v_mov_b32_e32 v73, 0x80
	s_mov_b32 s26, exec_lo
	v_and_b32_e32 v3, 0x7f800000, v2
	v_cmpx_ne_u32_e32 0x7f800000, v3
	s_cbranch_execz .LBB6_3160
; %bb.3153:                             ;   in Loop: Header=BB6_3020 Depth=2
	v_mov_b32_e32 v73, 0
	s_mov_b32 s27, exec_lo
	v_cmpx_ne_u32_e32 0, v2
	s_cbranch_execz .LBB6_3159
; %bb.3154:                             ;   in Loop: Header=BB6_3020 Depth=2
	v_bfe_u32 v3, v2, 23, 8
	v_and_b32_e32 v113, 0x7fffff, v2
	v_sub_nc_u32_e32 v116, 0x78, v3
	v_cmp_gt_u32_e32 vcc_lo, 0x79, v3
	v_or_b32_e32 v73, 0x800000, v113
	v_cndmask_b32_e32 v116, 0, v116, vcc_lo
	v_cmp_eq_u32_e32 vcc_lo, 0, v3
	v_add_nc_u32_e32 v3, 0xffffff89, v3
	v_cndmask_b32_e64 v116, v116, 0x77, vcc_lo
	v_cndmask_b32_e32 v113, v73, v113, vcc_lo
	v_cndmask_b32_e64 v3, v3, 0xffffff8a, vcc_lo
	v_lshl_add_u32 v74, 0x100000, v116, -1
	v_lshrrev_b32_e32 v73, v116, v113
	v_lshlrev_b32_e64 v76, v116, 0x80000
	v_and_b32_e32 v113, v74, v113
	v_bfe_u32 v75, v73, 20, 1
	v_cmp_eq_u32_e64 s12, v113, v76
	v_add_nc_u32_e32 v74, -1, v75
	v_lshrrev_b32_e32 v75, 23, v73
	v_cndmask_b32_e64 v113, 0, v74, s12
	s_mov_b32 s12, exec_lo
	v_add_nc_u32_e32 v74, v113, v73
	v_add_nc_u32_e32 v113, v116, v3
	v_xor_b32_e32 v116, 1, v75
	v_and_b32_e32 v3, 0xfffff, v74
	v_add_nc_u32_e32 v73, v3, v73
                                        ; implicit-def: $vgpr3
	v_cmpx_ne_u32_e64 v113, v116
	s_xor_b32 s12, exec_lo, s12
; %bb.3155:                             ;   in Loop: Header=BB6_3020 Depth=2
	v_cmp_lt_u32_e32 vcc_lo, 0xffffff, v73
	v_sub_nc_u32_e32 v3, v113, v116
	v_cndmask_b32_e64 v113, 0, 1, vcc_lo
	v_add_co_ci_u32_e64 v3, null, 0, v3, vcc_lo
	v_lshrrev_b32_e32 v73, v113, v73
; %bb.3156:                             ;   in Loop: Header=BB6_3020 Depth=2
	s_andn2_saveexec_b32 s12, s12
; %bb.3157:                             ;   in Loop: Header=BB6_3020 Depth=2
	v_bfe_u32 v3, v73, 23, 1
; %bb.3158:                             ;   in Loop: Header=BB6_3020 Depth=2
	s_or_b32 exec_lo, exec_lo, s12
	v_lshrrev_b32_e32 v113, 20, v73
	v_min_i32_e32 v116, 15, v3
	v_cmp_gt_i32_e32 vcc_lo, 16, v3
	v_and_b32_sdwa v2, v2, v119 dst_sel:DWORD dst_unused:UNUSED_PAD src0_sel:BYTE_3 src1_sel:DWORD
	v_lshlrev_b32_e32 v116, 3, v116
	v_cndmask_b32_e32 v113, 7, v113, vcc_lo
	v_and_b32_e32 v116, 0xf8, v116
	v_and_b32_e32 v73, 7, v113
	v_or_b32_e32 v3, v3, v113
	v_or3_b32 v2, v116, v2, v73
	v_cmp_ne_u32_e32 vcc_lo, 0, v3
	v_cndmask_b32_e32 v73, 0, v2, vcc_lo
.LBB6_3159:                             ;   in Loop: Header=BB6_3020 Depth=2
	s_or_b32 exec_lo, exec_lo, s27
.LBB6_3160:                             ;   in Loop: Header=BB6_3020 Depth=2
	s_or_b32 exec_lo, exec_lo, s26
	v_cmp_gt_i16_sdwa s26, v49, v115 src0_sel:BYTE_3 src1_sel:DWORD
	s_mov_b32 s12, 0
	s_and_saveexec_b32 s27, s26
	s_xor_b32 s26, exec_lo, s27
	s_cbranch_execz .LBB6_4326
; %bb.3161:                             ;   in Loop: Header=BB6_3020 Depth=2
	v_cmp_eq_u16_sdwa s28, v49, v119 src0_sel:BYTE_3 src1_sel:DWORD
	s_mov_b32 s12, -1
	s_and_saveexec_b32 s27, s28
; %bb.3162:                             ;   in Loop: Header=BB6_3020 Depth=2
	s_xor_b32 s12, exec_lo, -1
; %bb.3163:                             ;   in Loop: Header=BB6_3020 Depth=2
	s_or_b32 exec_lo, exec_lo, s27
	s_and_b32 s12, s12, exec_lo
	s_or_saveexec_b32 s26, s26
	v_mov_b32_e32 v2, 0x7f800001
	s_xor_b32 exec_lo, exec_lo, s26
	s_cbranch_execnz .LBB6_4327
.LBB6_3164:                             ;   in Loop: Header=BB6_3020 Depth=2
	s_or_b32 exec_lo, exec_lo, s26
	s_and_saveexec_b32 s26, s12
	s_cbranch_execz .LBB6_3166
.LBB6_3165:                             ;   in Loop: Header=BB6_3020 Depth=2
	v_bfe_u32 v2, v49, 24, 3
	v_bfe_u32 v116, v49, 27, 4
	v_ffbh_u32_e32 v3, v2
	v_cmp_eq_u32_e32 vcc_lo, 0, v116
	v_min_u32_e32 v3, 32, v3
	v_subrev_nc_u32_e32 v113, 28, v3
	v_sub_nc_u32_e32 v3, 29, v3
	v_lshlrev_b32_sdwa v113, v113, v49 dst_sel:DWORD dst_unused:UNUSED_PAD src0_sel:DWORD src1_sel:BYTE_3
	v_cndmask_b32_e32 v3, v116, v3, vcc_lo
	v_and_b32_e32 v49, 0x80000000, v49
	v_and_b32_e32 v113, 7, v113
	v_lshl_add_u32 v3, v3, 23, 0x3b800000
	v_cndmask_b32_e32 v2, v2, v113, vcc_lo
	v_lshlrev_b32_e32 v2, 20, v2
	v_or3_b32 v2, v49, v3, v2
.LBB6_3166:                             ;   in Loop: Header=BB6_3020 Depth=2
	s_or_b32 exec_lo, exec_lo, s26
	v_cmp_gt_i16_sdwa s26, v37, v115 src0_sel:BYTE_3 src1_sel:DWORD
	s_mov_b32 s12, 0
	s_and_saveexec_b32 s27, s26
	s_xor_b32 s26, exec_lo, s27
	s_cbranch_execz .LBB6_4328
; %bb.3167:                             ;   in Loop: Header=BB6_3020 Depth=2
	v_cmp_eq_u16_sdwa s28, v37, v119 src0_sel:BYTE_3 src1_sel:DWORD
	s_mov_b32 s12, -1
	s_and_saveexec_b32 s27, s28
; %bb.3168:                             ;   in Loop: Header=BB6_3020 Depth=2
	s_xor_b32 s12, exec_lo, -1
; %bb.3169:                             ;   in Loop: Header=BB6_3020 Depth=2
	s_or_b32 exec_lo, exec_lo, s27
	s_and_b32 s12, s12, exec_lo
	s_or_saveexec_b32 s26, s26
	v_mov_b32_e32 v3, 0x7f800001
	s_xor_b32 exec_lo, exec_lo, s26
	s_cbranch_execnz .LBB6_4329
.LBB6_3170:                             ;   in Loop: Header=BB6_3020 Depth=2
	s_or_b32 exec_lo, exec_lo, s26
	s_and_saveexec_b32 s26, s12
	s_cbranch_execz .LBB6_3172
.LBB6_3171:                             ;   in Loop: Header=BB6_3020 Depth=2
	v_bfe_u32 v3, v37, 24, 3
	v_bfe_u32 v116, v37, 27, 4
	v_ffbh_u32_e32 v49, v3
	v_cmp_eq_u32_e32 vcc_lo, 0, v116
	v_min_u32_e32 v49, 32, v49
	v_subrev_nc_u32_e32 v113, 28, v49
	v_sub_nc_u32_e32 v49, 29, v49
	v_lshlrev_b32_sdwa v113, v113, v37 dst_sel:DWORD dst_unused:UNUSED_PAD src0_sel:DWORD src1_sel:BYTE_3
	v_cndmask_b32_e32 v49, v116, v49, vcc_lo
	v_and_b32_e32 v37, 0x80000000, v37
	v_and_b32_e32 v113, 7, v113
	v_lshl_add_u32 v49, v49, 23, 0x3b800000
	v_cndmask_b32_e32 v3, v3, v113, vcc_lo
	v_lshlrev_b32_e32 v3, 20, v3
	v_or3_b32 v3, v37, v49, v3
.LBB6_3172:                             ;   in Loop: Header=BB6_3020 Depth=2
	s_or_b32 exec_lo, exec_lo, s26
	v_add_f32_e32 v2, v2, v3
	v_mov_b32_e32 v37, 0x8000
	s_mov_b32 s26, exec_lo
	v_and_b32_e32 v3, 0x7f800000, v2
	v_cmpx_ne_u32_e32 0x7f800000, v3
	s_cbranch_execz .LBB6_3180
; %bb.3173:                             ;   in Loop: Header=BB6_3020 Depth=2
	v_mov_b32_e32 v37, 0
	s_mov_b32 s27, exec_lo
	v_cmpx_ne_u32_e32 0, v2
	s_cbranch_execz .LBB6_3179
; %bb.3174:                             ;   in Loop: Header=BB6_3020 Depth=2
	v_bfe_u32 v3, v2, 23, 8
	v_and_b32_e32 v37, 0x7fffff, v2
	v_sub_nc_u32_e32 v49, 0x78, v3
	v_cmp_gt_u32_e32 vcc_lo, 0x79, v3
	v_or_b32_e32 v113, 0x800000, v37
	v_cndmask_b32_e32 v49, 0, v49, vcc_lo
	v_cmp_eq_u32_e32 vcc_lo, 0, v3
	v_add_nc_u32_e32 v3, 0xffffff89, v3
	v_cndmask_b32_e64 v49, v49, 0x77, vcc_lo
	v_cndmask_b32_e32 v37, v113, v37, vcc_lo
	v_cndmask_b32_e64 v3, v3, 0xffffff8a, vcc_lo
	v_lshl_add_u32 v113, 0x100000, v49, -1
	v_lshrrev_b32_e32 v116, v49, v37
	v_lshlrev_b32_e64 v75, v49, 0x80000
	v_add_nc_u32_e32 v49, v49, v3
	v_and_b32_e32 v37, v113, v37
	v_bfe_u32 v74, v116, 20, 1
	v_cmp_eq_u32_e64 s12, v37, v75
	v_add_nc_u32_e32 v113, -1, v74
	v_cndmask_b32_e64 v37, 0, v113, s12
	v_lshrrev_b32_e32 v113, 23, v116
	s_mov_b32 s12, exec_lo
	v_add_nc_u32_e32 v37, v37, v116
	v_xor_b32_e32 v113, 1, v113
	v_and_b32_e32 v3, 0xfffff, v37
	v_add_nc_u32_e32 v37, v3, v116
                                        ; implicit-def: $vgpr3
	v_cmpx_ne_u32_e64 v49, v113
	s_xor_b32 s12, exec_lo, s12
; %bb.3175:                             ;   in Loop: Header=BB6_3020 Depth=2
	v_cmp_lt_u32_e32 vcc_lo, 0xffffff, v37
	v_sub_nc_u32_e32 v3, v49, v113
	v_cndmask_b32_e64 v49, 0, 1, vcc_lo
	v_add_co_ci_u32_e64 v3, null, 0, v3, vcc_lo
	v_lshrrev_b32_e32 v37, v49, v37
; %bb.3176:                             ;   in Loop: Header=BB6_3020 Depth=2
	s_andn2_saveexec_b32 s12, s12
; %bb.3177:                             ;   in Loop: Header=BB6_3020 Depth=2
	v_bfe_u32 v3, v37, 23, 1
; %bb.3178:                             ;   in Loop: Header=BB6_3020 Depth=2
	s_or_b32 exec_lo, exec_lo, s12
	v_lshrrev_b32_e32 v37, 20, v37
	v_min_i32_e32 v49, 15, v3
	v_cmp_gt_i32_e32 vcc_lo, 16, v3
	v_and_b32_sdwa v2, v2, v119 dst_sel:DWORD dst_unused:UNUSED_PAD src0_sel:BYTE_3 src1_sel:DWORD
	v_lshlrev_b32_e32 v49, 3, v49
	v_cndmask_b32_e32 v37, 7, v37, vcc_lo
	v_and_b32_e32 v49, 0xf8, v49
	v_and_b32_e32 v113, 7, v37
	v_or_b32_e32 v3, v3, v37
	v_or3_b32 v2, v2, v49, v113
	v_cmp_ne_u32_e32 vcc_lo, 0, v3
	v_lshlrev_b32_e32 v2, 8, v2
	v_cndmask_b32_e32 v37, 0, v2, vcc_lo
.LBB6_3179:                             ;   in Loop: Header=BB6_3020 Depth=2
	s_or_b32 exec_lo, exec_lo, s27
.LBB6_3180:                             ;   in Loop: Header=BB6_3020 Depth=2
	s_or_b32 exec_lo, exec_lo, s26
	v_cmp_gt_i16_sdwa s26, v50, v115 src0_sel:BYTE_0 src1_sel:DWORD
	s_mov_b32 s12, 0
	s_and_saveexec_b32 s27, s26
	s_xor_b32 s26, exec_lo, s27
	s_cbranch_execz .LBB6_4330
; %bb.3181:                             ;   in Loop: Header=BB6_3020 Depth=2
	v_cmp_eq_u16_sdwa s28, v50, v119 src0_sel:BYTE_0 src1_sel:DWORD
	s_mov_b32 s12, -1
	s_and_saveexec_b32 s27, s28
; %bb.3182:                             ;   in Loop: Header=BB6_3020 Depth=2
	s_xor_b32 s12, exec_lo, -1
; %bb.3183:                             ;   in Loop: Header=BB6_3020 Depth=2
	s_or_b32 exec_lo, exec_lo, s27
	s_and_b32 s12, s12, exec_lo
	s_or_saveexec_b32 s26, s26
	v_mov_b32_e32 v2, 0x7f800001
	s_xor_b32 exec_lo, exec_lo, s26
	s_cbranch_execnz .LBB6_4331
.LBB6_3184:                             ;   in Loop: Header=BB6_3020 Depth=2
	s_or_b32 exec_lo, exec_lo, s26
	s_and_saveexec_b32 s26, s12
	s_cbranch_execz .LBB6_3186
.LBB6_3185:                             ;   in Loop: Header=BB6_3020 Depth=2
	v_and_b32_e32 v2, 7, v50
	v_bfe_u32 v113, v50, 3, 4
	v_lshlrev_b32_e32 v116, 24, v50
	v_ffbh_u32_e32 v3, v2
	v_cmp_eq_u32_e32 vcc_lo, 0, v113
	v_min_u32_e32 v3, 32, v3
	v_subrev_nc_u32_e32 v49, 28, v3
	v_sub_nc_u32_e32 v3, 29, v3
	v_lshlrev_b32_e32 v49, v49, v50
	v_cndmask_b32_e32 v3, v113, v3, vcc_lo
	v_and_b32_e32 v49, 7, v49
	v_lshl_add_u32 v3, v3, 23, 0x3b800000
	v_cndmask_b32_e32 v2, v2, v49, vcc_lo
	v_and_b32_e32 v49, 0x80000000, v116
	v_lshlrev_b32_e32 v2, 20, v2
	v_or3_b32 v2, v49, v3, v2
.LBB6_3186:                             ;   in Loop: Header=BB6_3020 Depth=2
	s_or_b32 exec_lo, exec_lo, s26
	v_cmp_gt_i16_sdwa s26, v38, v115 src0_sel:BYTE_0 src1_sel:DWORD
	s_mov_b32 s12, 0
	s_and_saveexec_b32 s27, s26
	s_xor_b32 s26, exec_lo, s27
	s_cbranch_execz .LBB6_4332
; %bb.3187:                             ;   in Loop: Header=BB6_3020 Depth=2
	v_cmp_eq_u16_sdwa s28, v38, v119 src0_sel:BYTE_0 src1_sel:DWORD
	s_mov_b32 s12, -1
	s_and_saveexec_b32 s27, s28
; %bb.3188:                             ;   in Loop: Header=BB6_3020 Depth=2
	s_xor_b32 s12, exec_lo, -1
; %bb.3189:                             ;   in Loop: Header=BB6_3020 Depth=2
	s_or_b32 exec_lo, exec_lo, s27
	s_and_b32 s12, s12, exec_lo
	s_or_saveexec_b32 s26, s26
	v_mov_b32_e32 v3, 0x7f800001
	s_xor_b32 exec_lo, exec_lo, s26
	s_cbranch_execnz .LBB6_4333
.LBB6_3190:                             ;   in Loop: Header=BB6_3020 Depth=2
	s_or_b32 exec_lo, exec_lo, s26
	s_and_saveexec_b32 s26, s12
	s_cbranch_execz .LBB6_3192
.LBB6_3191:                             ;   in Loop: Header=BB6_3020 Depth=2
	v_and_b32_e32 v3, 7, v38
	v_bfe_u32 v116, v38, 3, 4
	v_lshlrev_b32_e32 v74, 24, v38
	v_ffbh_u32_e32 v49, v3
	v_cmp_eq_u32_e32 vcc_lo, 0, v116
	v_min_u32_e32 v49, 32, v49
	v_subrev_nc_u32_e32 v113, 28, v49
	v_sub_nc_u32_e32 v49, 29, v49
	v_lshlrev_b32_e32 v113, v113, v38
	v_cndmask_b32_e32 v49, v116, v49, vcc_lo
	v_and_b32_e32 v113, 7, v113
	v_lshl_add_u32 v49, v49, 23, 0x3b800000
	v_cndmask_b32_e32 v3, v3, v113, vcc_lo
	v_and_b32_e32 v113, 0x80000000, v74
	v_lshlrev_b32_e32 v3, 20, v3
	v_or3_b32 v3, v113, v49, v3
.LBB6_3192:                             ;   in Loop: Header=BB6_3020 Depth=2
	s_or_b32 exec_lo, exec_lo, s26
	v_add_f32_e32 v2, v2, v3
	v_mov_b32_e32 v49, 0x80
	s_mov_b32 s26, exec_lo
	v_and_b32_e32 v3, 0x7f800000, v2
	v_cmpx_ne_u32_e32 0x7f800000, v3
	s_cbranch_execz .LBB6_3200
; %bb.3193:                             ;   in Loop: Header=BB6_3020 Depth=2
	v_mov_b32_e32 v49, 0
	s_mov_b32 s27, exec_lo
	v_cmpx_ne_u32_e32 0, v2
	s_cbranch_execz .LBB6_3199
; %bb.3194:                             ;   in Loop: Header=BB6_3020 Depth=2
	v_bfe_u32 v3, v2, 23, 8
	v_and_b32_e32 v49, 0x7fffff, v2
	v_sub_nc_u32_e32 v113, 0x78, v3
	v_cmp_gt_u32_e32 vcc_lo, 0x79, v3
	v_or_b32_e32 v116, 0x800000, v49
	v_cndmask_b32_e32 v113, 0, v113, vcc_lo
	v_cmp_eq_u32_e32 vcc_lo, 0, v3
	v_add_nc_u32_e32 v3, 0xffffff89, v3
	v_cndmask_b32_e64 v113, v113, 0x77, vcc_lo
	v_cndmask_b32_e32 v49, v116, v49, vcc_lo
	v_cndmask_b32_e64 v3, v3, 0xffffff8a, vcc_lo
	v_lshl_add_u32 v116, 0x100000, v113, -1
	v_lshrrev_b32_e32 v74, v113, v49
	v_lshlrev_b32_e64 v76, v113, 0x80000
	v_add_nc_u32_e32 v113, v113, v3
	v_and_b32_e32 v49, v116, v49
	v_bfe_u32 v75, v74, 20, 1
	v_cmp_eq_u32_e64 s12, v49, v76
	v_add_nc_u32_e32 v116, -1, v75
	v_cndmask_b32_e64 v49, 0, v116, s12
	v_lshrrev_b32_e32 v116, 23, v74
	s_mov_b32 s12, exec_lo
	v_add_nc_u32_e32 v49, v49, v74
	v_xor_b32_e32 v116, 1, v116
	v_and_b32_e32 v3, 0xfffff, v49
	v_add_nc_u32_e32 v49, v3, v74
                                        ; implicit-def: $vgpr3
	v_cmpx_ne_u32_e64 v113, v116
	s_xor_b32 s12, exec_lo, s12
; %bb.3195:                             ;   in Loop: Header=BB6_3020 Depth=2
	v_cmp_lt_u32_e32 vcc_lo, 0xffffff, v49
	v_sub_nc_u32_e32 v3, v113, v116
	v_cndmask_b32_e64 v113, 0, 1, vcc_lo
	v_add_co_ci_u32_e64 v3, null, 0, v3, vcc_lo
	v_lshrrev_b32_e32 v49, v113, v49
; %bb.3196:                             ;   in Loop: Header=BB6_3020 Depth=2
	s_andn2_saveexec_b32 s12, s12
; %bb.3197:                             ;   in Loop: Header=BB6_3020 Depth=2
	v_bfe_u32 v3, v49, 23, 1
; %bb.3198:                             ;   in Loop: Header=BB6_3020 Depth=2
	s_or_b32 exec_lo, exec_lo, s12
	v_lshrrev_b32_e32 v49, 20, v49
	v_min_i32_e32 v113, 15, v3
	v_cmp_gt_i32_e32 vcc_lo, 16, v3
	v_and_b32_sdwa v2, v2, v119 dst_sel:DWORD dst_unused:UNUSED_PAD src0_sel:BYTE_3 src1_sel:DWORD
	v_lshlrev_b32_e32 v113, 3, v113
	v_cndmask_b32_e32 v49, 7, v49, vcc_lo
	v_and_b32_e32 v113, 0xf8, v113
	v_and_b32_e32 v116, 7, v49
	v_or_b32_e32 v3, v3, v49
	v_or3_b32 v2, v113, v2, v116
	v_cmp_ne_u32_e32 vcc_lo, 0, v3
	v_cndmask_b32_e32 v49, 0, v2, vcc_lo
.LBB6_3199:                             ;   in Loop: Header=BB6_3020 Depth=2
	s_or_b32 exec_lo, exec_lo, s27
.LBB6_3200:                             ;   in Loop: Header=BB6_3020 Depth=2
	s_or_b32 exec_lo, exec_lo, s26
	v_cmp_gt_i16_sdwa s26, v50, v115 src0_sel:BYTE_1 src1_sel:DWORD
	s_mov_b32 s12, 0
	s_and_saveexec_b32 s27, s26
	s_xor_b32 s26, exec_lo, s27
	s_cbranch_execz .LBB6_4334
; %bb.3201:                             ;   in Loop: Header=BB6_3020 Depth=2
	v_cmp_eq_u16_sdwa s28, v50, v119 src0_sel:BYTE_1 src1_sel:DWORD
	s_mov_b32 s12, -1
	s_and_saveexec_b32 s27, s28
; %bb.3202:                             ;   in Loop: Header=BB6_3020 Depth=2
	s_xor_b32 s12, exec_lo, -1
; %bb.3203:                             ;   in Loop: Header=BB6_3020 Depth=2
	s_or_b32 exec_lo, exec_lo, s27
	s_and_b32 s12, s12, exec_lo
	s_or_saveexec_b32 s26, s26
	v_mov_b32_e32 v2, 0x7f800001
	s_xor_b32 exec_lo, exec_lo, s26
	s_cbranch_execnz .LBB6_4335
.LBB6_3204:                             ;   in Loop: Header=BB6_3020 Depth=2
	s_or_b32 exec_lo, exec_lo, s26
	s_and_saveexec_b32 s26, s12
	s_cbranch_execz .LBB6_3206
.LBB6_3205:                             ;   in Loop: Header=BB6_3020 Depth=2
	v_and_b32_sdwa v2, v41, v50 dst_sel:DWORD dst_unused:UNUSED_PAD src0_sel:DWORD src1_sel:BYTE_1
	v_and_b32_e32 v3, 7, v2
	v_bfe_u32 v74, v2, 3, 4
	v_ffbh_u32_e32 v113, v3
	v_cmp_eq_u32_e32 vcc_lo, 0, v74
	v_min_u32_e32 v113, 32, v113
	v_subrev_nc_u32_e32 v116, 28, v113
	v_sub_nc_u32_e32 v113, 29, v113
	v_lshlrev_b32_e32 v2, v116, v2
	v_lshlrev_b32_sdwa v116, v47, v50 dst_sel:DWORD dst_unused:UNUSED_PAD src0_sel:DWORD src1_sel:BYTE_1
	v_cndmask_b32_e32 v113, v74, v113, vcc_lo
	v_and_b32_e32 v2, 7, v2
	v_lshl_add_u32 v113, v113, 23, 0x3b800000
	v_cndmask_b32_e32 v2, v3, v2, vcc_lo
	v_and_b32_e32 v3, 0x80000000, v116
	v_lshlrev_b32_e32 v2, 20, v2
	v_or3_b32 v2, v3, v113, v2
.LBB6_3206:                             ;   in Loop: Header=BB6_3020 Depth=2
	s_or_b32 exec_lo, exec_lo, s26
	v_cmp_gt_i16_sdwa s26, v38, v115 src0_sel:BYTE_1 src1_sel:DWORD
	s_mov_b32 s12, 0
	s_and_saveexec_b32 s27, s26
	s_xor_b32 s26, exec_lo, s27
	s_cbranch_execz .LBB6_4336
; %bb.3207:                             ;   in Loop: Header=BB6_3020 Depth=2
	v_cmp_eq_u16_sdwa s28, v38, v119 src0_sel:BYTE_1 src1_sel:DWORD
	s_mov_b32 s12, -1
	s_and_saveexec_b32 s27, s28
; %bb.3208:                             ;   in Loop: Header=BB6_3020 Depth=2
	s_xor_b32 s12, exec_lo, -1
; %bb.3209:                             ;   in Loop: Header=BB6_3020 Depth=2
	s_or_b32 exec_lo, exec_lo, s27
	s_and_b32 s12, s12, exec_lo
	s_or_saveexec_b32 s26, s26
	v_mov_b32_e32 v3, 0x7f800001
	s_xor_b32 exec_lo, exec_lo, s26
	s_cbranch_execnz .LBB6_4337
.LBB6_3210:                             ;   in Loop: Header=BB6_3020 Depth=2
	s_or_b32 exec_lo, exec_lo, s26
	s_and_saveexec_b32 s26, s12
	s_cbranch_execz .LBB6_3212
.LBB6_3211:                             ;   in Loop: Header=BB6_3020 Depth=2
	v_and_b32_sdwa v3, v41, v38 dst_sel:DWORD dst_unused:UNUSED_PAD src0_sel:DWORD src1_sel:BYTE_1
	v_and_b32_e32 v113, 7, v3
	v_bfe_u32 v75, v3, 3, 4
	v_ffbh_u32_e32 v116, v113
	v_cmp_eq_u32_e32 vcc_lo, 0, v75
	v_min_u32_e32 v116, 32, v116
	v_subrev_nc_u32_e32 v74, 28, v116
	v_sub_nc_u32_e32 v116, 29, v116
	v_lshlrev_b32_e32 v3, v74, v3
	v_lshlrev_b32_sdwa v74, v47, v38 dst_sel:DWORD dst_unused:UNUSED_PAD src0_sel:DWORD src1_sel:BYTE_1
	v_cndmask_b32_e32 v116, v75, v116, vcc_lo
	v_and_b32_e32 v3, 7, v3
	v_lshl_add_u32 v116, v116, 23, 0x3b800000
	v_cndmask_b32_e32 v3, v113, v3, vcc_lo
	v_and_b32_e32 v113, 0x80000000, v74
	v_lshlrev_b32_e32 v3, 20, v3
	v_or3_b32 v3, v113, v116, v3
.LBB6_3212:                             ;   in Loop: Header=BB6_3020 Depth=2
	s_or_b32 exec_lo, exec_lo, s26
	v_add_f32_e32 v2, v2, v3
	v_mov_b32_e32 v74, 0x8000
	s_mov_b32 s26, exec_lo
	v_and_b32_e32 v3, 0x7f800000, v2
	v_cmpx_ne_u32_e32 0x7f800000, v3
	s_cbranch_execz .LBB6_3220
; %bb.3213:                             ;   in Loop: Header=BB6_3020 Depth=2
	v_mov_b32_e32 v74, 0
	s_mov_b32 s27, exec_lo
	v_cmpx_ne_u32_e32 0, v2
	s_cbranch_execz .LBB6_3219
; %bb.3214:                             ;   in Loop: Header=BB6_3020 Depth=2
	v_bfe_u32 v3, v2, 23, 8
	v_and_b32_e32 v113, 0x7fffff, v2
	v_sub_nc_u32_e32 v116, 0x78, v3
	v_cmp_gt_u32_e32 vcc_lo, 0x79, v3
	v_or_b32_e32 v74, 0x800000, v113
	v_cndmask_b32_e32 v116, 0, v116, vcc_lo
	v_cmp_eq_u32_e32 vcc_lo, 0, v3
	v_add_nc_u32_e32 v3, 0xffffff89, v3
	v_cndmask_b32_e64 v116, v116, 0x77, vcc_lo
	v_cndmask_b32_e32 v113, v74, v113, vcc_lo
	v_cndmask_b32_e64 v3, v3, 0xffffff8a, vcc_lo
	v_lshl_add_u32 v75, 0x100000, v116, -1
	v_lshrrev_b32_e32 v74, v116, v113
	v_lshlrev_b32_e64 v77, v116, 0x80000
	v_and_b32_e32 v113, v75, v113
	v_bfe_u32 v76, v74, 20, 1
	v_cmp_eq_u32_e64 s12, v113, v77
	v_add_nc_u32_e32 v75, -1, v76
	v_lshrrev_b32_e32 v76, 23, v74
	v_cndmask_b32_e64 v113, 0, v75, s12
	s_mov_b32 s12, exec_lo
	v_add_nc_u32_e32 v75, v113, v74
	v_add_nc_u32_e32 v113, v116, v3
	v_xor_b32_e32 v116, 1, v76
	v_and_b32_e32 v3, 0xfffff, v75
	v_add_nc_u32_e32 v74, v3, v74
                                        ; implicit-def: $vgpr3
	v_cmpx_ne_u32_e64 v113, v116
	s_xor_b32 s12, exec_lo, s12
; %bb.3215:                             ;   in Loop: Header=BB6_3020 Depth=2
	v_cmp_lt_u32_e32 vcc_lo, 0xffffff, v74
	v_sub_nc_u32_e32 v3, v113, v116
	v_cndmask_b32_e64 v113, 0, 1, vcc_lo
	v_add_co_ci_u32_e64 v3, null, 0, v3, vcc_lo
	v_lshrrev_b32_e32 v74, v113, v74
; %bb.3216:                             ;   in Loop: Header=BB6_3020 Depth=2
	s_andn2_saveexec_b32 s12, s12
; %bb.3217:                             ;   in Loop: Header=BB6_3020 Depth=2
	v_bfe_u32 v3, v74, 23, 1
; %bb.3218:                             ;   in Loop: Header=BB6_3020 Depth=2
	s_or_b32 exec_lo, exec_lo, s12
	v_lshrrev_b32_e32 v113, 20, v74
	v_min_i32_e32 v116, 15, v3
	v_cmp_gt_i32_e32 vcc_lo, 16, v3
	v_and_b32_sdwa v2, v2, v119 dst_sel:DWORD dst_unused:UNUSED_PAD src0_sel:BYTE_3 src1_sel:DWORD
	v_lshlrev_b32_e32 v116, 3, v116
	v_cndmask_b32_e32 v113, 7, v113, vcc_lo
	v_and_b32_e32 v116, 0xf8, v116
	v_and_b32_e32 v74, 7, v113
	v_or_b32_e32 v3, v3, v113
	v_or3_b32 v2, v2, v116, v74
	v_cmp_ne_u32_e32 vcc_lo, 0, v3
	v_lshlrev_b32_e32 v2, 8, v2
	v_cndmask_b32_e32 v74, 0, v2, vcc_lo
.LBB6_3219:                             ;   in Loop: Header=BB6_3020 Depth=2
	s_or_b32 exec_lo, exec_lo, s27
.LBB6_3220:                             ;   in Loop: Header=BB6_3020 Depth=2
	s_or_b32 exec_lo, exec_lo, s26
	v_and_b32_sdwa v3, v50, v56 dst_sel:DWORD dst_unused:UNUSED_PAD src0_sel:WORD_1 src1_sel:DWORD
	s_mov_b32 s12, 0
	s_mov_b32 s26, exec_lo
	v_cmpx_lt_i16_e32 0x7f, v3
	s_xor_b32 s26, exec_lo, s26
	s_cbranch_execz .LBB6_4338
; %bb.3221:                             ;   in Loop: Header=BB6_3020 Depth=2
	s_mov_b32 s12, -1
	s_mov_b32 s27, exec_lo
	v_cmpx_eq_u16_e32 0x80, v3
; %bb.3222:                             ;   in Loop: Header=BB6_3020 Depth=2
	s_xor_b32 s12, exec_lo, -1
; %bb.3223:                             ;   in Loop: Header=BB6_3020 Depth=2
	s_or_b32 exec_lo, exec_lo, s27
	s_and_b32 s12, s12, exec_lo
                                        ; implicit-def: $vgpr3
	s_or_saveexec_b32 s26, s26
	v_mov_b32_e32 v2, 0x7f800001
	s_xor_b32 exec_lo, exec_lo, s26
	s_cbranch_execnz .LBB6_4339
.LBB6_3224:                             ;   in Loop: Header=BB6_3020 Depth=2
	s_or_b32 exec_lo, exec_lo, s26
	s_and_saveexec_b32 s26, s12
	s_cbranch_execz .LBB6_3226
.LBB6_3225:                             ;   in Loop: Header=BB6_3020 Depth=2
	v_bfe_u32 v2, v50, 16, 3
	v_bfe_u32 v116, v50, 19, 4
	v_lshlrev_b32_e32 v75, 8, v50
	v_ffbh_u32_e32 v3, v2
	v_cmp_eq_u32_e32 vcc_lo, 0, v116
	v_min_u32_e32 v3, 32, v3
	v_subrev_nc_u32_e32 v113, 28, v3
	v_sub_nc_u32_e32 v3, 29, v3
	v_lshlrev_b32_sdwa v113, v113, v50 dst_sel:DWORD dst_unused:UNUSED_PAD src0_sel:DWORD src1_sel:WORD_1
	v_cndmask_b32_e32 v3, v116, v3, vcc_lo
	v_and_b32_e32 v113, 7, v113
	v_lshl_add_u32 v3, v3, 23, 0x3b800000
	v_cndmask_b32_e32 v2, v2, v113, vcc_lo
	v_and_b32_e32 v113, 0x80000000, v75
	v_lshlrev_b32_e32 v2, 20, v2
	v_or3_b32 v2, v113, v3, v2
.LBB6_3226:                             ;   in Loop: Header=BB6_3020 Depth=2
	s_or_b32 exec_lo, exec_lo, s26
	v_and_b32_sdwa v113, v38, v56 dst_sel:DWORD dst_unused:UNUSED_PAD src0_sel:WORD_1 src1_sel:DWORD
	s_mov_b32 s12, 0
	s_mov_b32 s26, exec_lo
	v_cmpx_lt_i16_e32 0x7f, v113
	s_xor_b32 s26, exec_lo, s26
	s_cbranch_execz .LBB6_4340
; %bb.3227:                             ;   in Loop: Header=BB6_3020 Depth=2
	s_mov_b32 s12, -1
	s_mov_b32 s27, exec_lo
	v_cmpx_eq_u16_e32 0x80, v113
; %bb.3228:                             ;   in Loop: Header=BB6_3020 Depth=2
	s_xor_b32 s12, exec_lo, -1
; %bb.3229:                             ;   in Loop: Header=BB6_3020 Depth=2
	s_or_b32 exec_lo, exec_lo, s27
	s_and_b32 s12, s12, exec_lo
                                        ; implicit-def: $vgpr113
	s_or_saveexec_b32 s26, s26
	v_mov_b32_e32 v3, 0x7f800001
	s_xor_b32 exec_lo, exec_lo, s26
	s_cbranch_execnz .LBB6_4341
.LBB6_3230:                             ;   in Loop: Header=BB6_3020 Depth=2
	s_or_b32 exec_lo, exec_lo, s26
	s_and_saveexec_b32 s26, s12
	s_cbranch_execz .LBB6_3232
.LBB6_3231:                             ;   in Loop: Header=BB6_3020 Depth=2
	v_bfe_u32 v3, v38, 16, 3
	v_bfe_u32 v75, v38, 19, 4
	v_lshlrev_b32_e32 v76, 8, v38
	v_ffbh_u32_e32 v113, v3
	v_cmp_eq_u32_e32 vcc_lo, 0, v75
	v_min_u32_e32 v113, 32, v113
	v_subrev_nc_u32_e32 v116, 28, v113
	v_sub_nc_u32_e32 v113, 29, v113
	v_lshlrev_b32_sdwa v116, v116, v38 dst_sel:DWORD dst_unused:UNUSED_PAD src0_sel:DWORD src1_sel:WORD_1
	v_cndmask_b32_e32 v113, v75, v113, vcc_lo
	v_and_b32_e32 v116, 7, v116
	v_lshl_add_u32 v113, v113, 23, 0x3b800000
	v_cndmask_b32_e32 v3, v3, v116, vcc_lo
	v_and_b32_e32 v116, 0x80000000, v76
	v_lshlrev_b32_e32 v3, 20, v3
	v_or3_b32 v3, v116, v113, v3
.LBB6_3232:                             ;   in Loop: Header=BB6_3020 Depth=2
	s_or_b32 exec_lo, exec_lo, s26
	v_add_f32_e32 v2, v2, v3
	v_mov_b32_e32 v75, 0x80
	s_mov_b32 s26, exec_lo
	v_and_b32_e32 v3, 0x7f800000, v2
	v_cmpx_ne_u32_e32 0x7f800000, v3
	s_cbranch_execz .LBB6_3240
; %bb.3233:                             ;   in Loop: Header=BB6_3020 Depth=2
	v_mov_b32_e32 v75, 0
	s_mov_b32 s27, exec_lo
	v_cmpx_ne_u32_e32 0, v2
	s_cbranch_execz .LBB6_3239
; %bb.3234:                             ;   in Loop: Header=BB6_3020 Depth=2
	v_bfe_u32 v3, v2, 23, 8
	v_and_b32_e32 v113, 0x7fffff, v2
	v_sub_nc_u32_e32 v116, 0x78, v3
	v_cmp_gt_u32_e32 vcc_lo, 0x79, v3
	v_or_b32_e32 v75, 0x800000, v113
	v_cndmask_b32_e32 v116, 0, v116, vcc_lo
	v_cmp_eq_u32_e32 vcc_lo, 0, v3
	v_add_nc_u32_e32 v3, 0xffffff89, v3
	v_cndmask_b32_e64 v116, v116, 0x77, vcc_lo
	v_cndmask_b32_e32 v113, v75, v113, vcc_lo
	v_cndmask_b32_e64 v3, v3, 0xffffff8a, vcc_lo
	v_lshl_add_u32 v76, 0x100000, v116, -1
	v_lshrrev_b32_e32 v75, v116, v113
	v_lshlrev_b32_e64 v78, v116, 0x80000
	v_and_b32_e32 v113, v76, v113
	v_bfe_u32 v77, v75, 20, 1
	v_cmp_eq_u32_e64 s12, v113, v78
	v_add_nc_u32_e32 v76, -1, v77
	v_lshrrev_b32_e32 v77, 23, v75
	v_cndmask_b32_e64 v113, 0, v76, s12
	s_mov_b32 s12, exec_lo
	v_add_nc_u32_e32 v76, v113, v75
	v_add_nc_u32_e32 v113, v116, v3
	v_xor_b32_e32 v116, 1, v77
	v_and_b32_e32 v3, 0xfffff, v76
	v_add_nc_u32_e32 v75, v3, v75
                                        ; implicit-def: $vgpr3
	v_cmpx_ne_u32_e64 v113, v116
	s_xor_b32 s12, exec_lo, s12
; %bb.3235:                             ;   in Loop: Header=BB6_3020 Depth=2
	v_cmp_lt_u32_e32 vcc_lo, 0xffffff, v75
	v_sub_nc_u32_e32 v3, v113, v116
	v_cndmask_b32_e64 v113, 0, 1, vcc_lo
	v_add_co_ci_u32_e64 v3, null, 0, v3, vcc_lo
	v_lshrrev_b32_e32 v75, v113, v75
; %bb.3236:                             ;   in Loop: Header=BB6_3020 Depth=2
	s_andn2_saveexec_b32 s12, s12
; %bb.3237:                             ;   in Loop: Header=BB6_3020 Depth=2
	v_bfe_u32 v3, v75, 23, 1
; %bb.3238:                             ;   in Loop: Header=BB6_3020 Depth=2
	s_or_b32 exec_lo, exec_lo, s12
	v_lshrrev_b32_e32 v113, 20, v75
	v_min_i32_e32 v116, 15, v3
	v_cmp_gt_i32_e32 vcc_lo, 16, v3
	v_and_b32_sdwa v2, v2, v119 dst_sel:DWORD dst_unused:UNUSED_PAD src0_sel:BYTE_3 src1_sel:DWORD
	v_lshlrev_b32_e32 v116, 3, v116
	v_cndmask_b32_e32 v113, 7, v113, vcc_lo
	v_and_b32_e32 v116, 0xf8, v116
	v_and_b32_e32 v75, 7, v113
	v_or_b32_e32 v3, v3, v113
	v_or3_b32 v2, v116, v2, v75
	v_cmp_ne_u32_e32 vcc_lo, 0, v3
	v_cndmask_b32_e32 v75, 0, v2, vcc_lo
.LBB6_3239:                             ;   in Loop: Header=BB6_3020 Depth=2
	s_or_b32 exec_lo, exec_lo, s27
.LBB6_3240:                             ;   in Loop: Header=BB6_3020 Depth=2
	s_or_b32 exec_lo, exec_lo, s26
	v_cmp_gt_i16_sdwa s26, v50, v115 src0_sel:BYTE_3 src1_sel:DWORD
	s_mov_b32 s12, 0
	s_and_saveexec_b32 s27, s26
	s_xor_b32 s26, exec_lo, s27
	s_cbranch_execz .LBB6_4342
; %bb.3241:                             ;   in Loop: Header=BB6_3020 Depth=2
	v_cmp_eq_u16_sdwa s28, v50, v119 src0_sel:BYTE_3 src1_sel:DWORD
	s_mov_b32 s12, -1
	s_and_saveexec_b32 s27, s28
; %bb.3242:                             ;   in Loop: Header=BB6_3020 Depth=2
	s_xor_b32 s12, exec_lo, -1
; %bb.3243:                             ;   in Loop: Header=BB6_3020 Depth=2
	s_or_b32 exec_lo, exec_lo, s27
	s_and_b32 s12, s12, exec_lo
	s_or_saveexec_b32 s26, s26
	v_mov_b32_e32 v2, 0x7f800001
	s_xor_b32 exec_lo, exec_lo, s26
	s_cbranch_execnz .LBB6_4343
.LBB6_3244:                             ;   in Loop: Header=BB6_3020 Depth=2
	s_or_b32 exec_lo, exec_lo, s26
	s_and_saveexec_b32 s26, s12
	s_cbranch_execz .LBB6_3246
.LBB6_3245:                             ;   in Loop: Header=BB6_3020 Depth=2
	v_bfe_u32 v2, v50, 24, 3
	v_bfe_u32 v116, v50, 27, 4
	v_ffbh_u32_e32 v3, v2
	v_cmp_eq_u32_e32 vcc_lo, 0, v116
	v_min_u32_e32 v3, 32, v3
	v_subrev_nc_u32_e32 v113, 28, v3
	v_sub_nc_u32_e32 v3, 29, v3
	v_lshlrev_b32_sdwa v113, v113, v50 dst_sel:DWORD dst_unused:UNUSED_PAD src0_sel:DWORD src1_sel:BYTE_3
	v_cndmask_b32_e32 v3, v116, v3, vcc_lo
	v_and_b32_e32 v50, 0x80000000, v50
	v_and_b32_e32 v113, 7, v113
	v_lshl_add_u32 v3, v3, 23, 0x3b800000
	v_cndmask_b32_e32 v2, v2, v113, vcc_lo
	v_lshlrev_b32_e32 v2, 20, v2
	v_or3_b32 v2, v50, v3, v2
.LBB6_3246:                             ;   in Loop: Header=BB6_3020 Depth=2
	s_or_b32 exec_lo, exec_lo, s26
	v_cmp_gt_i16_sdwa s26, v38, v115 src0_sel:BYTE_3 src1_sel:DWORD
	s_mov_b32 s12, 0
	s_and_saveexec_b32 s27, s26
	s_xor_b32 s26, exec_lo, s27
	s_cbranch_execz .LBB6_4344
; %bb.3247:                             ;   in Loop: Header=BB6_3020 Depth=2
	v_cmp_eq_u16_sdwa s28, v38, v119 src0_sel:BYTE_3 src1_sel:DWORD
	s_mov_b32 s12, -1
	s_and_saveexec_b32 s27, s28
; %bb.3248:                             ;   in Loop: Header=BB6_3020 Depth=2
	s_xor_b32 s12, exec_lo, -1
; %bb.3249:                             ;   in Loop: Header=BB6_3020 Depth=2
	s_or_b32 exec_lo, exec_lo, s27
	s_and_b32 s12, s12, exec_lo
	s_or_saveexec_b32 s26, s26
	v_mov_b32_e32 v3, 0x7f800001
	s_xor_b32 exec_lo, exec_lo, s26
	s_cbranch_execnz .LBB6_4345
.LBB6_3250:                             ;   in Loop: Header=BB6_3020 Depth=2
	s_or_b32 exec_lo, exec_lo, s26
	s_and_saveexec_b32 s26, s12
	s_cbranch_execz .LBB6_3252
.LBB6_3251:                             ;   in Loop: Header=BB6_3020 Depth=2
	v_bfe_u32 v3, v38, 24, 3
	v_bfe_u32 v116, v38, 27, 4
	v_ffbh_u32_e32 v50, v3
	v_cmp_eq_u32_e32 vcc_lo, 0, v116
	v_min_u32_e32 v50, 32, v50
	v_subrev_nc_u32_e32 v113, 28, v50
	v_sub_nc_u32_e32 v50, 29, v50
	v_lshlrev_b32_sdwa v113, v113, v38 dst_sel:DWORD dst_unused:UNUSED_PAD src0_sel:DWORD src1_sel:BYTE_3
	v_cndmask_b32_e32 v50, v116, v50, vcc_lo
	v_and_b32_e32 v38, 0x80000000, v38
	v_and_b32_e32 v113, 7, v113
	v_lshl_add_u32 v50, v50, 23, 0x3b800000
	v_cndmask_b32_e32 v3, v3, v113, vcc_lo
	v_lshlrev_b32_e32 v3, 20, v3
	v_or3_b32 v3, v38, v50, v3
.LBB6_3252:                             ;   in Loop: Header=BB6_3020 Depth=2
	s_or_b32 exec_lo, exec_lo, s26
	v_add_f32_e32 v2, v2, v3
	v_mov_b32_e32 v38, 0x8000
	s_mov_b32 s26, exec_lo
	v_and_b32_e32 v3, 0x7f800000, v2
	v_cmpx_ne_u32_e32 0x7f800000, v3
	s_cbranch_execz .LBB6_3260
; %bb.3253:                             ;   in Loop: Header=BB6_3020 Depth=2
	v_mov_b32_e32 v38, 0
	s_mov_b32 s27, exec_lo
	v_cmpx_ne_u32_e32 0, v2
	s_cbranch_execz .LBB6_3259
; %bb.3254:                             ;   in Loop: Header=BB6_3020 Depth=2
	v_bfe_u32 v3, v2, 23, 8
	v_and_b32_e32 v38, 0x7fffff, v2
	v_sub_nc_u32_e32 v50, 0x78, v3
	v_cmp_gt_u32_e32 vcc_lo, 0x79, v3
	v_or_b32_e32 v113, 0x800000, v38
	v_cndmask_b32_e32 v50, 0, v50, vcc_lo
	v_cmp_eq_u32_e32 vcc_lo, 0, v3
	v_add_nc_u32_e32 v3, 0xffffff89, v3
	v_cndmask_b32_e64 v50, v50, 0x77, vcc_lo
	v_cndmask_b32_e32 v38, v113, v38, vcc_lo
	v_cndmask_b32_e64 v3, v3, 0xffffff8a, vcc_lo
	v_lshl_add_u32 v113, 0x100000, v50, -1
	v_lshrrev_b32_e32 v116, v50, v38
	v_lshlrev_b32_e64 v77, v50, 0x80000
	v_add_nc_u32_e32 v50, v50, v3
	v_and_b32_e32 v38, v113, v38
	v_bfe_u32 v76, v116, 20, 1
	v_cmp_eq_u32_e64 s12, v38, v77
	v_add_nc_u32_e32 v113, -1, v76
	v_cndmask_b32_e64 v38, 0, v113, s12
	v_lshrrev_b32_e32 v113, 23, v116
	s_mov_b32 s12, exec_lo
	v_add_nc_u32_e32 v38, v38, v116
	v_xor_b32_e32 v113, 1, v113
	v_and_b32_e32 v3, 0xfffff, v38
	v_add_nc_u32_e32 v38, v3, v116
                                        ; implicit-def: $vgpr3
	v_cmpx_ne_u32_e64 v50, v113
	s_xor_b32 s12, exec_lo, s12
; %bb.3255:                             ;   in Loop: Header=BB6_3020 Depth=2
	v_cmp_lt_u32_e32 vcc_lo, 0xffffff, v38
	v_sub_nc_u32_e32 v3, v50, v113
	v_cndmask_b32_e64 v50, 0, 1, vcc_lo
	v_add_co_ci_u32_e64 v3, null, 0, v3, vcc_lo
	v_lshrrev_b32_e32 v38, v50, v38
; %bb.3256:                             ;   in Loop: Header=BB6_3020 Depth=2
	s_andn2_saveexec_b32 s12, s12
; %bb.3257:                             ;   in Loop: Header=BB6_3020 Depth=2
	v_bfe_u32 v3, v38, 23, 1
; %bb.3258:                             ;   in Loop: Header=BB6_3020 Depth=2
	s_or_b32 exec_lo, exec_lo, s12
	v_lshrrev_b32_e32 v38, 20, v38
	v_min_i32_e32 v50, 15, v3
	v_cmp_gt_i32_e32 vcc_lo, 16, v3
	v_and_b32_sdwa v2, v2, v119 dst_sel:DWORD dst_unused:UNUSED_PAD src0_sel:BYTE_3 src1_sel:DWORD
	v_lshlrev_b32_e32 v50, 3, v50
	v_cndmask_b32_e32 v38, 7, v38, vcc_lo
	v_and_b32_e32 v50, 0xf8, v50
	v_and_b32_e32 v113, 7, v38
	v_or_b32_e32 v3, v3, v38
	v_or3_b32 v2, v2, v50, v113
	v_cmp_ne_u32_e32 vcc_lo, 0, v3
	v_lshlrev_b32_e32 v2, 8, v2
	v_cndmask_b32_e32 v38, 0, v2, vcc_lo
.LBB6_3259:                             ;   in Loop: Header=BB6_3020 Depth=2
	s_or_b32 exec_lo, exec_lo, s27
.LBB6_3260:                             ;   in Loop: Header=BB6_3020 Depth=2
	s_or_b32 exec_lo, exec_lo, s26
	v_cmp_gt_i16_sdwa s26, v51, v115 src0_sel:BYTE_0 src1_sel:DWORD
	s_mov_b32 s12, 0
	s_and_saveexec_b32 s27, s26
	s_xor_b32 s26, exec_lo, s27
	s_cbranch_execz .LBB6_4346
; %bb.3261:                             ;   in Loop: Header=BB6_3020 Depth=2
	v_cmp_eq_u16_sdwa s28, v51, v119 src0_sel:BYTE_0 src1_sel:DWORD
	s_mov_b32 s12, -1
	s_and_saveexec_b32 s27, s28
; %bb.3262:                             ;   in Loop: Header=BB6_3020 Depth=2
	s_xor_b32 s12, exec_lo, -1
; %bb.3263:                             ;   in Loop: Header=BB6_3020 Depth=2
	s_or_b32 exec_lo, exec_lo, s27
	s_and_b32 s12, s12, exec_lo
	s_or_saveexec_b32 s26, s26
	v_mov_b32_e32 v2, 0x7f800001
	s_xor_b32 exec_lo, exec_lo, s26
	s_cbranch_execnz .LBB6_4347
.LBB6_3264:                             ;   in Loop: Header=BB6_3020 Depth=2
	s_or_b32 exec_lo, exec_lo, s26
	s_and_saveexec_b32 s26, s12
	s_cbranch_execz .LBB6_3266
.LBB6_3265:                             ;   in Loop: Header=BB6_3020 Depth=2
	v_and_b32_e32 v2, 7, v51
	v_bfe_u32 v113, v51, 3, 4
	v_lshlrev_b32_e32 v116, 24, v51
	v_ffbh_u32_e32 v3, v2
	v_cmp_eq_u32_e32 vcc_lo, 0, v113
	v_min_u32_e32 v3, 32, v3
	v_subrev_nc_u32_e32 v50, 28, v3
	v_sub_nc_u32_e32 v3, 29, v3
	v_lshlrev_b32_e32 v50, v50, v51
	v_cndmask_b32_e32 v3, v113, v3, vcc_lo
	v_and_b32_e32 v50, 7, v50
	v_lshl_add_u32 v3, v3, 23, 0x3b800000
	v_cndmask_b32_e32 v2, v2, v50, vcc_lo
	v_and_b32_e32 v50, 0x80000000, v116
	v_lshlrev_b32_e32 v2, 20, v2
	v_or3_b32 v2, v50, v3, v2
.LBB6_3266:                             ;   in Loop: Header=BB6_3020 Depth=2
	s_or_b32 exec_lo, exec_lo, s26
	v_cmp_gt_i16_sdwa s26, v39, v115 src0_sel:BYTE_0 src1_sel:DWORD
	s_mov_b32 s12, 0
	s_and_saveexec_b32 s27, s26
	s_xor_b32 s26, exec_lo, s27
	s_cbranch_execz .LBB6_4348
; %bb.3267:                             ;   in Loop: Header=BB6_3020 Depth=2
	v_cmp_eq_u16_sdwa s28, v39, v119 src0_sel:BYTE_0 src1_sel:DWORD
	s_mov_b32 s12, -1
	s_and_saveexec_b32 s27, s28
; %bb.3268:                             ;   in Loop: Header=BB6_3020 Depth=2
	s_xor_b32 s12, exec_lo, -1
; %bb.3269:                             ;   in Loop: Header=BB6_3020 Depth=2
	s_or_b32 exec_lo, exec_lo, s27
	s_and_b32 s12, s12, exec_lo
	s_or_saveexec_b32 s26, s26
	v_mov_b32_e32 v3, 0x7f800001
	s_xor_b32 exec_lo, exec_lo, s26
	s_cbranch_execnz .LBB6_4349
.LBB6_3270:                             ;   in Loop: Header=BB6_3020 Depth=2
	s_or_b32 exec_lo, exec_lo, s26
	s_and_saveexec_b32 s26, s12
	s_cbranch_execz .LBB6_3272
.LBB6_3271:                             ;   in Loop: Header=BB6_3020 Depth=2
	v_and_b32_e32 v3, 7, v39
	v_bfe_u32 v116, v39, 3, 4
	v_lshlrev_b32_e32 v76, 24, v39
	v_ffbh_u32_e32 v50, v3
	v_cmp_eq_u32_e32 vcc_lo, 0, v116
	v_min_u32_e32 v50, 32, v50
	v_subrev_nc_u32_e32 v113, 28, v50
	v_sub_nc_u32_e32 v50, 29, v50
	v_lshlrev_b32_e32 v113, v113, v39
	v_cndmask_b32_e32 v50, v116, v50, vcc_lo
	v_and_b32_e32 v113, 7, v113
	v_lshl_add_u32 v50, v50, 23, 0x3b800000
	v_cndmask_b32_e32 v3, v3, v113, vcc_lo
	v_and_b32_e32 v113, 0x80000000, v76
	v_lshlrev_b32_e32 v3, 20, v3
	v_or3_b32 v3, v113, v50, v3
.LBB6_3272:                             ;   in Loop: Header=BB6_3020 Depth=2
	s_or_b32 exec_lo, exec_lo, s26
	v_add_f32_e32 v2, v2, v3
	v_mov_b32_e32 v50, 0x80
	s_mov_b32 s26, exec_lo
	v_and_b32_e32 v3, 0x7f800000, v2
	v_cmpx_ne_u32_e32 0x7f800000, v3
	s_cbranch_execz .LBB6_3280
; %bb.3273:                             ;   in Loop: Header=BB6_3020 Depth=2
	v_mov_b32_e32 v50, 0
	s_mov_b32 s27, exec_lo
	v_cmpx_ne_u32_e32 0, v2
	s_cbranch_execz .LBB6_3279
; %bb.3274:                             ;   in Loop: Header=BB6_3020 Depth=2
	v_bfe_u32 v3, v2, 23, 8
	v_and_b32_e32 v50, 0x7fffff, v2
	v_sub_nc_u32_e32 v113, 0x78, v3
	v_cmp_gt_u32_e32 vcc_lo, 0x79, v3
	v_or_b32_e32 v116, 0x800000, v50
	v_cndmask_b32_e32 v113, 0, v113, vcc_lo
	v_cmp_eq_u32_e32 vcc_lo, 0, v3
	v_add_nc_u32_e32 v3, 0xffffff89, v3
	v_cndmask_b32_e64 v113, v113, 0x77, vcc_lo
	v_cndmask_b32_e32 v50, v116, v50, vcc_lo
	v_cndmask_b32_e64 v3, v3, 0xffffff8a, vcc_lo
	v_lshl_add_u32 v116, 0x100000, v113, -1
	v_lshrrev_b32_e32 v76, v113, v50
	v_lshlrev_b32_e64 v78, v113, 0x80000
	v_add_nc_u32_e32 v113, v113, v3
	v_and_b32_e32 v50, v116, v50
	v_bfe_u32 v77, v76, 20, 1
	v_cmp_eq_u32_e64 s12, v50, v78
	v_add_nc_u32_e32 v116, -1, v77
	v_cndmask_b32_e64 v50, 0, v116, s12
	v_lshrrev_b32_e32 v116, 23, v76
	s_mov_b32 s12, exec_lo
	v_add_nc_u32_e32 v50, v50, v76
	v_xor_b32_e32 v116, 1, v116
	v_and_b32_e32 v3, 0xfffff, v50
	v_add_nc_u32_e32 v50, v3, v76
                                        ; implicit-def: $vgpr3
	v_cmpx_ne_u32_e64 v113, v116
	s_xor_b32 s12, exec_lo, s12
; %bb.3275:                             ;   in Loop: Header=BB6_3020 Depth=2
	v_cmp_lt_u32_e32 vcc_lo, 0xffffff, v50
	v_sub_nc_u32_e32 v3, v113, v116
	v_cndmask_b32_e64 v113, 0, 1, vcc_lo
	v_add_co_ci_u32_e64 v3, null, 0, v3, vcc_lo
	v_lshrrev_b32_e32 v50, v113, v50
; %bb.3276:                             ;   in Loop: Header=BB6_3020 Depth=2
	s_andn2_saveexec_b32 s12, s12
; %bb.3277:                             ;   in Loop: Header=BB6_3020 Depth=2
	v_bfe_u32 v3, v50, 23, 1
; %bb.3278:                             ;   in Loop: Header=BB6_3020 Depth=2
	s_or_b32 exec_lo, exec_lo, s12
	v_lshrrev_b32_e32 v50, 20, v50
	v_min_i32_e32 v113, 15, v3
	v_cmp_gt_i32_e32 vcc_lo, 16, v3
	v_and_b32_sdwa v2, v2, v119 dst_sel:DWORD dst_unused:UNUSED_PAD src0_sel:BYTE_3 src1_sel:DWORD
	v_lshlrev_b32_e32 v113, 3, v113
	v_cndmask_b32_e32 v50, 7, v50, vcc_lo
	v_and_b32_e32 v113, 0xf8, v113
	v_and_b32_e32 v116, 7, v50
	v_or_b32_e32 v3, v3, v50
	v_or3_b32 v2, v113, v2, v116
	v_cmp_ne_u32_e32 vcc_lo, 0, v3
	v_cndmask_b32_e32 v50, 0, v2, vcc_lo
.LBB6_3279:                             ;   in Loop: Header=BB6_3020 Depth=2
	s_or_b32 exec_lo, exec_lo, s27
.LBB6_3280:                             ;   in Loop: Header=BB6_3020 Depth=2
	s_or_b32 exec_lo, exec_lo, s26
	v_cmp_gt_i16_sdwa s26, v51, v115 src0_sel:BYTE_1 src1_sel:DWORD
	s_mov_b32 s12, 0
	s_and_saveexec_b32 s27, s26
	s_xor_b32 s26, exec_lo, s27
	s_cbranch_execz .LBB6_4350
; %bb.3281:                             ;   in Loop: Header=BB6_3020 Depth=2
	v_cmp_eq_u16_sdwa s28, v51, v119 src0_sel:BYTE_1 src1_sel:DWORD
	s_mov_b32 s12, -1
	s_and_saveexec_b32 s27, s28
; %bb.3282:                             ;   in Loop: Header=BB6_3020 Depth=2
	s_xor_b32 s12, exec_lo, -1
; %bb.3283:                             ;   in Loop: Header=BB6_3020 Depth=2
	s_or_b32 exec_lo, exec_lo, s27
	s_and_b32 s12, s12, exec_lo
	s_or_saveexec_b32 s26, s26
	v_mov_b32_e32 v2, 0x7f800001
	s_xor_b32 exec_lo, exec_lo, s26
	s_cbranch_execnz .LBB6_4351
.LBB6_3284:                             ;   in Loop: Header=BB6_3020 Depth=2
	s_or_b32 exec_lo, exec_lo, s26
	s_and_saveexec_b32 s26, s12
	s_cbranch_execz .LBB6_3286
.LBB6_3285:                             ;   in Loop: Header=BB6_3020 Depth=2
	v_and_b32_sdwa v2, v41, v51 dst_sel:DWORD dst_unused:UNUSED_PAD src0_sel:DWORD src1_sel:BYTE_1
	v_and_b32_e32 v3, 7, v2
	v_bfe_u32 v76, v2, 3, 4
	v_ffbh_u32_e32 v113, v3
	v_cmp_eq_u32_e32 vcc_lo, 0, v76
	v_min_u32_e32 v113, 32, v113
	v_subrev_nc_u32_e32 v116, 28, v113
	v_sub_nc_u32_e32 v113, 29, v113
	v_lshlrev_b32_e32 v2, v116, v2
	v_lshlrev_b32_sdwa v116, v47, v51 dst_sel:DWORD dst_unused:UNUSED_PAD src0_sel:DWORD src1_sel:BYTE_1
	v_cndmask_b32_e32 v113, v76, v113, vcc_lo
	v_and_b32_e32 v2, 7, v2
	v_lshl_add_u32 v113, v113, 23, 0x3b800000
	v_cndmask_b32_e32 v2, v3, v2, vcc_lo
	v_and_b32_e32 v3, 0x80000000, v116
	v_lshlrev_b32_e32 v2, 20, v2
	v_or3_b32 v2, v3, v113, v2
.LBB6_3286:                             ;   in Loop: Header=BB6_3020 Depth=2
	s_or_b32 exec_lo, exec_lo, s26
	v_cmp_gt_i16_sdwa s26, v39, v115 src0_sel:BYTE_1 src1_sel:DWORD
	s_mov_b32 s12, 0
	s_and_saveexec_b32 s27, s26
	s_xor_b32 s26, exec_lo, s27
	s_cbranch_execz .LBB6_4352
; %bb.3287:                             ;   in Loop: Header=BB6_3020 Depth=2
	v_cmp_eq_u16_sdwa s28, v39, v119 src0_sel:BYTE_1 src1_sel:DWORD
	s_mov_b32 s12, -1
	s_and_saveexec_b32 s27, s28
; %bb.3288:                             ;   in Loop: Header=BB6_3020 Depth=2
	s_xor_b32 s12, exec_lo, -1
; %bb.3289:                             ;   in Loop: Header=BB6_3020 Depth=2
	s_or_b32 exec_lo, exec_lo, s27
	s_and_b32 s12, s12, exec_lo
	s_or_saveexec_b32 s26, s26
	v_mov_b32_e32 v3, 0x7f800001
	s_xor_b32 exec_lo, exec_lo, s26
	s_cbranch_execnz .LBB6_4353
.LBB6_3290:                             ;   in Loop: Header=BB6_3020 Depth=2
	s_or_b32 exec_lo, exec_lo, s26
	s_and_saveexec_b32 s26, s12
	s_cbranch_execz .LBB6_3292
.LBB6_3291:                             ;   in Loop: Header=BB6_3020 Depth=2
	v_and_b32_sdwa v3, v41, v39 dst_sel:DWORD dst_unused:UNUSED_PAD src0_sel:DWORD src1_sel:BYTE_1
	v_and_b32_e32 v113, 7, v3
	v_bfe_u32 v77, v3, 3, 4
	v_ffbh_u32_e32 v116, v113
	v_cmp_eq_u32_e32 vcc_lo, 0, v77
	v_min_u32_e32 v116, 32, v116
	v_subrev_nc_u32_e32 v76, 28, v116
	v_sub_nc_u32_e32 v116, 29, v116
	v_lshlrev_b32_e32 v3, v76, v3
	v_lshlrev_b32_sdwa v76, v47, v39 dst_sel:DWORD dst_unused:UNUSED_PAD src0_sel:DWORD src1_sel:BYTE_1
	v_cndmask_b32_e32 v116, v77, v116, vcc_lo
	v_and_b32_e32 v3, 7, v3
	v_lshl_add_u32 v116, v116, 23, 0x3b800000
	v_cndmask_b32_e32 v3, v113, v3, vcc_lo
	v_and_b32_e32 v113, 0x80000000, v76
	v_lshlrev_b32_e32 v3, 20, v3
	v_or3_b32 v3, v113, v116, v3
.LBB6_3292:                             ;   in Loop: Header=BB6_3020 Depth=2
	s_or_b32 exec_lo, exec_lo, s26
	v_add_f32_e32 v2, v2, v3
	v_mov_b32_e32 v76, 0x8000
	s_mov_b32 s26, exec_lo
	v_and_b32_e32 v3, 0x7f800000, v2
	v_cmpx_ne_u32_e32 0x7f800000, v3
	s_cbranch_execz .LBB6_3300
; %bb.3293:                             ;   in Loop: Header=BB6_3020 Depth=2
	v_mov_b32_e32 v76, 0
	s_mov_b32 s27, exec_lo
	v_cmpx_ne_u32_e32 0, v2
	s_cbranch_execz .LBB6_3299
; %bb.3294:                             ;   in Loop: Header=BB6_3020 Depth=2
	v_bfe_u32 v3, v2, 23, 8
	v_and_b32_e32 v113, 0x7fffff, v2
	v_sub_nc_u32_e32 v116, 0x78, v3
	v_cmp_gt_u32_e32 vcc_lo, 0x79, v3
	v_or_b32_e32 v76, 0x800000, v113
	v_cndmask_b32_e32 v116, 0, v116, vcc_lo
	v_cmp_eq_u32_e32 vcc_lo, 0, v3
	v_add_nc_u32_e32 v3, 0xffffff89, v3
	v_cndmask_b32_e64 v116, v116, 0x77, vcc_lo
	v_cndmask_b32_e32 v113, v76, v113, vcc_lo
	v_cndmask_b32_e64 v3, v3, 0xffffff8a, vcc_lo
	v_lshl_add_u32 v77, 0x100000, v116, -1
	v_lshrrev_b32_e32 v76, v116, v113
	v_lshlrev_b32_e64 v79, v116, 0x80000
	v_and_b32_e32 v113, v77, v113
	v_bfe_u32 v78, v76, 20, 1
	v_cmp_eq_u32_e64 s12, v113, v79
	v_add_nc_u32_e32 v77, -1, v78
	v_lshrrev_b32_e32 v78, 23, v76
	v_cndmask_b32_e64 v113, 0, v77, s12
	s_mov_b32 s12, exec_lo
	v_add_nc_u32_e32 v77, v113, v76
	v_add_nc_u32_e32 v113, v116, v3
	v_xor_b32_e32 v116, 1, v78
	v_and_b32_e32 v3, 0xfffff, v77
	v_add_nc_u32_e32 v76, v3, v76
                                        ; implicit-def: $vgpr3
	v_cmpx_ne_u32_e64 v113, v116
	s_xor_b32 s12, exec_lo, s12
; %bb.3295:                             ;   in Loop: Header=BB6_3020 Depth=2
	v_cmp_lt_u32_e32 vcc_lo, 0xffffff, v76
	v_sub_nc_u32_e32 v3, v113, v116
	v_cndmask_b32_e64 v113, 0, 1, vcc_lo
	v_add_co_ci_u32_e64 v3, null, 0, v3, vcc_lo
	v_lshrrev_b32_e32 v76, v113, v76
; %bb.3296:                             ;   in Loop: Header=BB6_3020 Depth=2
	s_andn2_saveexec_b32 s12, s12
; %bb.3297:                             ;   in Loop: Header=BB6_3020 Depth=2
	v_bfe_u32 v3, v76, 23, 1
; %bb.3298:                             ;   in Loop: Header=BB6_3020 Depth=2
	s_or_b32 exec_lo, exec_lo, s12
	v_lshrrev_b32_e32 v113, 20, v76
	v_min_i32_e32 v116, 15, v3
	v_cmp_gt_i32_e32 vcc_lo, 16, v3
	v_and_b32_sdwa v2, v2, v119 dst_sel:DWORD dst_unused:UNUSED_PAD src0_sel:BYTE_3 src1_sel:DWORD
	v_lshlrev_b32_e32 v116, 3, v116
	v_cndmask_b32_e32 v113, 7, v113, vcc_lo
	v_and_b32_e32 v116, 0xf8, v116
	v_and_b32_e32 v76, 7, v113
	v_or_b32_e32 v3, v3, v113
	v_or3_b32 v2, v2, v116, v76
	v_cmp_ne_u32_e32 vcc_lo, 0, v3
	v_lshlrev_b32_e32 v2, 8, v2
	v_cndmask_b32_e32 v76, 0, v2, vcc_lo
.LBB6_3299:                             ;   in Loop: Header=BB6_3020 Depth=2
	s_or_b32 exec_lo, exec_lo, s27
.LBB6_3300:                             ;   in Loop: Header=BB6_3020 Depth=2
	s_or_b32 exec_lo, exec_lo, s26
	v_and_b32_sdwa v3, v51, v56 dst_sel:DWORD dst_unused:UNUSED_PAD src0_sel:WORD_1 src1_sel:DWORD
	s_mov_b32 s12, 0
	s_mov_b32 s26, exec_lo
	v_cmpx_lt_i16_e32 0x7f, v3
	s_xor_b32 s26, exec_lo, s26
	s_cbranch_execz .LBB6_4354
; %bb.3301:                             ;   in Loop: Header=BB6_3020 Depth=2
	s_mov_b32 s12, -1
	s_mov_b32 s27, exec_lo
	v_cmpx_eq_u16_e32 0x80, v3
; %bb.3302:                             ;   in Loop: Header=BB6_3020 Depth=2
	s_xor_b32 s12, exec_lo, -1
; %bb.3303:                             ;   in Loop: Header=BB6_3020 Depth=2
	s_or_b32 exec_lo, exec_lo, s27
	s_and_b32 s12, s12, exec_lo
                                        ; implicit-def: $vgpr3
	s_or_saveexec_b32 s26, s26
	v_mov_b32_e32 v2, 0x7f800001
	s_xor_b32 exec_lo, exec_lo, s26
	s_cbranch_execnz .LBB6_4355
.LBB6_3304:                             ;   in Loop: Header=BB6_3020 Depth=2
	s_or_b32 exec_lo, exec_lo, s26
	s_and_saveexec_b32 s26, s12
	s_cbranch_execz .LBB6_3306
.LBB6_3305:                             ;   in Loop: Header=BB6_3020 Depth=2
	v_bfe_u32 v2, v51, 16, 3
	v_bfe_u32 v116, v51, 19, 4
	v_lshlrev_b32_e32 v77, 8, v51
	v_ffbh_u32_e32 v3, v2
	v_cmp_eq_u32_e32 vcc_lo, 0, v116
	v_min_u32_e32 v3, 32, v3
	v_subrev_nc_u32_e32 v113, 28, v3
	v_sub_nc_u32_e32 v3, 29, v3
	v_lshlrev_b32_sdwa v113, v113, v51 dst_sel:DWORD dst_unused:UNUSED_PAD src0_sel:DWORD src1_sel:WORD_1
	v_cndmask_b32_e32 v3, v116, v3, vcc_lo
	v_and_b32_e32 v113, 7, v113
	v_lshl_add_u32 v3, v3, 23, 0x3b800000
	v_cndmask_b32_e32 v2, v2, v113, vcc_lo
	v_and_b32_e32 v113, 0x80000000, v77
	v_lshlrev_b32_e32 v2, 20, v2
	v_or3_b32 v2, v113, v3, v2
.LBB6_3306:                             ;   in Loop: Header=BB6_3020 Depth=2
	s_or_b32 exec_lo, exec_lo, s26
	v_and_b32_sdwa v113, v39, v56 dst_sel:DWORD dst_unused:UNUSED_PAD src0_sel:WORD_1 src1_sel:DWORD
	s_mov_b32 s12, 0
	s_mov_b32 s26, exec_lo
	v_cmpx_lt_i16_e32 0x7f, v113
	s_xor_b32 s26, exec_lo, s26
	s_cbranch_execz .LBB6_4356
; %bb.3307:                             ;   in Loop: Header=BB6_3020 Depth=2
	s_mov_b32 s12, -1
	s_mov_b32 s27, exec_lo
	v_cmpx_eq_u16_e32 0x80, v113
; %bb.3308:                             ;   in Loop: Header=BB6_3020 Depth=2
	s_xor_b32 s12, exec_lo, -1
; %bb.3309:                             ;   in Loop: Header=BB6_3020 Depth=2
	s_or_b32 exec_lo, exec_lo, s27
	s_and_b32 s12, s12, exec_lo
                                        ; implicit-def: $vgpr113
	s_or_saveexec_b32 s26, s26
	v_mov_b32_e32 v3, 0x7f800001
	s_xor_b32 exec_lo, exec_lo, s26
	s_cbranch_execnz .LBB6_4357
.LBB6_3310:                             ;   in Loop: Header=BB6_3020 Depth=2
	s_or_b32 exec_lo, exec_lo, s26
	s_and_saveexec_b32 s26, s12
	s_cbranch_execz .LBB6_3312
.LBB6_3311:                             ;   in Loop: Header=BB6_3020 Depth=2
	v_bfe_u32 v3, v39, 16, 3
	v_bfe_u32 v77, v39, 19, 4
	v_lshlrev_b32_e32 v78, 8, v39
	v_ffbh_u32_e32 v113, v3
	v_cmp_eq_u32_e32 vcc_lo, 0, v77
	v_min_u32_e32 v113, 32, v113
	v_subrev_nc_u32_e32 v116, 28, v113
	v_sub_nc_u32_e32 v113, 29, v113
	v_lshlrev_b32_sdwa v116, v116, v39 dst_sel:DWORD dst_unused:UNUSED_PAD src0_sel:DWORD src1_sel:WORD_1
	v_cndmask_b32_e32 v113, v77, v113, vcc_lo
	v_and_b32_e32 v116, 7, v116
	v_lshl_add_u32 v113, v113, 23, 0x3b800000
	v_cndmask_b32_e32 v3, v3, v116, vcc_lo
	v_and_b32_e32 v116, 0x80000000, v78
	v_lshlrev_b32_e32 v3, 20, v3
	v_or3_b32 v3, v116, v113, v3
.LBB6_3312:                             ;   in Loop: Header=BB6_3020 Depth=2
	s_or_b32 exec_lo, exec_lo, s26
	v_add_f32_e32 v2, v2, v3
	v_mov_b32_e32 v77, 0x80
	s_mov_b32 s26, exec_lo
	v_and_b32_e32 v3, 0x7f800000, v2
	v_cmpx_ne_u32_e32 0x7f800000, v3
	s_cbranch_execz .LBB6_3320
; %bb.3313:                             ;   in Loop: Header=BB6_3020 Depth=2
	v_mov_b32_e32 v77, 0
	s_mov_b32 s27, exec_lo
	v_cmpx_ne_u32_e32 0, v2
	s_cbranch_execz .LBB6_3319
; %bb.3314:                             ;   in Loop: Header=BB6_3020 Depth=2
	v_bfe_u32 v3, v2, 23, 8
	v_and_b32_e32 v113, 0x7fffff, v2
	v_sub_nc_u32_e32 v116, 0x78, v3
	v_cmp_gt_u32_e32 vcc_lo, 0x79, v3
	v_or_b32_e32 v77, 0x800000, v113
	v_cndmask_b32_e32 v116, 0, v116, vcc_lo
	v_cmp_eq_u32_e32 vcc_lo, 0, v3
	v_add_nc_u32_e32 v3, 0xffffff89, v3
	v_cndmask_b32_e64 v116, v116, 0x77, vcc_lo
	v_cndmask_b32_e32 v113, v77, v113, vcc_lo
	v_cndmask_b32_e64 v3, v3, 0xffffff8a, vcc_lo
	v_lshl_add_u32 v78, 0x100000, v116, -1
	v_lshrrev_b32_e32 v77, v116, v113
	v_lshlrev_b32_e64 v88, v116, 0x80000
	v_and_b32_e32 v113, v78, v113
	v_bfe_u32 v79, v77, 20, 1
	v_cmp_eq_u32_e64 s12, v113, v88
	v_add_nc_u32_e32 v78, -1, v79
	v_lshrrev_b32_e32 v79, 23, v77
	v_cndmask_b32_e64 v113, 0, v78, s12
	s_mov_b32 s12, exec_lo
	v_add_nc_u32_e32 v78, v113, v77
	v_add_nc_u32_e32 v113, v116, v3
	v_xor_b32_e32 v116, 1, v79
	v_and_b32_e32 v3, 0xfffff, v78
	v_add_nc_u32_e32 v77, v3, v77
                                        ; implicit-def: $vgpr3
	v_cmpx_ne_u32_e64 v113, v116
	s_xor_b32 s12, exec_lo, s12
; %bb.3315:                             ;   in Loop: Header=BB6_3020 Depth=2
	v_cmp_lt_u32_e32 vcc_lo, 0xffffff, v77
	v_sub_nc_u32_e32 v3, v113, v116
	v_cndmask_b32_e64 v113, 0, 1, vcc_lo
	v_add_co_ci_u32_e64 v3, null, 0, v3, vcc_lo
	v_lshrrev_b32_e32 v77, v113, v77
; %bb.3316:                             ;   in Loop: Header=BB6_3020 Depth=2
	s_andn2_saveexec_b32 s12, s12
; %bb.3317:                             ;   in Loop: Header=BB6_3020 Depth=2
	v_bfe_u32 v3, v77, 23, 1
; %bb.3318:                             ;   in Loop: Header=BB6_3020 Depth=2
	s_or_b32 exec_lo, exec_lo, s12
	v_lshrrev_b32_e32 v113, 20, v77
	v_min_i32_e32 v116, 15, v3
	v_cmp_gt_i32_e32 vcc_lo, 16, v3
	v_and_b32_sdwa v2, v2, v119 dst_sel:DWORD dst_unused:UNUSED_PAD src0_sel:BYTE_3 src1_sel:DWORD
	v_lshlrev_b32_e32 v116, 3, v116
	v_cndmask_b32_e32 v113, 7, v113, vcc_lo
	v_and_b32_e32 v116, 0xf8, v116
	v_and_b32_e32 v77, 7, v113
	v_or_b32_e32 v3, v3, v113
	v_or3_b32 v2, v116, v2, v77
	v_cmp_ne_u32_e32 vcc_lo, 0, v3
	v_cndmask_b32_e32 v77, 0, v2, vcc_lo
.LBB6_3319:                             ;   in Loop: Header=BB6_3020 Depth=2
	s_or_b32 exec_lo, exec_lo, s27
.LBB6_3320:                             ;   in Loop: Header=BB6_3020 Depth=2
	s_or_b32 exec_lo, exec_lo, s26
	v_cmp_gt_i16_sdwa s26, v51, v115 src0_sel:BYTE_3 src1_sel:DWORD
	s_mov_b32 s12, 0
	s_and_saveexec_b32 s27, s26
	s_xor_b32 s26, exec_lo, s27
	s_cbranch_execz .LBB6_4358
; %bb.3321:                             ;   in Loop: Header=BB6_3020 Depth=2
	v_cmp_eq_u16_sdwa s28, v51, v119 src0_sel:BYTE_3 src1_sel:DWORD
	s_mov_b32 s12, -1
	s_and_saveexec_b32 s27, s28
; %bb.3322:                             ;   in Loop: Header=BB6_3020 Depth=2
	s_xor_b32 s12, exec_lo, -1
; %bb.3323:                             ;   in Loop: Header=BB6_3020 Depth=2
	s_or_b32 exec_lo, exec_lo, s27
	s_and_b32 s12, s12, exec_lo
	s_or_saveexec_b32 s26, s26
	v_mov_b32_e32 v2, 0x7f800001
	s_xor_b32 exec_lo, exec_lo, s26
	s_cbranch_execnz .LBB6_4359
.LBB6_3324:                             ;   in Loop: Header=BB6_3020 Depth=2
	s_or_b32 exec_lo, exec_lo, s26
	s_and_saveexec_b32 s26, s12
	s_cbranch_execz .LBB6_3326
.LBB6_3325:                             ;   in Loop: Header=BB6_3020 Depth=2
	v_bfe_u32 v2, v51, 24, 3
	v_bfe_u32 v116, v51, 27, 4
	v_ffbh_u32_e32 v3, v2
	v_cmp_eq_u32_e32 vcc_lo, 0, v116
	v_min_u32_e32 v3, 32, v3
	v_subrev_nc_u32_e32 v113, 28, v3
	v_sub_nc_u32_e32 v3, 29, v3
	v_lshlrev_b32_sdwa v113, v113, v51 dst_sel:DWORD dst_unused:UNUSED_PAD src0_sel:DWORD src1_sel:BYTE_3
	v_cndmask_b32_e32 v3, v116, v3, vcc_lo
	v_and_b32_e32 v51, 0x80000000, v51
	v_and_b32_e32 v113, 7, v113
	v_lshl_add_u32 v3, v3, 23, 0x3b800000
	v_cndmask_b32_e32 v2, v2, v113, vcc_lo
	v_lshlrev_b32_e32 v2, 20, v2
	v_or3_b32 v2, v51, v3, v2
.LBB6_3326:                             ;   in Loop: Header=BB6_3020 Depth=2
	s_or_b32 exec_lo, exec_lo, s26
	v_cmp_gt_i16_sdwa s26, v39, v115 src0_sel:BYTE_3 src1_sel:DWORD
	s_mov_b32 s12, 0
	s_and_saveexec_b32 s27, s26
	s_xor_b32 s26, exec_lo, s27
	s_cbranch_execz .LBB6_4360
; %bb.3327:                             ;   in Loop: Header=BB6_3020 Depth=2
	v_cmp_eq_u16_sdwa s28, v39, v119 src0_sel:BYTE_3 src1_sel:DWORD
	s_mov_b32 s12, -1
	s_and_saveexec_b32 s27, s28
; %bb.3328:                             ;   in Loop: Header=BB6_3020 Depth=2
	s_xor_b32 s12, exec_lo, -1
; %bb.3329:                             ;   in Loop: Header=BB6_3020 Depth=2
	s_or_b32 exec_lo, exec_lo, s27
	s_and_b32 s12, s12, exec_lo
	s_or_saveexec_b32 s26, s26
	v_mov_b32_e32 v3, 0x7f800001
	s_xor_b32 exec_lo, exec_lo, s26
	s_cbranch_execnz .LBB6_4361
.LBB6_3330:                             ;   in Loop: Header=BB6_3020 Depth=2
	s_or_b32 exec_lo, exec_lo, s26
	s_and_saveexec_b32 s26, s12
	s_cbranch_execz .LBB6_3332
.LBB6_3331:                             ;   in Loop: Header=BB6_3020 Depth=2
	v_bfe_u32 v3, v39, 24, 3
	v_bfe_u32 v116, v39, 27, 4
	v_ffbh_u32_e32 v51, v3
	v_cmp_eq_u32_e32 vcc_lo, 0, v116
	v_min_u32_e32 v51, 32, v51
	v_subrev_nc_u32_e32 v113, 28, v51
	v_sub_nc_u32_e32 v51, 29, v51
	v_lshlrev_b32_sdwa v113, v113, v39 dst_sel:DWORD dst_unused:UNUSED_PAD src0_sel:DWORD src1_sel:BYTE_3
	v_cndmask_b32_e32 v51, v116, v51, vcc_lo
	v_and_b32_e32 v39, 0x80000000, v39
	v_and_b32_e32 v113, 7, v113
	v_lshl_add_u32 v51, v51, 23, 0x3b800000
	v_cndmask_b32_e32 v3, v3, v113, vcc_lo
	v_lshlrev_b32_e32 v3, 20, v3
	v_or3_b32 v3, v39, v51, v3
.LBB6_3332:                             ;   in Loop: Header=BB6_3020 Depth=2
	s_or_b32 exec_lo, exec_lo, s26
	v_add_f32_e32 v2, v2, v3
	v_mov_b32_e32 v39, 0x8000
	s_mov_b32 s26, exec_lo
	v_and_b32_e32 v3, 0x7f800000, v2
	v_cmpx_ne_u32_e32 0x7f800000, v3
	s_cbranch_execz .LBB6_3340
; %bb.3333:                             ;   in Loop: Header=BB6_3020 Depth=2
	v_mov_b32_e32 v39, 0
	s_mov_b32 s27, exec_lo
	v_cmpx_ne_u32_e32 0, v2
	s_cbranch_execz .LBB6_3339
; %bb.3334:                             ;   in Loop: Header=BB6_3020 Depth=2
	v_bfe_u32 v3, v2, 23, 8
	v_and_b32_e32 v39, 0x7fffff, v2
	v_sub_nc_u32_e32 v51, 0x78, v3
	v_cmp_gt_u32_e32 vcc_lo, 0x79, v3
	v_or_b32_e32 v113, 0x800000, v39
	v_cndmask_b32_e32 v51, 0, v51, vcc_lo
	v_cmp_eq_u32_e32 vcc_lo, 0, v3
	v_add_nc_u32_e32 v3, 0xffffff89, v3
	v_cndmask_b32_e64 v51, v51, 0x77, vcc_lo
	v_cndmask_b32_e32 v39, v113, v39, vcc_lo
	v_cndmask_b32_e64 v3, v3, 0xffffff8a, vcc_lo
	v_lshl_add_u32 v113, 0x100000, v51, -1
	v_lshrrev_b32_e32 v116, v51, v39
	v_lshlrev_b32_e64 v79, v51, 0x80000
	v_add_nc_u32_e32 v51, v51, v3
	v_and_b32_e32 v39, v113, v39
	v_bfe_u32 v78, v116, 20, 1
	v_cmp_eq_u32_e64 s12, v39, v79
	v_add_nc_u32_e32 v113, -1, v78
	v_cndmask_b32_e64 v39, 0, v113, s12
	v_lshrrev_b32_e32 v113, 23, v116
	s_mov_b32 s12, exec_lo
	v_add_nc_u32_e32 v39, v39, v116
	v_xor_b32_e32 v113, 1, v113
	v_and_b32_e32 v3, 0xfffff, v39
	v_add_nc_u32_e32 v39, v3, v116
                                        ; implicit-def: $vgpr3
	v_cmpx_ne_u32_e64 v51, v113
	s_xor_b32 s12, exec_lo, s12
; %bb.3335:                             ;   in Loop: Header=BB6_3020 Depth=2
	v_cmp_lt_u32_e32 vcc_lo, 0xffffff, v39
	v_sub_nc_u32_e32 v3, v51, v113
	v_cndmask_b32_e64 v51, 0, 1, vcc_lo
	v_add_co_ci_u32_e64 v3, null, 0, v3, vcc_lo
	v_lshrrev_b32_e32 v39, v51, v39
; %bb.3336:                             ;   in Loop: Header=BB6_3020 Depth=2
	s_andn2_saveexec_b32 s12, s12
; %bb.3337:                             ;   in Loop: Header=BB6_3020 Depth=2
	v_bfe_u32 v3, v39, 23, 1
; %bb.3338:                             ;   in Loop: Header=BB6_3020 Depth=2
	s_or_b32 exec_lo, exec_lo, s12
	v_lshrrev_b32_e32 v39, 20, v39
	v_min_i32_e32 v51, 15, v3
	v_cmp_gt_i32_e32 vcc_lo, 16, v3
	v_and_b32_sdwa v2, v2, v119 dst_sel:DWORD dst_unused:UNUSED_PAD src0_sel:BYTE_3 src1_sel:DWORD
	v_lshlrev_b32_e32 v51, 3, v51
	v_cndmask_b32_e32 v39, 7, v39, vcc_lo
	v_and_b32_e32 v51, 0xf8, v51
	v_and_b32_e32 v113, 7, v39
	v_or_b32_e32 v3, v3, v39
	v_or3_b32 v2, v2, v51, v113
	v_cmp_ne_u32_e32 vcc_lo, 0, v3
	v_lshlrev_b32_e32 v2, 8, v2
	v_cndmask_b32_e32 v39, 0, v2, vcc_lo
.LBB6_3339:                             ;   in Loop: Header=BB6_3020 Depth=2
	s_or_b32 exec_lo, exec_lo, s27
.LBB6_3340:                             ;   in Loop: Header=BB6_3020 Depth=2
	s_or_b32 exec_lo, exec_lo, s26
	v_cmp_gt_i16_sdwa s26, v32, v115 src0_sel:BYTE_0 src1_sel:DWORD
	s_mov_b32 s12, 0
	s_and_saveexec_b32 s27, s26
	s_xor_b32 s26, exec_lo, s27
	s_cbranch_execz .LBB6_4362
; %bb.3341:                             ;   in Loop: Header=BB6_3020 Depth=2
	v_cmp_eq_u16_sdwa s28, v32, v119 src0_sel:BYTE_0 src1_sel:DWORD
	s_mov_b32 s12, -1
	s_and_saveexec_b32 s27, s28
; %bb.3342:                             ;   in Loop: Header=BB6_3020 Depth=2
	s_xor_b32 s12, exec_lo, -1
; %bb.3343:                             ;   in Loop: Header=BB6_3020 Depth=2
	s_or_b32 exec_lo, exec_lo, s27
	s_and_b32 s12, s12, exec_lo
	s_or_saveexec_b32 s26, s26
	v_mov_b32_e32 v2, 0x7f800001
	s_xor_b32 exec_lo, exec_lo, s26
	s_cbranch_execnz .LBB6_4363
.LBB6_3344:                             ;   in Loop: Header=BB6_3020 Depth=2
	s_or_b32 exec_lo, exec_lo, s26
	s_and_saveexec_b32 s26, s12
	s_cbranch_execz .LBB6_3346
.LBB6_3345:                             ;   in Loop: Header=BB6_3020 Depth=2
	v_and_b32_e32 v2, 7, v32
	v_bfe_u32 v113, v32, 3, 4
	v_lshlrev_b32_e32 v116, 24, v32
	v_ffbh_u32_e32 v3, v2
	v_cmp_eq_u32_e32 vcc_lo, 0, v113
	v_min_u32_e32 v3, 32, v3
	v_subrev_nc_u32_e32 v51, 28, v3
	v_sub_nc_u32_e32 v3, 29, v3
	v_lshlrev_b32_e32 v51, v51, v32
	v_cndmask_b32_e32 v3, v113, v3, vcc_lo
	v_and_b32_e32 v51, 7, v51
	v_lshl_add_u32 v3, v3, 23, 0x3b800000
	v_cndmask_b32_e32 v2, v2, v51, vcc_lo
	v_and_b32_e32 v51, 0x80000000, v116
	v_lshlrev_b32_e32 v2, 20, v2
	v_or3_b32 v2, v51, v3, v2
.LBB6_3346:                             ;   in Loop: Header=BB6_3020 Depth=2
	s_or_b32 exec_lo, exec_lo, s26
	s_waitcnt vmcnt(2)
	v_cmp_gt_i16_sdwa s26, v26, v115 src0_sel:BYTE_0 src1_sel:DWORD
	s_mov_b32 s12, 0
	s_and_saveexec_b32 s27, s26
	s_xor_b32 s26, exec_lo, s27
	s_cbranch_execz .LBB6_4364
; %bb.3347:                             ;   in Loop: Header=BB6_3020 Depth=2
	v_cmp_eq_u16_sdwa s28, v26, v119 src0_sel:BYTE_0 src1_sel:DWORD
	s_mov_b32 s12, -1
	s_and_saveexec_b32 s27, s28
; %bb.3348:                             ;   in Loop: Header=BB6_3020 Depth=2
	s_xor_b32 s12, exec_lo, -1
; %bb.3349:                             ;   in Loop: Header=BB6_3020 Depth=2
	s_or_b32 exec_lo, exec_lo, s27
	s_and_b32 s12, s12, exec_lo
	s_or_saveexec_b32 s26, s26
	v_mov_b32_e32 v3, 0x7f800001
	s_xor_b32 exec_lo, exec_lo, s26
	s_cbranch_execnz .LBB6_4365
.LBB6_3350:                             ;   in Loop: Header=BB6_3020 Depth=2
	s_or_b32 exec_lo, exec_lo, s26
	s_and_saveexec_b32 s26, s12
	s_cbranch_execz .LBB6_3352
.LBB6_3351:                             ;   in Loop: Header=BB6_3020 Depth=2
	v_and_b32_e32 v3, 7, v26
	v_bfe_u32 v116, v26, 3, 4
	v_lshlrev_b32_e32 v78, 24, v26
	v_ffbh_u32_e32 v51, v3
	v_cmp_eq_u32_e32 vcc_lo, 0, v116
	v_min_u32_e32 v51, 32, v51
	v_subrev_nc_u32_e32 v113, 28, v51
	v_sub_nc_u32_e32 v51, 29, v51
	v_lshlrev_b32_e32 v113, v113, v26
	v_cndmask_b32_e32 v51, v116, v51, vcc_lo
	v_and_b32_e32 v113, 7, v113
	v_lshl_add_u32 v51, v51, 23, 0x3b800000
	v_cndmask_b32_e32 v3, v3, v113, vcc_lo
	v_and_b32_e32 v113, 0x80000000, v78
	v_lshlrev_b32_e32 v3, 20, v3
	v_or3_b32 v3, v113, v51, v3
.LBB6_3352:                             ;   in Loop: Header=BB6_3020 Depth=2
	s_or_b32 exec_lo, exec_lo, s26
	v_add_f32_e32 v2, v2, v3
	v_mov_b32_e32 v51, 0x80
	s_mov_b32 s26, exec_lo
	v_and_b32_e32 v3, 0x7f800000, v2
	v_cmpx_ne_u32_e32 0x7f800000, v3
	s_cbranch_execz .LBB6_3360
; %bb.3353:                             ;   in Loop: Header=BB6_3020 Depth=2
	v_mov_b32_e32 v51, 0
	s_mov_b32 s27, exec_lo
	v_cmpx_ne_u32_e32 0, v2
	s_cbranch_execz .LBB6_3359
; %bb.3354:                             ;   in Loop: Header=BB6_3020 Depth=2
	v_bfe_u32 v3, v2, 23, 8
	v_and_b32_e32 v51, 0x7fffff, v2
	v_sub_nc_u32_e32 v113, 0x78, v3
	v_cmp_gt_u32_e32 vcc_lo, 0x79, v3
	v_or_b32_e32 v116, 0x800000, v51
	v_cndmask_b32_e32 v113, 0, v113, vcc_lo
	v_cmp_eq_u32_e32 vcc_lo, 0, v3
	v_add_nc_u32_e32 v3, 0xffffff89, v3
	v_cndmask_b32_e64 v113, v113, 0x77, vcc_lo
	v_cndmask_b32_e32 v51, v116, v51, vcc_lo
	v_cndmask_b32_e64 v3, v3, 0xffffff8a, vcc_lo
	v_lshl_add_u32 v116, 0x100000, v113, -1
	v_lshrrev_b32_e32 v78, v113, v51
	v_lshlrev_b32_e64 v88, v113, 0x80000
	v_add_nc_u32_e32 v113, v113, v3
	v_and_b32_e32 v51, v116, v51
	v_bfe_u32 v79, v78, 20, 1
	v_cmp_eq_u32_e64 s12, v51, v88
	v_add_nc_u32_e32 v116, -1, v79
	v_cndmask_b32_e64 v51, 0, v116, s12
	v_lshrrev_b32_e32 v116, 23, v78
	s_mov_b32 s12, exec_lo
	v_add_nc_u32_e32 v51, v51, v78
	v_xor_b32_e32 v116, 1, v116
	v_and_b32_e32 v3, 0xfffff, v51
	v_add_nc_u32_e32 v51, v3, v78
                                        ; implicit-def: $vgpr3
	v_cmpx_ne_u32_e64 v113, v116
	s_xor_b32 s12, exec_lo, s12
; %bb.3355:                             ;   in Loop: Header=BB6_3020 Depth=2
	v_cmp_lt_u32_e32 vcc_lo, 0xffffff, v51
	v_sub_nc_u32_e32 v3, v113, v116
	v_cndmask_b32_e64 v113, 0, 1, vcc_lo
	v_add_co_ci_u32_e64 v3, null, 0, v3, vcc_lo
	v_lshrrev_b32_e32 v51, v113, v51
; %bb.3356:                             ;   in Loop: Header=BB6_3020 Depth=2
	s_andn2_saveexec_b32 s12, s12
; %bb.3357:                             ;   in Loop: Header=BB6_3020 Depth=2
	v_bfe_u32 v3, v51, 23, 1
; %bb.3358:                             ;   in Loop: Header=BB6_3020 Depth=2
	s_or_b32 exec_lo, exec_lo, s12
	v_lshrrev_b32_e32 v51, 20, v51
	v_min_i32_e32 v113, 15, v3
	v_cmp_gt_i32_e32 vcc_lo, 16, v3
	v_and_b32_sdwa v2, v2, v119 dst_sel:DWORD dst_unused:UNUSED_PAD src0_sel:BYTE_3 src1_sel:DWORD
	v_lshlrev_b32_e32 v113, 3, v113
	v_cndmask_b32_e32 v51, 7, v51, vcc_lo
	v_and_b32_e32 v113, 0xf8, v113
	v_and_b32_e32 v116, 7, v51
	v_or_b32_e32 v3, v3, v51
	v_or3_b32 v2, v113, v2, v116
	v_cmp_ne_u32_e32 vcc_lo, 0, v3
	v_cndmask_b32_e32 v51, 0, v2, vcc_lo
.LBB6_3359:                             ;   in Loop: Header=BB6_3020 Depth=2
	s_or_b32 exec_lo, exec_lo, s27
.LBB6_3360:                             ;   in Loop: Header=BB6_3020 Depth=2
	s_or_b32 exec_lo, exec_lo, s26
	v_cmp_gt_i16_sdwa s26, v32, v115 src0_sel:BYTE_1 src1_sel:DWORD
	s_mov_b32 s12, 0
	s_and_saveexec_b32 s27, s26
	s_xor_b32 s26, exec_lo, s27
	s_cbranch_execz .LBB6_4366
; %bb.3361:                             ;   in Loop: Header=BB6_3020 Depth=2
	v_cmp_eq_u16_sdwa s28, v32, v119 src0_sel:BYTE_1 src1_sel:DWORD
	s_mov_b32 s12, -1
	s_and_saveexec_b32 s27, s28
; %bb.3362:                             ;   in Loop: Header=BB6_3020 Depth=2
	s_xor_b32 s12, exec_lo, -1
; %bb.3363:                             ;   in Loop: Header=BB6_3020 Depth=2
	s_or_b32 exec_lo, exec_lo, s27
	s_and_b32 s12, s12, exec_lo
	s_or_saveexec_b32 s26, s26
	v_mov_b32_e32 v2, 0x7f800001
	s_xor_b32 exec_lo, exec_lo, s26
	s_cbranch_execnz .LBB6_4367
.LBB6_3364:                             ;   in Loop: Header=BB6_3020 Depth=2
	s_or_b32 exec_lo, exec_lo, s26
	s_and_saveexec_b32 s26, s12
	s_cbranch_execz .LBB6_3366
.LBB6_3365:                             ;   in Loop: Header=BB6_3020 Depth=2
	v_and_b32_sdwa v2, v41, v32 dst_sel:DWORD dst_unused:UNUSED_PAD src0_sel:DWORD src1_sel:BYTE_1
	v_and_b32_e32 v3, 7, v2
	v_bfe_u32 v78, v2, 3, 4
	v_ffbh_u32_e32 v113, v3
	v_cmp_eq_u32_e32 vcc_lo, 0, v78
	v_min_u32_e32 v113, 32, v113
	v_subrev_nc_u32_e32 v116, 28, v113
	v_sub_nc_u32_e32 v113, 29, v113
	v_lshlrev_b32_e32 v2, v116, v2
	v_lshlrev_b32_sdwa v116, v47, v32 dst_sel:DWORD dst_unused:UNUSED_PAD src0_sel:DWORD src1_sel:BYTE_1
	v_cndmask_b32_e32 v113, v78, v113, vcc_lo
	v_and_b32_e32 v2, 7, v2
	v_lshl_add_u32 v113, v113, 23, 0x3b800000
	v_cndmask_b32_e32 v2, v3, v2, vcc_lo
	v_and_b32_e32 v3, 0x80000000, v116
	v_lshlrev_b32_e32 v2, 20, v2
	v_or3_b32 v2, v3, v113, v2
.LBB6_3366:                             ;   in Loop: Header=BB6_3020 Depth=2
	s_or_b32 exec_lo, exec_lo, s26
	v_cmp_gt_i16_sdwa s26, v26, v115 src0_sel:BYTE_1 src1_sel:DWORD
	s_mov_b32 s12, 0
	s_and_saveexec_b32 s27, s26
	s_xor_b32 s26, exec_lo, s27
	s_cbranch_execz .LBB6_4368
; %bb.3367:                             ;   in Loop: Header=BB6_3020 Depth=2
	v_cmp_eq_u16_sdwa s28, v26, v119 src0_sel:BYTE_1 src1_sel:DWORD
	s_mov_b32 s12, -1
	s_and_saveexec_b32 s27, s28
; %bb.3368:                             ;   in Loop: Header=BB6_3020 Depth=2
	s_xor_b32 s12, exec_lo, -1
; %bb.3369:                             ;   in Loop: Header=BB6_3020 Depth=2
	s_or_b32 exec_lo, exec_lo, s27
	s_and_b32 s12, s12, exec_lo
	s_or_saveexec_b32 s26, s26
	v_mov_b32_e32 v3, 0x7f800001
	s_xor_b32 exec_lo, exec_lo, s26
	s_cbranch_execnz .LBB6_4369
.LBB6_3370:                             ;   in Loop: Header=BB6_3020 Depth=2
	s_or_b32 exec_lo, exec_lo, s26
	s_and_saveexec_b32 s26, s12
	s_cbranch_execz .LBB6_3372
.LBB6_3371:                             ;   in Loop: Header=BB6_3020 Depth=2
	v_and_b32_sdwa v3, v41, v26 dst_sel:DWORD dst_unused:UNUSED_PAD src0_sel:DWORD src1_sel:BYTE_1
	v_and_b32_e32 v113, 7, v3
	v_bfe_u32 v79, v3, 3, 4
	v_ffbh_u32_e32 v116, v113
	v_cmp_eq_u32_e32 vcc_lo, 0, v79
	v_min_u32_e32 v116, 32, v116
	v_subrev_nc_u32_e32 v78, 28, v116
	v_sub_nc_u32_e32 v116, 29, v116
	v_lshlrev_b32_e32 v3, v78, v3
	v_lshlrev_b32_sdwa v78, v47, v26 dst_sel:DWORD dst_unused:UNUSED_PAD src0_sel:DWORD src1_sel:BYTE_1
	v_cndmask_b32_e32 v116, v79, v116, vcc_lo
	v_and_b32_e32 v3, 7, v3
	v_lshl_add_u32 v116, v116, 23, 0x3b800000
	v_cndmask_b32_e32 v3, v113, v3, vcc_lo
	v_and_b32_e32 v113, 0x80000000, v78
	v_lshlrev_b32_e32 v3, 20, v3
	v_or3_b32 v3, v113, v116, v3
.LBB6_3372:                             ;   in Loop: Header=BB6_3020 Depth=2
	s_or_b32 exec_lo, exec_lo, s26
	v_add_f32_e32 v2, v2, v3
	v_mov_b32_e32 v78, 0x8000
	s_mov_b32 s26, exec_lo
	v_and_b32_e32 v3, 0x7f800000, v2
	v_cmpx_ne_u32_e32 0x7f800000, v3
	s_cbranch_execz .LBB6_3380
; %bb.3373:                             ;   in Loop: Header=BB6_3020 Depth=2
	v_mov_b32_e32 v78, 0
	s_mov_b32 s27, exec_lo
	v_cmpx_ne_u32_e32 0, v2
	s_cbranch_execz .LBB6_3379
; %bb.3374:                             ;   in Loop: Header=BB6_3020 Depth=2
	v_bfe_u32 v3, v2, 23, 8
	v_and_b32_e32 v113, 0x7fffff, v2
	v_sub_nc_u32_e32 v116, 0x78, v3
	v_cmp_gt_u32_e32 vcc_lo, 0x79, v3
	v_or_b32_e32 v78, 0x800000, v113
	v_cndmask_b32_e32 v116, 0, v116, vcc_lo
	v_cmp_eq_u32_e32 vcc_lo, 0, v3
	v_add_nc_u32_e32 v3, 0xffffff89, v3
	v_cndmask_b32_e64 v116, v116, 0x77, vcc_lo
	v_cndmask_b32_e32 v113, v78, v113, vcc_lo
	v_cndmask_b32_e64 v3, v3, 0xffffff8a, vcc_lo
	v_lshl_add_u32 v78, 0x100000, v116, -1
	v_lshrrev_b32_e32 v79, v116, v113
	v_lshlrev_b32_e64 v89, v116, 0x80000
	v_add_nc_u32_e32 v116, v116, v3
	v_and_b32_e32 v113, v78, v113
	v_bfe_u32 v88, v79, 20, 1
	v_cmp_eq_u32_e64 s12, v113, v89
	v_add_nc_u32_e32 v78, -1, v88
	v_cndmask_b32_e64 v113, 0, v78, s12
	v_lshrrev_b32_e32 v78, 23, v79
	s_mov_b32 s12, exec_lo
	v_add_nc_u32_e32 v113, v113, v79
	v_xor_b32_e32 v78, 1, v78
	v_and_b32_e32 v3, 0xfffff, v113
	v_add_nc_u32_e32 v113, v3, v79
                                        ; implicit-def: $vgpr3
	v_cmpx_ne_u32_e64 v116, v78
	s_xor_b32 s12, exec_lo, s12
; %bb.3375:                             ;   in Loop: Header=BB6_3020 Depth=2
	v_cmp_lt_u32_e32 vcc_lo, 0xffffff, v113
	v_sub_nc_u32_e32 v3, v116, v78
	v_cndmask_b32_e64 v116, 0, 1, vcc_lo
	v_add_co_ci_u32_e64 v3, null, 0, v3, vcc_lo
	v_lshrrev_b32_e32 v113, v116, v113
; %bb.3376:                             ;   in Loop: Header=BB6_3020 Depth=2
	s_andn2_saveexec_b32 s12, s12
; %bb.3377:                             ;   in Loop: Header=BB6_3020 Depth=2
	v_bfe_u32 v3, v113, 23, 1
; %bb.3378:                             ;   in Loop: Header=BB6_3020 Depth=2
	s_or_b32 exec_lo, exec_lo, s12
	v_lshrrev_b32_e32 v113, 20, v113
	v_min_i32_e32 v116, 15, v3
	v_cmp_gt_i32_e32 vcc_lo, 16, v3
	v_and_b32_sdwa v2, v2, v119 dst_sel:DWORD dst_unused:UNUSED_PAD src0_sel:BYTE_3 src1_sel:DWORD
	v_lshlrev_b32_e32 v116, 3, v116
	v_cndmask_b32_e32 v113, 7, v113, vcc_lo
	v_and_b32_e32 v116, 0xf8, v116
	v_and_b32_e32 v78, 7, v113
	v_or_b32_e32 v3, v3, v113
	v_or3_b32 v2, v2, v116, v78
	v_cmp_ne_u32_e32 vcc_lo, 0, v3
	v_lshlrev_b32_e32 v2, 8, v2
	v_cndmask_b32_e32 v78, 0, v2, vcc_lo
.LBB6_3379:                             ;   in Loop: Header=BB6_3020 Depth=2
	s_or_b32 exec_lo, exec_lo, s27
.LBB6_3380:                             ;   in Loop: Header=BB6_3020 Depth=2
	s_or_b32 exec_lo, exec_lo, s26
	v_and_b32_sdwa v3, v32, v56 dst_sel:DWORD dst_unused:UNUSED_PAD src0_sel:WORD_1 src1_sel:DWORD
	s_mov_b32 s12, 0
	s_mov_b32 s26, exec_lo
	v_cmpx_lt_i16_e32 0x7f, v3
	s_xor_b32 s26, exec_lo, s26
	s_cbranch_execz .LBB6_4370
; %bb.3381:                             ;   in Loop: Header=BB6_3020 Depth=2
	s_mov_b32 s12, -1
	s_mov_b32 s27, exec_lo
	v_cmpx_eq_u16_e32 0x80, v3
; %bb.3382:                             ;   in Loop: Header=BB6_3020 Depth=2
	s_xor_b32 s12, exec_lo, -1
; %bb.3383:                             ;   in Loop: Header=BB6_3020 Depth=2
	s_or_b32 exec_lo, exec_lo, s27
	s_and_b32 s12, s12, exec_lo
                                        ; implicit-def: $vgpr3
	s_or_saveexec_b32 s26, s26
	v_mov_b32_e32 v2, 0x7f800001
	s_xor_b32 exec_lo, exec_lo, s26
	s_cbranch_execnz .LBB6_4371
.LBB6_3384:                             ;   in Loop: Header=BB6_3020 Depth=2
	s_or_b32 exec_lo, exec_lo, s26
	s_and_saveexec_b32 s26, s12
	s_cbranch_execz .LBB6_3386
.LBB6_3385:                             ;   in Loop: Header=BB6_3020 Depth=2
	v_bfe_u32 v2, v32, 16, 3
	v_bfe_u32 v116, v32, 19, 4
	v_lshlrev_b32_e32 v79, 8, v32
	v_ffbh_u32_e32 v3, v2
	v_cmp_eq_u32_e32 vcc_lo, 0, v116
	v_min_u32_e32 v3, 32, v3
	v_subrev_nc_u32_e32 v113, 28, v3
	v_sub_nc_u32_e32 v3, 29, v3
	v_lshlrev_b32_sdwa v113, v113, v32 dst_sel:DWORD dst_unused:UNUSED_PAD src0_sel:DWORD src1_sel:WORD_1
	v_cndmask_b32_e32 v3, v116, v3, vcc_lo
	v_and_b32_e32 v113, 7, v113
	v_lshl_add_u32 v3, v3, 23, 0x3b800000
	v_cndmask_b32_e32 v2, v2, v113, vcc_lo
	v_and_b32_e32 v113, 0x80000000, v79
	v_lshlrev_b32_e32 v2, 20, v2
	v_or3_b32 v2, v113, v3, v2
.LBB6_3386:                             ;   in Loop: Header=BB6_3020 Depth=2
	s_or_b32 exec_lo, exec_lo, s26
	v_and_b32_sdwa v113, v26, v56 dst_sel:DWORD dst_unused:UNUSED_PAD src0_sel:WORD_1 src1_sel:DWORD
	s_mov_b32 s12, 0
	s_mov_b32 s26, exec_lo
	v_cmpx_lt_i16_e32 0x7f, v113
	s_xor_b32 s26, exec_lo, s26
	s_cbranch_execz .LBB6_4372
; %bb.3387:                             ;   in Loop: Header=BB6_3020 Depth=2
	s_mov_b32 s12, -1
	s_mov_b32 s27, exec_lo
	v_cmpx_eq_u16_e32 0x80, v113
; %bb.3388:                             ;   in Loop: Header=BB6_3020 Depth=2
	s_xor_b32 s12, exec_lo, -1
; %bb.3389:                             ;   in Loop: Header=BB6_3020 Depth=2
	s_or_b32 exec_lo, exec_lo, s27
	s_and_b32 s12, s12, exec_lo
                                        ; implicit-def: $vgpr113
	s_or_saveexec_b32 s26, s26
	v_mov_b32_e32 v3, 0x7f800001
	s_xor_b32 exec_lo, exec_lo, s26
	s_cbranch_execnz .LBB6_4373
.LBB6_3390:                             ;   in Loop: Header=BB6_3020 Depth=2
	s_or_b32 exec_lo, exec_lo, s26
	s_and_saveexec_b32 s26, s12
	s_cbranch_execz .LBB6_3392
.LBB6_3391:                             ;   in Loop: Header=BB6_3020 Depth=2
	v_bfe_u32 v3, v26, 16, 3
	v_bfe_u32 v79, v26, 19, 4
	v_lshlrev_b32_e32 v88, 8, v26
	v_ffbh_u32_e32 v113, v3
	v_cmp_eq_u32_e32 vcc_lo, 0, v79
	v_min_u32_e32 v113, 32, v113
	v_subrev_nc_u32_e32 v116, 28, v113
	v_sub_nc_u32_e32 v113, 29, v113
	v_lshlrev_b32_sdwa v116, v116, v26 dst_sel:DWORD dst_unused:UNUSED_PAD src0_sel:DWORD src1_sel:WORD_1
	v_cndmask_b32_e32 v113, v79, v113, vcc_lo
	v_and_b32_e32 v116, 7, v116
	v_lshl_add_u32 v113, v113, 23, 0x3b800000
	v_cndmask_b32_e32 v3, v3, v116, vcc_lo
	v_and_b32_e32 v116, 0x80000000, v88
	v_lshlrev_b32_e32 v3, 20, v3
	v_or3_b32 v3, v116, v113, v3
.LBB6_3392:                             ;   in Loop: Header=BB6_3020 Depth=2
	s_or_b32 exec_lo, exec_lo, s26
	v_add_f32_e32 v2, v2, v3
	v_mov_b32_e32 v79, 0x80
	s_mov_b32 s26, exec_lo
	v_and_b32_e32 v3, 0x7f800000, v2
	v_cmpx_ne_u32_e32 0x7f800000, v3
	s_cbranch_execz .LBB6_3400
; %bb.3393:                             ;   in Loop: Header=BB6_3020 Depth=2
	v_mov_b32_e32 v79, 0
	s_mov_b32 s27, exec_lo
	v_cmpx_ne_u32_e32 0, v2
	s_cbranch_execz .LBB6_3399
; %bb.3394:                             ;   in Loop: Header=BB6_3020 Depth=2
	v_bfe_u32 v3, v2, 23, 8
	v_and_b32_e32 v113, 0x7fffff, v2
	v_sub_nc_u32_e32 v116, 0x78, v3
	v_cmp_gt_u32_e32 vcc_lo, 0x79, v3
	v_or_b32_e32 v79, 0x800000, v113
	v_cndmask_b32_e32 v116, 0, v116, vcc_lo
	v_cmp_eq_u32_e32 vcc_lo, 0, v3
	v_add_nc_u32_e32 v3, 0xffffff89, v3
	v_cndmask_b32_e64 v116, v116, 0x77, vcc_lo
	v_cndmask_b32_e32 v113, v79, v113, vcc_lo
	v_cndmask_b32_e64 v3, v3, 0xffffff8a, vcc_lo
	v_lshl_add_u32 v79, 0x100000, v116, -1
	v_lshrrev_b32_e32 v88, v116, v113
	v_lshlrev_b32_e64 v90, v116, 0x80000
	v_add_nc_u32_e32 v116, v116, v3
	v_and_b32_e32 v113, v79, v113
	v_bfe_u32 v89, v88, 20, 1
	v_cmp_eq_u32_e64 s12, v113, v90
	v_add_nc_u32_e32 v79, -1, v89
	v_cndmask_b32_e64 v113, 0, v79, s12
	v_lshrrev_b32_e32 v79, 23, v88
	s_mov_b32 s12, exec_lo
	v_add_nc_u32_e32 v113, v113, v88
	v_xor_b32_e32 v79, 1, v79
	v_and_b32_e32 v3, 0xfffff, v113
	v_add_nc_u32_e32 v113, v3, v88
                                        ; implicit-def: $vgpr3
	v_cmpx_ne_u32_e64 v116, v79
	s_xor_b32 s12, exec_lo, s12
; %bb.3395:                             ;   in Loop: Header=BB6_3020 Depth=2
	v_cmp_lt_u32_e32 vcc_lo, 0xffffff, v113
	v_sub_nc_u32_e32 v3, v116, v79
	v_cndmask_b32_e64 v116, 0, 1, vcc_lo
	v_add_co_ci_u32_e64 v3, null, 0, v3, vcc_lo
	v_lshrrev_b32_e32 v113, v116, v113
; %bb.3396:                             ;   in Loop: Header=BB6_3020 Depth=2
	s_andn2_saveexec_b32 s12, s12
; %bb.3397:                             ;   in Loop: Header=BB6_3020 Depth=2
	v_bfe_u32 v3, v113, 23, 1
; %bb.3398:                             ;   in Loop: Header=BB6_3020 Depth=2
	s_or_b32 exec_lo, exec_lo, s12
	v_lshrrev_b32_e32 v113, 20, v113
	v_min_i32_e32 v116, 15, v3
	v_cmp_gt_i32_e32 vcc_lo, 16, v3
	v_and_b32_sdwa v2, v2, v119 dst_sel:DWORD dst_unused:UNUSED_PAD src0_sel:BYTE_3 src1_sel:DWORD
	v_lshlrev_b32_e32 v116, 3, v116
	v_cndmask_b32_e32 v113, 7, v113, vcc_lo
	v_and_b32_e32 v116, 0xf8, v116
	v_and_b32_e32 v79, 7, v113
	v_or_b32_e32 v3, v3, v113
	v_or3_b32 v2, v116, v2, v79
	v_cmp_ne_u32_e32 vcc_lo, 0, v3
	v_cndmask_b32_e32 v79, 0, v2, vcc_lo
.LBB6_3399:                             ;   in Loop: Header=BB6_3020 Depth=2
	s_or_b32 exec_lo, exec_lo, s27
.LBB6_3400:                             ;   in Loop: Header=BB6_3020 Depth=2
	s_or_b32 exec_lo, exec_lo, s26
	v_cmp_gt_i16_sdwa s26, v32, v115 src0_sel:BYTE_3 src1_sel:DWORD
	s_mov_b32 s12, 0
	s_and_saveexec_b32 s27, s26
	s_xor_b32 s26, exec_lo, s27
	s_cbranch_execz .LBB6_4374
; %bb.3401:                             ;   in Loop: Header=BB6_3020 Depth=2
	v_cmp_eq_u16_sdwa s28, v32, v119 src0_sel:BYTE_3 src1_sel:DWORD
	s_mov_b32 s12, -1
	s_and_saveexec_b32 s27, s28
; %bb.3402:                             ;   in Loop: Header=BB6_3020 Depth=2
	s_xor_b32 s12, exec_lo, -1
; %bb.3403:                             ;   in Loop: Header=BB6_3020 Depth=2
	s_or_b32 exec_lo, exec_lo, s27
	s_and_b32 s12, s12, exec_lo
	s_or_saveexec_b32 s26, s26
	v_mov_b32_e32 v2, 0x7f800001
	s_xor_b32 exec_lo, exec_lo, s26
	s_cbranch_execnz .LBB6_4375
.LBB6_3404:                             ;   in Loop: Header=BB6_3020 Depth=2
	s_or_b32 exec_lo, exec_lo, s26
	s_and_saveexec_b32 s26, s12
	s_cbranch_execz .LBB6_3406
.LBB6_3405:                             ;   in Loop: Header=BB6_3020 Depth=2
	v_bfe_u32 v2, v32, 24, 3
	v_bfe_u32 v116, v32, 27, 4
	v_ffbh_u32_e32 v3, v2
	v_cmp_eq_u32_e32 vcc_lo, 0, v116
	v_min_u32_e32 v3, 32, v3
	v_subrev_nc_u32_e32 v113, 28, v3
	v_sub_nc_u32_e32 v3, 29, v3
	v_lshlrev_b32_sdwa v113, v113, v32 dst_sel:DWORD dst_unused:UNUSED_PAD src0_sel:DWORD src1_sel:BYTE_3
	v_cndmask_b32_e32 v3, v116, v3, vcc_lo
	v_and_b32_e32 v32, 0x80000000, v32
	v_and_b32_e32 v113, 7, v113
	v_lshl_add_u32 v3, v3, 23, 0x3b800000
	v_cndmask_b32_e32 v2, v2, v113, vcc_lo
	v_lshlrev_b32_e32 v2, 20, v2
	v_or3_b32 v2, v32, v3, v2
.LBB6_3406:                             ;   in Loop: Header=BB6_3020 Depth=2
	s_or_b32 exec_lo, exec_lo, s26
	v_cmp_gt_i16_sdwa s26, v26, v115 src0_sel:BYTE_3 src1_sel:DWORD
	s_mov_b32 s12, 0
	s_and_saveexec_b32 s27, s26
	s_xor_b32 s26, exec_lo, s27
	s_cbranch_execz .LBB6_4376
; %bb.3407:                             ;   in Loop: Header=BB6_3020 Depth=2
	v_cmp_eq_u16_sdwa s28, v26, v119 src0_sel:BYTE_3 src1_sel:DWORD
	s_mov_b32 s12, -1
	s_and_saveexec_b32 s27, s28
; %bb.3408:                             ;   in Loop: Header=BB6_3020 Depth=2
	s_xor_b32 s12, exec_lo, -1
; %bb.3409:                             ;   in Loop: Header=BB6_3020 Depth=2
	s_or_b32 exec_lo, exec_lo, s27
	s_and_b32 s12, s12, exec_lo
	s_or_saveexec_b32 s26, s26
	v_mov_b32_e32 v3, 0x7f800001
	s_xor_b32 exec_lo, exec_lo, s26
	s_cbranch_execnz .LBB6_4377
.LBB6_3410:                             ;   in Loop: Header=BB6_3020 Depth=2
	s_or_b32 exec_lo, exec_lo, s26
	s_and_saveexec_b32 s26, s12
	s_cbranch_execz .LBB6_3412
.LBB6_3411:                             ;   in Loop: Header=BB6_3020 Depth=2
	v_bfe_u32 v3, v26, 24, 3
	v_bfe_u32 v116, v26, 27, 4
	v_ffbh_u32_e32 v32, v3
	v_cmp_eq_u32_e32 vcc_lo, 0, v116
	v_min_u32_e32 v32, 32, v32
	v_subrev_nc_u32_e32 v113, 28, v32
	v_sub_nc_u32_e32 v32, 29, v32
	v_lshlrev_b32_sdwa v113, v113, v26 dst_sel:DWORD dst_unused:UNUSED_PAD src0_sel:DWORD src1_sel:BYTE_3
	v_cndmask_b32_e32 v32, v116, v32, vcc_lo
	v_and_b32_e32 v26, 0x80000000, v26
	v_and_b32_e32 v113, 7, v113
	v_lshl_add_u32 v32, v32, 23, 0x3b800000
	v_cndmask_b32_e32 v3, v3, v113, vcc_lo
	v_lshlrev_b32_e32 v3, 20, v3
	v_or3_b32 v3, v26, v32, v3
.LBB6_3412:                             ;   in Loop: Header=BB6_3020 Depth=2
	s_or_b32 exec_lo, exec_lo, s26
	v_add_f32_e32 v2, v2, v3
	v_mov_b32_e32 v26, 0x8000
	s_mov_b32 s26, exec_lo
	v_and_b32_e32 v3, 0x7f800000, v2
	v_cmpx_ne_u32_e32 0x7f800000, v3
	s_cbranch_execz .LBB6_3420
; %bb.3413:                             ;   in Loop: Header=BB6_3020 Depth=2
	v_mov_b32_e32 v26, 0
	s_mov_b32 s27, exec_lo
	v_cmpx_ne_u32_e32 0, v2
	s_cbranch_execz .LBB6_3419
; %bb.3414:                             ;   in Loop: Header=BB6_3020 Depth=2
	v_bfe_u32 v3, v2, 23, 8
	v_and_b32_e32 v26, 0x7fffff, v2
	v_sub_nc_u32_e32 v32, 0x78, v3
	v_cmp_gt_u32_e32 vcc_lo, 0x79, v3
	v_or_b32_e32 v113, 0x800000, v26
	v_cndmask_b32_e32 v32, 0, v32, vcc_lo
	v_cmp_eq_u32_e32 vcc_lo, 0, v3
	v_add_nc_u32_e32 v3, 0xffffff89, v3
	v_cndmask_b32_e64 v32, v32, 0x77, vcc_lo
	v_cndmask_b32_e32 v26, v113, v26, vcc_lo
	v_cndmask_b32_e64 v3, v3, 0xffffff8a, vcc_lo
	v_lshl_add_u32 v113, 0x100000, v32, -1
	v_lshrrev_b32_e32 v116, v32, v26
	v_lshlrev_b32_e64 v89, v32, 0x80000
	v_add_nc_u32_e32 v32, v32, v3
	v_and_b32_e32 v26, v113, v26
	v_bfe_u32 v88, v116, 20, 1
	v_cmp_eq_u32_e64 s12, v26, v89
	v_add_nc_u32_e32 v113, -1, v88
	v_cndmask_b32_e64 v26, 0, v113, s12
	v_lshrrev_b32_e32 v113, 23, v116
	s_mov_b32 s12, exec_lo
	v_add_nc_u32_e32 v26, v26, v116
	v_xor_b32_e32 v113, 1, v113
	v_and_b32_e32 v3, 0xfffff, v26
	v_add_nc_u32_e32 v26, v3, v116
                                        ; implicit-def: $vgpr3
	v_cmpx_ne_u32_e64 v32, v113
	s_xor_b32 s12, exec_lo, s12
; %bb.3415:                             ;   in Loop: Header=BB6_3020 Depth=2
	v_cmp_lt_u32_e32 vcc_lo, 0xffffff, v26
	v_sub_nc_u32_e32 v3, v32, v113
	v_cndmask_b32_e64 v32, 0, 1, vcc_lo
	v_add_co_ci_u32_e64 v3, null, 0, v3, vcc_lo
	v_lshrrev_b32_e32 v26, v32, v26
; %bb.3416:                             ;   in Loop: Header=BB6_3020 Depth=2
	s_andn2_saveexec_b32 s12, s12
; %bb.3417:                             ;   in Loop: Header=BB6_3020 Depth=2
	v_bfe_u32 v3, v26, 23, 1
; %bb.3418:                             ;   in Loop: Header=BB6_3020 Depth=2
	s_or_b32 exec_lo, exec_lo, s12
	v_lshrrev_b32_e32 v26, 20, v26
	v_min_i32_e32 v32, 15, v3
	v_cmp_gt_i32_e32 vcc_lo, 16, v3
	v_and_b32_sdwa v2, v2, v119 dst_sel:DWORD dst_unused:UNUSED_PAD src0_sel:BYTE_3 src1_sel:DWORD
	v_lshlrev_b32_e32 v32, 3, v32
	v_cndmask_b32_e32 v26, 7, v26, vcc_lo
	v_and_b32_e32 v32, 0xf8, v32
	v_and_b32_e32 v113, 7, v26
	v_or_b32_e32 v3, v3, v26
	v_or3_b32 v2, v2, v32, v113
	v_cmp_ne_u32_e32 vcc_lo, 0, v3
	v_lshlrev_b32_e32 v2, 8, v2
	v_cndmask_b32_e32 v26, 0, v2, vcc_lo
.LBB6_3419:                             ;   in Loop: Header=BB6_3020 Depth=2
	s_or_b32 exec_lo, exec_lo, s27
.LBB6_3420:                             ;   in Loop: Header=BB6_3020 Depth=2
	s_or_b32 exec_lo, exec_lo, s26
	v_cmp_gt_i16_sdwa s26, v33, v115 src0_sel:BYTE_0 src1_sel:DWORD
	s_mov_b32 s12, 0
	s_and_saveexec_b32 s27, s26
	s_xor_b32 s26, exec_lo, s27
	s_cbranch_execz .LBB6_4378
; %bb.3421:                             ;   in Loop: Header=BB6_3020 Depth=2
	v_cmp_eq_u16_sdwa s28, v33, v119 src0_sel:BYTE_0 src1_sel:DWORD
	s_mov_b32 s12, -1
	s_and_saveexec_b32 s27, s28
; %bb.3422:                             ;   in Loop: Header=BB6_3020 Depth=2
	s_xor_b32 s12, exec_lo, -1
; %bb.3423:                             ;   in Loop: Header=BB6_3020 Depth=2
	s_or_b32 exec_lo, exec_lo, s27
	s_and_b32 s12, s12, exec_lo
	s_or_saveexec_b32 s26, s26
	v_mov_b32_e32 v2, 0x7f800001
	s_xor_b32 exec_lo, exec_lo, s26
	s_cbranch_execnz .LBB6_4379
.LBB6_3424:                             ;   in Loop: Header=BB6_3020 Depth=2
	s_or_b32 exec_lo, exec_lo, s26
	s_and_saveexec_b32 s26, s12
	s_cbranch_execz .LBB6_3426
.LBB6_3425:                             ;   in Loop: Header=BB6_3020 Depth=2
	v_and_b32_e32 v2, 7, v33
	v_bfe_u32 v113, v33, 3, 4
	v_lshlrev_b32_e32 v116, 24, v33
	v_ffbh_u32_e32 v3, v2
	v_cmp_eq_u32_e32 vcc_lo, 0, v113
	v_min_u32_e32 v3, 32, v3
	v_subrev_nc_u32_e32 v32, 28, v3
	v_sub_nc_u32_e32 v3, 29, v3
	v_lshlrev_b32_e32 v32, v32, v33
	v_cndmask_b32_e32 v3, v113, v3, vcc_lo
	v_and_b32_e32 v32, 7, v32
	v_lshl_add_u32 v3, v3, 23, 0x3b800000
	v_cndmask_b32_e32 v2, v2, v32, vcc_lo
	v_and_b32_e32 v32, 0x80000000, v116
	v_lshlrev_b32_e32 v2, 20, v2
	v_or3_b32 v2, v32, v3, v2
.LBB6_3426:                             ;   in Loop: Header=BB6_3020 Depth=2
	s_or_b32 exec_lo, exec_lo, s26
	v_cmp_gt_i16_sdwa s26, v27, v115 src0_sel:BYTE_0 src1_sel:DWORD
	s_mov_b32 s12, 0
	s_and_saveexec_b32 s27, s26
	s_xor_b32 s26, exec_lo, s27
	s_cbranch_execz .LBB6_4380
; %bb.3427:                             ;   in Loop: Header=BB6_3020 Depth=2
	v_cmp_eq_u16_sdwa s28, v27, v119 src0_sel:BYTE_0 src1_sel:DWORD
	s_mov_b32 s12, -1
	s_and_saveexec_b32 s27, s28
; %bb.3428:                             ;   in Loop: Header=BB6_3020 Depth=2
	s_xor_b32 s12, exec_lo, -1
; %bb.3429:                             ;   in Loop: Header=BB6_3020 Depth=2
	s_or_b32 exec_lo, exec_lo, s27
	s_and_b32 s12, s12, exec_lo
	s_or_saveexec_b32 s26, s26
	v_mov_b32_e32 v3, 0x7f800001
	s_xor_b32 exec_lo, exec_lo, s26
	s_cbranch_execnz .LBB6_4381
.LBB6_3430:                             ;   in Loop: Header=BB6_3020 Depth=2
	s_or_b32 exec_lo, exec_lo, s26
	s_and_saveexec_b32 s26, s12
	s_cbranch_execz .LBB6_3432
.LBB6_3431:                             ;   in Loop: Header=BB6_3020 Depth=2
	v_and_b32_e32 v3, 7, v27
	v_bfe_u32 v116, v27, 3, 4
	v_lshlrev_b32_e32 v88, 24, v27
	v_ffbh_u32_e32 v32, v3
	v_cmp_eq_u32_e32 vcc_lo, 0, v116
	v_min_u32_e32 v32, 32, v32
	v_subrev_nc_u32_e32 v113, 28, v32
	v_sub_nc_u32_e32 v32, 29, v32
	v_lshlrev_b32_e32 v113, v113, v27
	v_cndmask_b32_e32 v32, v116, v32, vcc_lo
	v_and_b32_e32 v113, 7, v113
	v_lshl_add_u32 v32, v32, 23, 0x3b800000
	v_cndmask_b32_e32 v3, v3, v113, vcc_lo
	v_and_b32_e32 v113, 0x80000000, v88
	v_lshlrev_b32_e32 v3, 20, v3
	v_or3_b32 v3, v113, v32, v3
.LBB6_3432:                             ;   in Loop: Header=BB6_3020 Depth=2
	s_or_b32 exec_lo, exec_lo, s26
	v_add_f32_e32 v2, v2, v3
	v_mov_b32_e32 v32, 0x80
	s_mov_b32 s26, exec_lo
	v_and_b32_e32 v3, 0x7f800000, v2
	v_cmpx_ne_u32_e32 0x7f800000, v3
	s_cbranch_execz .LBB6_3440
; %bb.3433:                             ;   in Loop: Header=BB6_3020 Depth=2
	v_mov_b32_e32 v32, 0
	s_mov_b32 s27, exec_lo
	v_cmpx_ne_u32_e32 0, v2
	s_cbranch_execz .LBB6_3439
; %bb.3434:                             ;   in Loop: Header=BB6_3020 Depth=2
	v_bfe_u32 v3, v2, 23, 8
	v_and_b32_e32 v32, 0x7fffff, v2
	v_sub_nc_u32_e32 v113, 0x78, v3
	v_cmp_gt_u32_e32 vcc_lo, 0x79, v3
	v_or_b32_e32 v116, 0x800000, v32
	v_cndmask_b32_e32 v113, 0, v113, vcc_lo
	v_cmp_eq_u32_e32 vcc_lo, 0, v3
	v_add_nc_u32_e32 v3, 0xffffff89, v3
	v_cndmask_b32_e64 v113, v113, 0x77, vcc_lo
	v_cndmask_b32_e32 v32, v116, v32, vcc_lo
	v_cndmask_b32_e64 v3, v3, 0xffffff8a, vcc_lo
	v_lshl_add_u32 v116, 0x100000, v113, -1
	v_lshrrev_b32_e32 v88, v113, v32
	v_lshlrev_b32_e64 v90, v113, 0x80000
	v_add_nc_u32_e32 v113, v113, v3
	v_and_b32_e32 v32, v116, v32
	v_bfe_u32 v89, v88, 20, 1
	v_cmp_eq_u32_e64 s12, v32, v90
	v_add_nc_u32_e32 v116, -1, v89
	v_cndmask_b32_e64 v32, 0, v116, s12
	v_lshrrev_b32_e32 v116, 23, v88
	s_mov_b32 s12, exec_lo
	v_add_nc_u32_e32 v32, v32, v88
	v_xor_b32_e32 v116, 1, v116
	v_and_b32_e32 v3, 0xfffff, v32
	v_add_nc_u32_e32 v32, v3, v88
                                        ; implicit-def: $vgpr3
	v_cmpx_ne_u32_e64 v113, v116
	s_xor_b32 s12, exec_lo, s12
; %bb.3435:                             ;   in Loop: Header=BB6_3020 Depth=2
	v_cmp_lt_u32_e32 vcc_lo, 0xffffff, v32
	v_sub_nc_u32_e32 v3, v113, v116
	v_cndmask_b32_e64 v113, 0, 1, vcc_lo
	v_add_co_ci_u32_e64 v3, null, 0, v3, vcc_lo
	v_lshrrev_b32_e32 v32, v113, v32
; %bb.3436:                             ;   in Loop: Header=BB6_3020 Depth=2
	s_andn2_saveexec_b32 s12, s12
; %bb.3437:                             ;   in Loop: Header=BB6_3020 Depth=2
	v_bfe_u32 v3, v32, 23, 1
; %bb.3438:                             ;   in Loop: Header=BB6_3020 Depth=2
	s_or_b32 exec_lo, exec_lo, s12
	v_lshrrev_b32_e32 v32, 20, v32
	v_min_i32_e32 v113, 15, v3
	v_cmp_gt_i32_e32 vcc_lo, 16, v3
	v_and_b32_sdwa v2, v2, v119 dst_sel:DWORD dst_unused:UNUSED_PAD src0_sel:BYTE_3 src1_sel:DWORD
	v_lshlrev_b32_e32 v113, 3, v113
	v_cndmask_b32_e32 v32, 7, v32, vcc_lo
	v_and_b32_e32 v113, 0xf8, v113
	v_and_b32_e32 v116, 7, v32
	v_or_b32_e32 v3, v3, v32
	v_or3_b32 v2, v113, v2, v116
	v_cmp_ne_u32_e32 vcc_lo, 0, v3
	v_cndmask_b32_e32 v32, 0, v2, vcc_lo
.LBB6_3439:                             ;   in Loop: Header=BB6_3020 Depth=2
	s_or_b32 exec_lo, exec_lo, s27
.LBB6_3440:                             ;   in Loop: Header=BB6_3020 Depth=2
	s_or_b32 exec_lo, exec_lo, s26
	v_cmp_gt_i16_sdwa s26, v33, v115 src0_sel:BYTE_1 src1_sel:DWORD
	s_mov_b32 s12, 0
	s_and_saveexec_b32 s27, s26
	s_xor_b32 s26, exec_lo, s27
	s_cbranch_execz .LBB6_4382
; %bb.3441:                             ;   in Loop: Header=BB6_3020 Depth=2
	v_cmp_eq_u16_sdwa s28, v33, v119 src0_sel:BYTE_1 src1_sel:DWORD
	s_mov_b32 s12, -1
	s_and_saveexec_b32 s27, s28
; %bb.3442:                             ;   in Loop: Header=BB6_3020 Depth=2
	s_xor_b32 s12, exec_lo, -1
; %bb.3443:                             ;   in Loop: Header=BB6_3020 Depth=2
	s_or_b32 exec_lo, exec_lo, s27
	s_and_b32 s12, s12, exec_lo
	s_or_saveexec_b32 s26, s26
	v_mov_b32_e32 v2, 0x7f800001
	s_xor_b32 exec_lo, exec_lo, s26
	s_cbranch_execnz .LBB6_4383
.LBB6_3444:                             ;   in Loop: Header=BB6_3020 Depth=2
	s_or_b32 exec_lo, exec_lo, s26
	s_and_saveexec_b32 s26, s12
	s_cbranch_execz .LBB6_3446
.LBB6_3445:                             ;   in Loop: Header=BB6_3020 Depth=2
	v_and_b32_sdwa v2, v41, v33 dst_sel:DWORD dst_unused:UNUSED_PAD src0_sel:DWORD src1_sel:BYTE_1
	v_and_b32_e32 v3, 7, v2
	v_bfe_u32 v88, v2, 3, 4
	v_ffbh_u32_e32 v113, v3
	v_cmp_eq_u32_e32 vcc_lo, 0, v88
	v_min_u32_e32 v113, 32, v113
	v_subrev_nc_u32_e32 v116, 28, v113
	v_sub_nc_u32_e32 v113, 29, v113
	v_lshlrev_b32_e32 v2, v116, v2
	v_lshlrev_b32_sdwa v116, v47, v33 dst_sel:DWORD dst_unused:UNUSED_PAD src0_sel:DWORD src1_sel:BYTE_1
	v_cndmask_b32_e32 v113, v88, v113, vcc_lo
	v_and_b32_e32 v2, 7, v2
	v_lshl_add_u32 v113, v113, 23, 0x3b800000
	v_cndmask_b32_e32 v2, v3, v2, vcc_lo
	v_and_b32_e32 v3, 0x80000000, v116
	v_lshlrev_b32_e32 v2, 20, v2
	v_or3_b32 v2, v3, v113, v2
.LBB6_3446:                             ;   in Loop: Header=BB6_3020 Depth=2
	s_or_b32 exec_lo, exec_lo, s26
	v_cmp_gt_i16_sdwa s26, v27, v115 src0_sel:BYTE_1 src1_sel:DWORD
	s_mov_b32 s12, 0
	s_and_saveexec_b32 s27, s26
	s_xor_b32 s26, exec_lo, s27
	s_cbranch_execz .LBB6_4384
; %bb.3447:                             ;   in Loop: Header=BB6_3020 Depth=2
	v_cmp_eq_u16_sdwa s28, v27, v119 src0_sel:BYTE_1 src1_sel:DWORD
	s_mov_b32 s12, -1
	s_and_saveexec_b32 s27, s28
; %bb.3448:                             ;   in Loop: Header=BB6_3020 Depth=2
	s_xor_b32 s12, exec_lo, -1
; %bb.3449:                             ;   in Loop: Header=BB6_3020 Depth=2
	s_or_b32 exec_lo, exec_lo, s27
	s_and_b32 s12, s12, exec_lo
	s_or_saveexec_b32 s26, s26
	v_mov_b32_e32 v3, 0x7f800001
	s_xor_b32 exec_lo, exec_lo, s26
	s_cbranch_execnz .LBB6_4385
.LBB6_3450:                             ;   in Loop: Header=BB6_3020 Depth=2
	s_or_b32 exec_lo, exec_lo, s26
	s_and_saveexec_b32 s26, s12
	s_cbranch_execz .LBB6_3452
.LBB6_3451:                             ;   in Loop: Header=BB6_3020 Depth=2
	v_and_b32_sdwa v3, v41, v27 dst_sel:DWORD dst_unused:UNUSED_PAD src0_sel:DWORD src1_sel:BYTE_1
	v_and_b32_e32 v113, 7, v3
	v_bfe_u32 v89, v3, 3, 4
	v_ffbh_u32_e32 v116, v113
	v_cmp_eq_u32_e32 vcc_lo, 0, v89
	v_min_u32_e32 v116, 32, v116
	v_subrev_nc_u32_e32 v88, 28, v116
	v_sub_nc_u32_e32 v116, 29, v116
	v_lshlrev_b32_e32 v3, v88, v3
	v_lshlrev_b32_sdwa v88, v47, v27 dst_sel:DWORD dst_unused:UNUSED_PAD src0_sel:DWORD src1_sel:BYTE_1
	v_cndmask_b32_e32 v116, v89, v116, vcc_lo
	v_and_b32_e32 v3, 7, v3
	v_lshl_add_u32 v116, v116, 23, 0x3b800000
	v_cndmask_b32_e32 v3, v113, v3, vcc_lo
	v_and_b32_e32 v113, 0x80000000, v88
	v_lshlrev_b32_e32 v3, 20, v3
	v_or3_b32 v3, v113, v116, v3
.LBB6_3452:                             ;   in Loop: Header=BB6_3020 Depth=2
	s_or_b32 exec_lo, exec_lo, s26
	v_add_f32_e32 v2, v2, v3
	v_mov_b32_e32 v88, 0x8000
	s_mov_b32 s26, exec_lo
	v_and_b32_e32 v3, 0x7f800000, v2
	v_cmpx_ne_u32_e32 0x7f800000, v3
	s_cbranch_execz .LBB6_3460
; %bb.3453:                             ;   in Loop: Header=BB6_3020 Depth=2
	v_mov_b32_e32 v88, 0
	s_mov_b32 s27, exec_lo
	v_cmpx_ne_u32_e32 0, v2
	s_cbranch_execz .LBB6_3459
; %bb.3454:                             ;   in Loop: Header=BB6_3020 Depth=2
	v_bfe_u32 v3, v2, 23, 8
	v_and_b32_e32 v113, 0x7fffff, v2
	v_sub_nc_u32_e32 v116, 0x78, v3
	v_cmp_gt_u32_e32 vcc_lo, 0x79, v3
	v_or_b32_e32 v88, 0x800000, v113
	v_cndmask_b32_e32 v116, 0, v116, vcc_lo
	v_cmp_eq_u32_e32 vcc_lo, 0, v3
	v_add_nc_u32_e32 v3, 0xffffff89, v3
	v_cndmask_b32_e64 v116, v116, 0x77, vcc_lo
	v_cndmask_b32_e32 v113, v88, v113, vcc_lo
	v_cndmask_b32_e64 v3, v3, 0xffffff8a, vcc_lo
	v_lshl_add_u32 v88, 0x100000, v116, -1
	v_lshrrev_b32_e32 v89, v116, v113
	v_lshlrev_b32_e64 v91, v116, 0x80000
	v_add_nc_u32_e32 v116, v116, v3
	v_and_b32_e32 v113, v88, v113
	v_bfe_u32 v90, v89, 20, 1
	v_cmp_eq_u32_e64 s12, v113, v91
	v_add_nc_u32_e32 v88, -1, v90
	v_cndmask_b32_e64 v113, 0, v88, s12
	v_lshrrev_b32_e32 v88, 23, v89
	s_mov_b32 s12, exec_lo
	v_add_nc_u32_e32 v113, v113, v89
	v_xor_b32_e32 v88, 1, v88
	v_and_b32_e32 v3, 0xfffff, v113
	v_add_nc_u32_e32 v113, v3, v89
                                        ; implicit-def: $vgpr3
	v_cmpx_ne_u32_e64 v116, v88
	s_xor_b32 s12, exec_lo, s12
; %bb.3455:                             ;   in Loop: Header=BB6_3020 Depth=2
	v_cmp_lt_u32_e32 vcc_lo, 0xffffff, v113
	v_sub_nc_u32_e32 v3, v116, v88
	v_cndmask_b32_e64 v116, 0, 1, vcc_lo
	v_add_co_ci_u32_e64 v3, null, 0, v3, vcc_lo
	v_lshrrev_b32_e32 v113, v116, v113
; %bb.3456:                             ;   in Loop: Header=BB6_3020 Depth=2
	s_andn2_saveexec_b32 s12, s12
; %bb.3457:                             ;   in Loop: Header=BB6_3020 Depth=2
	v_bfe_u32 v3, v113, 23, 1
; %bb.3458:                             ;   in Loop: Header=BB6_3020 Depth=2
	s_or_b32 exec_lo, exec_lo, s12
	v_lshrrev_b32_e32 v113, 20, v113
	v_min_i32_e32 v116, 15, v3
	v_cmp_gt_i32_e32 vcc_lo, 16, v3
	v_and_b32_sdwa v2, v2, v119 dst_sel:DWORD dst_unused:UNUSED_PAD src0_sel:BYTE_3 src1_sel:DWORD
	v_lshlrev_b32_e32 v116, 3, v116
	v_cndmask_b32_e32 v113, 7, v113, vcc_lo
	v_and_b32_e32 v116, 0xf8, v116
	v_and_b32_e32 v88, 7, v113
	v_or_b32_e32 v3, v3, v113
	v_or3_b32 v2, v2, v116, v88
	v_cmp_ne_u32_e32 vcc_lo, 0, v3
	v_lshlrev_b32_e32 v2, 8, v2
	v_cndmask_b32_e32 v88, 0, v2, vcc_lo
.LBB6_3459:                             ;   in Loop: Header=BB6_3020 Depth=2
	s_or_b32 exec_lo, exec_lo, s27
.LBB6_3460:                             ;   in Loop: Header=BB6_3020 Depth=2
	s_or_b32 exec_lo, exec_lo, s26
	v_and_b32_sdwa v3, v33, v56 dst_sel:DWORD dst_unused:UNUSED_PAD src0_sel:WORD_1 src1_sel:DWORD
	s_mov_b32 s12, 0
	s_mov_b32 s26, exec_lo
	v_cmpx_lt_i16_e32 0x7f, v3
	s_xor_b32 s26, exec_lo, s26
	s_cbranch_execz .LBB6_4386
; %bb.3461:                             ;   in Loop: Header=BB6_3020 Depth=2
	s_mov_b32 s12, -1
	s_mov_b32 s27, exec_lo
	v_cmpx_eq_u16_e32 0x80, v3
; %bb.3462:                             ;   in Loop: Header=BB6_3020 Depth=2
	s_xor_b32 s12, exec_lo, -1
; %bb.3463:                             ;   in Loop: Header=BB6_3020 Depth=2
	s_or_b32 exec_lo, exec_lo, s27
	s_and_b32 s12, s12, exec_lo
                                        ; implicit-def: $vgpr3
	s_or_saveexec_b32 s26, s26
	v_mov_b32_e32 v2, 0x7f800001
	s_xor_b32 exec_lo, exec_lo, s26
	s_cbranch_execnz .LBB6_4387
.LBB6_3464:                             ;   in Loop: Header=BB6_3020 Depth=2
	s_or_b32 exec_lo, exec_lo, s26
	s_and_saveexec_b32 s26, s12
	s_cbranch_execz .LBB6_3466
.LBB6_3465:                             ;   in Loop: Header=BB6_3020 Depth=2
	v_bfe_u32 v2, v33, 16, 3
	v_bfe_u32 v116, v33, 19, 4
	v_lshlrev_b32_e32 v89, 8, v33
	v_ffbh_u32_e32 v3, v2
	v_cmp_eq_u32_e32 vcc_lo, 0, v116
	v_min_u32_e32 v3, 32, v3
	v_subrev_nc_u32_e32 v113, 28, v3
	v_sub_nc_u32_e32 v3, 29, v3
	v_lshlrev_b32_sdwa v113, v113, v33 dst_sel:DWORD dst_unused:UNUSED_PAD src0_sel:DWORD src1_sel:WORD_1
	v_cndmask_b32_e32 v3, v116, v3, vcc_lo
	v_and_b32_e32 v113, 7, v113
	v_lshl_add_u32 v3, v3, 23, 0x3b800000
	v_cndmask_b32_e32 v2, v2, v113, vcc_lo
	v_and_b32_e32 v113, 0x80000000, v89
	v_lshlrev_b32_e32 v2, 20, v2
	v_or3_b32 v2, v113, v3, v2
.LBB6_3466:                             ;   in Loop: Header=BB6_3020 Depth=2
	s_or_b32 exec_lo, exec_lo, s26
	v_and_b32_sdwa v113, v27, v56 dst_sel:DWORD dst_unused:UNUSED_PAD src0_sel:WORD_1 src1_sel:DWORD
	s_mov_b32 s12, 0
	s_mov_b32 s26, exec_lo
	v_cmpx_lt_i16_e32 0x7f, v113
	s_xor_b32 s26, exec_lo, s26
	s_cbranch_execz .LBB6_4388
; %bb.3467:                             ;   in Loop: Header=BB6_3020 Depth=2
	s_mov_b32 s12, -1
	s_mov_b32 s27, exec_lo
	v_cmpx_eq_u16_e32 0x80, v113
; %bb.3468:                             ;   in Loop: Header=BB6_3020 Depth=2
	s_xor_b32 s12, exec_lo, -1
; %bb.3469:                             ;   in Loop: Header=BB6_3020 Depth=2
	s_or_b32 exec_lo, exec_lo, s27
	s_and_b32 s12, s12, exec_lo
                                        ; implicit-def: $vgpr113
	s_or_saveexec_b32 s26, s26
	v_mov_b32_e32 v3, 0x7f800001
	s_xor_b32 exec_lo, exec_lo, s26
	s_cbranch_execnz .LBB6_4389
.LBB6_3470:                             ;   in Loop: Header=BB6_3020 Depth=2
	s_or_b32 exec_lo, exec_lo, s26
	s_and_saveexec_b32 s26, s12
	s_cbranch_execz .LBB6_3472
.LBB6_3471:                             ;   in Loop: Header=BB6_3020 Depth=2
	v_bfe_u32 v3, v27, 16, 3
	v_bfe_u32 v89, v27, 19, 4
	v_lshlrev_b32_e32 v90, 8, v27
	v_ffbh_u32_e32 v113, v3
	v_cmp_eq_u32_e32 vcc_lo, 0, v89
	v_min_u32_e32 v113, 32, v113
	v_subrev_nc_u32_e32 v116, 28, v113
	v_sub_nc_u32_e32 v113, 29, v113
	v_lshlrev_b32_sdwa v116, v116, v27 dst_sel:DWORD dst_unused:UNUSED_PAD src0_sel:DWORD src1_sel:WORD_1
	v_cndmask_b32_e32 v113, v89, v113, vcc_lo
	v_and_b32_e32 v116, 7, v116
	v_lshl_add_u32 v113, v113, 23, 0x3b800000
	v_cndmask_b32_e32 v3, v3, v116, vcc_lo
	v_and_b32_e32 v116, 0x80000000, v90
	v_lshlrev_b32_e32 v3, 20, v3
	v_or3_b32 v3, v116, v113, v3
.LBB6_3472:                             ;   in Loop: Header=BB6_3020 Depth=2
	s_or_b32 exec_lo, exec_lo, s26
	v_add_f32_e32 v2, v2, v3
	v_mov_b32_e32 v89, 0x80
	s_mov_b32 s26, exec_lo
	v_and_b32_e32 v3, 0x7f800000, v2
	v_cmpx_ne_u32_e32 0x7f800000, v3
	s_cbranch_execz .LBB6_3480
; %bb.3473:                             ;   in Loop: Header=BB6_3020 Depth=2
	v_mov_b32_e32 v89, 0
	s_mov_b32 s27, exec_lo
	v_cmpx_ne_u32_e32 0, v2
	s_cbranch_execz .LBB6_3479
; %bb.3474:                             ;   in Loop: Header=BB6_3020 Depth=2
	v_bfe_u32 v3, v2, 23, 8
	v_and_b32_e32 v113, 0x7fffff, v2
	v_sub_nc_u32_e32 v116, 0x78, v3
	v_cmp_gt_u32_e32 vcc_lo, 0x79, v3
	v_or_b32_e32 v89, 0x800000, v113
	v_cndmask_b32_e32 v116, 0, v116, vcc_lo
	v_cmp_eq_u32_e32 vcc_lo, 0, v3
	v_add_nc_u32_e32 v3, 0xffffff89, v3
	v_cndmask_b32_e64 v116, v116, 0x77, vcc_lo
	v_cndmask_b32_e32 v113, v89, v113, vcc_lo
	v_cndmask_b32_e64 v3, v3, 0xffffff8a, vcc_lo
	v_lshl_add_u32 v89, 0x100000, v116, -1
	v_lshrrev_b32_e32 v90, v116, v113
	v_lshlrev_b32_e64 v92, v116, 0x80000
	v_add_nc_u32_e32 v116, v116, v3
	v_and_b32_e32 v113, v89, v113
	v_bfe_u32 v91, v90, 20, 1
	v_cmp_eq_u32_e64 s12, v113, v92
	v_add_nc_u32_e32 v89, -1, v91
	v_cndmask_b32_e64 v113, 0, v89, s12
	v_lshrrev_b32_e32 v89, 23, v90
	s_mov_b32 s12, exec_lo
	v_add_nc_u32_e32 v113, v113, v90
	v_xor_b32_e32 v89, 1, v89
	v_and_b32_e32 v3, 0xfffff, v113
	v_add_nc_u32_e32 v113, v3, v90
                                        ; implicit-def: $vgpr3
	v_cmpx_ne_u32_e64 v116, v89
	s_xor_b32 s12, exec_lo, s12
; %bb.3475:                             ;   in Loop: Header=BB6_3020 Depth=2
	v_cmp_lt_u32_e32 vcc_lo, 0xffffff, v113
	v_sub_nc_u32_e32 v3, v116, v89
	v_cndmask_b32_e64 v116, 0, 1, vcc_lo
	v_add_co_ci_u32_e64 v3, null, 0, v3, vcc_lo
	v_lshrrev_b32_e32 v113, v116, v113
; %bb.3476:                             ;   in Loop: Header=BB6_3020 Depth=2
	s_andn2_saveexec_b32 s12, s12
; %bb.3477:                             ;   in Loop: Header=BB6_3020 Depth=2
	v_bfe_u32 v3, v113, 23, 1
; %bb.3478:                             ;   in Loop: Header=BB6_3020 Depth=2
	s_or_b32 exec_lo, exec_lo, s12
	v_lshrrev_b32_e32 v113, 20, v113
	v_min_i32_e32 v116, 15, v3
	v_cmp_gt_i32_e32 vcc_lo, 16, v3
	v_and_b32_sdwa v2, v2, v119 dst_sel:DWORD dst_unused:UNUSED_PAD src0_sel:BYTE_3 src1_sel:DWORD
	v_lshlrev_b32_e32 v116, 3, v116
	v_cndmask_b32_e32 v113, 7, v113, vcc_lo
	v_and_b32_e32 v116, 0xf8, v116
	v_and_b32_e32 v89, 7, v113
	v_or_b32_e32 v3, v3, v113
	v_or3_b32 v2, v116, v2, v89
	v_cmp_ne_u32_e32 vcc_lo, 0, v3
	v_cndmask_b32_e32 v89, 0, v2, vcc_lo
.LBB6_3479:                             ;   in Loop: Header=BB6_3020 Depth=2
	s_or_b32 exec_lo, exec_lo, s27
.LBB6_3480:                             ;   in Loop: Header=BB6_3020 Depth=2
	s_or_b32 exec_lo, exec_lo, s26
	v_cmp_gt_i16_sdwa s26, v33, v115 src0_sel:BYTE_3 src1_sel:DWORD
	s_mov_b32 s12, 0
	s_and_saveexec_b32 s27, s26
	s_xor_b32 s26, exec_lo, s27
	s_cbranch_execz .LBB6_4390
; %bb.3481:                             ;   in Loop: Header=BB6_3020 Depth=2
	v_cmp_eq_u16_sdwa s28, v33, v119 src0_sel:BYTE_3 src1_sel:DWORD
	s_mov_b32 s12, -1
	s_and_saveexec_b32 s27, s28
; %bb.3482:                             ;   in Loop: Header=BB6_3020 Depth=2
	s_xor_b32 s12, exec_lo, -1
; %bb.3483:                             ;   in Loop: Header=BB6_3020 Depth=2
	s_or_b32 exec_lo, exec_lo, s27
	s_and_b32 s12, s12, exec_lo
	s_or_saveexec_b32 s26, s26
	v_mov_b32_e32 v2, 0x7f800001
	s_xor_b32 exec_lo, exec_lo, s26
	s_cbranch_execnz .LBB6_4391
.LBB6_3484:                             ;   in Loop: Header=BB6_3020 Depth=2
	s_or_b32 exec_lo, exec_lo, s26
	s_and_saveexec_b32 s26, s12
	s_cbranch_execz .LBB6_3486
.LBB6_3485:                             ;   in Loop: Header=BB6_3020 Depth=2
	v_bfe_u32 v2, v33, 24, 3
	v_bfe_u32 v116, v33, 27, 4
	v_ffbh_u32_e32 v3, v2
	v_cmp_eq_u32_e32 vcc_lo, 0, v116
	v_min_u32_e32 v3, 32, v3
	v_subrev_nc_u32_e32 v113, 28, v3
	v_sub_nc_u32_e32 v3, 29, v3
	v_lshlrev_b32_sdwa v113, v113, v33 dst_sel:DWORD dst_unused:UNUSED_PAD src0_sel:DWORD src1_sel:BYTE_3
	v_cndmask_b32_e32 v3, v116, v3, vcc_lo
	v_and_b32_e32 v33, 0x80000000, v33
	v_and_b32_e32 v113, 7, v113
	v_lshl_add_u32 v3, v3, 23, 0x3b800000
	v_cndmask_b32_e32 v2, v2, v113, vcc_lo
	v_lshlrev_b32_e32 v2, 20, v2
	v_or3_b32 v2, v33, v3, v2
.LBB6_3486:                             ;   in Loop: Header=BB6_3020 Depth=2
	s_or_b32 exec_lo, exec_lo, s26
	v_cmp_gt_i16_sdwa s26, v27, v115 src0_sel:BYTE_3 src1_sel:DWORD
	s_mov_b32 s12, 0
	s_and_saveexec_b32 s27, s26
	s_xor_b32 s26, exec_lo, s27
	s_cbranch_execz .LBB6_4392
; %bb.3487:                             ;   in Loop: Header=BB6_3020 Depth=2
	v_cmp_eq_u16_sdwa s28, v27, v119 src0_sel:BYTE_3 src1_sel:DWORD
	s_mov_b32 s12, -1
	s_and_saveexec_b32 s27, s28
; %bb.3488:                             ;   in Loop: Header=BB6_3020 Depth=2
	s_xor_b32 s12, exec_lo, -1
; %bb.3489:                             ;   in Loop: Header=BB6_3020 Depth=2
	s_or_b32 exec_lo, exec_lo, s27
	s_and_b32 s12, s12, exec_lo
	s_or_saveexec_b32 s26, s26
	v_mov_b32_e32 v3, 0x7f800001
	s_xor_b32 exec_lo, exec_lo, s26
	s_cbranch_execnz .LBB6_4393
.LBB6_3490:                             ;   in Loop: Header=BB6_3020 Depth=2
	s_or_b32 exec_lo, exec_lo, s26
	s_and_saveexec_b32 s26, s12
	s_cbranch_execz .LBB6_3492
.LBB6_3491:                             ;   in Loop: Header=BB6_3020 Depth=2
	v_bfe_u32 v3, v27, 24, 3
	v_bfe_u32 v116, v27, 27, 4
	v_ffbh_u32_e32 v33, v3
	v_cmp_eq_u32_e32 vcc_lo, 0, v116
	v_min_u32_e32 v33, 32, v33
	v_subrev_nc_u32_e32 v113, 28, v33
	v_sub_nc_u32_e32 v33, 29, v33
	v_lshlrev_b32_sdwa v113, v113, v27 dst_sel:DWORD dst_unused:UNUSED_PAD src0_sel:DWORD src1_sel:BYTE_3
	v_cndmask_b32_e32 v33, v116, v33, vcc_lo
	v_and_b32_e32 v27, 0x80000000, v27
	v_and_b32_e32 v113, 7, v113
	v_lshl_add_u32 v33, v33, 23, 0x3b800000
	v_cndmask_b32_e32 v3, v3, v113, vcc_lo
	v_lshlrev_b32_e32 v3, 20, v3
	v_or3_b32 v3, v27, v33, v3
.LBB6_3492:                             ;   in Loop: Header=BB6_3020 Depth=2
	s_or_b32 exec_lo, exec_lo, s26
	v_add_f32_e32 v2, v2, v3
	v_mov_b32_e32 v27, 0x8000
	s_mov_b32 s26, exec_lo
	v_and_b32_e32 v3, 0x7f800000, v2
	v_cmpx_ne_u32_e32 0x7f800000, v3
	s_cbranch_execz .LBB6_3500
; %bb.3493:                             ;   in Loop: Header=BB6_3020 Depth=2
	v_mov_b32_e32 v27, 0
	s_mov_b32 s27, exec_lo
	v_cmpx_ne_u32_e32 0, v2
	s_cbranch_execz .LBB6_3499
; %bb.3494:                             ;   in Loop: Header=BB6_3020 Depth=2
	v_bfe_u32 v3, v2, 23, 8
	v_and_b32_e32 v27, 0x7fffff, v2
	v_sub_nc_u32_e32 v33, 0x78, v3
	v_cmp_gt_u32_e32 vcc_lo, 0x79, v3
	v_or_b32_e32 v113, 0x800000, v27
	v_cndmask_b32_e32 v33, 0, v33, vcc_lo
	v_cmp_eq_u32_e32 vcc_lo, 0, v3
	v_add_nc_u32_e32 v3, 0xffffff89, v3
	v_cndmask_b32_e64 v33, v33, 0x77, vcc_lo
	v_cndmask_b32_e32 v27, v113, v27, vcc_lo
	v_cndmask_b32_e64 v3, v3, 0xffffff8a, vcc_lo
	v_lshl_add_u32 v113, 0x100000, v33, -1
	v_lshrrev_b32_e32 v116, v33, v27
	v_lshlrev_b32_e64 v91, v33, 0x80000
	v_add_nc_u32_e32 v33, v33, v3
	v_and_b32_e32 v27, v113, v27
	v_bfe_u32 v90, v116, 20, 1
	v_cmp_eq_u32_e64 s12, v27, v91
	v_add_nc_u32_e32 v113, -1, v90
	v_cndmask_b32_e64 v27, 0, v113, s12
	v_lshrrev_b32_e32 v113, 23, v116
	s_mov_b32 s12, exec_lo
	v_add_nc_u32_e32 v27, v27, v116
	v_xor_b32_e32 v113, 1, v113
	v_and_b32_e32 v3, 0xfffff, v27
	v_add_nc_u32_e32 v27, v3, v116
                                        ; implicit-def: $vgpr3
	v_cmpx_ne_u32_e64 v33, v113
	s_xor_b32 s12, exec_lo, s12
; %bb.3495:                             ;   in Loop: Header=BB6_3020 Depth=2
	v_cmp_lt_u32_e32 vcc_lo, 0xffffff, v27
	v_sub_nc_u32_e32 v3, v33, v113
	v_cndmask_b32_e64 v33, 0, 1, vcc_lo
	v_add_co_ci_u32_e64 v3, null, 0, v3, vcc_lo
	v_lshrrev_b32_e32 v27, v33, v27
; %bb.3496:                             ;   in Loop: Header=BB6_3020 Depth=2
	s_andn2_saveexec_b32 s12, s12
; %bb.3497:                             ;   in Loop: Header=BB6_3020 Depth=2
	v_bfe_u32 v3, v27, 23, 1
; %bb.3498:                             ;   in Loop: Header=BB6_3020 Depth=2
	s_or_b32 exec_lo, exec_lo, s12
	v_lshrrev_b32_e32 v27, 20, v27
	v_min_i32_e32 v33, 15, v3
	v_cmp_gt_i32_e32 vcc_lo, 16, v3
	v_and_b32_sdwa v2, v2, v119 dst_sel:DWORD dst_unused:UNUSED_PAD src0_sel:BYTE_3 src1_sel:DWORD
	v_lshlrev_b32_e32 v33, 3, v33
	v_cndmask_b32_e32 v27, 7, v27, vcc_lo
	v_and_b32_e32 v33, 0xf8, v33
	v_and_b32_e32 v113, 7, v27
	v_or_b32_e32 v3, v3, v27
	v_or3_b32 v2, v2, v33, v113
	v_cmp_ne_u32_e32 vcc_lo, 0, v3
	v_lshlrev_b32_e32 v2, 8, v2
	v_cndmask_b32_e32 v27, 0, v2, vcc_lo
.LBB6_3499:                             ;   in Loop: Header=BB6_3020 Depth=2
	s_or_b32 exec_lo, exec_lo, s27
.LBB6_3500:                             ;   in Loop: Header=BB6_3020 Depth=2
	s_or_b32 exec_lo, exec_lo, s26
	v_cmp_gt_i16_sdwa s26, v34, v115 src0_sel:BYTE_0 src1_sel:DWORD
	s_mov_b32 s12, 0
	s_and_saveexec_b32 s27, s26
	s_xor_b32 s26, exec_lo, s27
	s_cbranch_execz .LBB6_4394
; %bb.3501:                             ;   in Loop: Header=BB6_3020 Depth=2
	v_cmp_eq_u16_sdwa s28, v34, v119 src0_sel:BYTE_0 src1_sel:DWORD
	s_mov_b32 s12, -1
	s_and_saveexec_b32 s27, s28
; %bb.3502:                             ;   in Loop: Header=BB6_3020 Depth=2
	s_xor_b32 s12, exec_lo, -1
; %bb.3503:                             ;   in Loop: Header=BB6_3020 Depth=2
	s_or_b32 exec_lo, exec_lo, s27
	s_and_b32 s12, s12, exec_lo
	s_or_saveexec_b32 s26, s26
	v_mov_b32_e32 v2, 0x7f800001
	s_xor_b32 exec_lo, exec_lo, s26
	s_cbranch_execnz .LBB6_4395
.LBB6_3504:                             ;   in Loop: Header=BB6_3020 Depth=2
	s_or_b32 exec_lo, exec_lo, s26
	s_and_saveexec_b32 s26, s12
	s_cbranch_execz .LBB6_3506
.LBB6_3505:                             ;   in Loop: Header=BB6_3020 Depth=2
	v_and_b32_e32 v2, 7, v34
	v_bfe_u32 v113, v34, 3, 4
	v_lshlrev_b32_e32 v116, 24, v34
	v_ffbh_u32_e32 v3, v2
	v_cmp_eq_u32_e32 vcc_lo, 0, v113
	v_min_u32_e32 v3, 32, v3
	v_subrev_nc_u32_e32 v33, 28, v3
	v_sub_nc_u32_e32 v3, 29, v3
	v_lshlrev_b32_e32 v33, v33, v34
	v_cndmask_b32_e32 v3, v113, v3, vcc_lo
	v_and_b32_e32 v33, 7, v33
	v_lshl_add_u32 v3, v3, 23, 0x3b800000
	v_cndmask_b32_e32 v2, v2, v33, vcc_lo
	v_and_b32_e32 v33, 0x80000000, v116
	v_lshlrev_b32_e32 v2, 20, v2
	v_or3_b32 v2, v33, v3, v2
.LBB6_3506:                             ;   in Loop: Header=BB6_3020 Depth=2
	s_or_b32 exec_lo, exec_lo, s26
	v_cmp_gt_i16_sdwa s26, v28, v115 src0_sel:BYTE_0 src1_sel:DWORD
	s_mov_b32 s12, 0
	s_and_saveexec_b32 s27, s26
	s_xor_b32 s26, exec_lo, s27
	s_cbranch_execz .LBB6_4396
; %bb.3507:                             ;   in Loop: Header=BB6_3020 Depth=2
	v_cmp_eq_u16_sdwa s28, v28, v119 src0_sel:BYTE_0 src1_sel:DWORD
	s_mov_b32 s12, -1
	s_and_saveexec_b32 s27, s28
; %bb.3508:                             ;   in Loop: Header=BB6_3020 Depth=2
	s_xor_b32 s12, exec_lo, -1
; %bb.3509:                             ;   in Loop: Header=BB6_3020 Depth=2
	s_or_b32 exec_lo, exec_lo, s27
	s_and_b32 s12, s12, exec_lo
	s_or_saveexec_b32 s26, s26
	v_mov_b32_e32 v3, 0x7f800001
	s_xor_b32 exec_lo, exec_lo, s26
	s_cbranch_execnz .LBB6_4397
.LBB6_3510:                             ;   in Loop: Header=BB6_3020 Depth=2
	s_or_b32 exec_lo, exec_lo, s26
	s_and_saveexec_b32 s26, s12
	s_cbranch_execz .LBB6_3512
.LBB6_3511:                             ;   in Loop: Header=BB6_3020 Depth=2
	v_and_b32_e32 v3, 7, v28
	v_bfe_u32 v116, v28, 3, 4
	v_lshlrev_b32_e32 v90, 24, v28
	v_ffbh_u32_e32 v33, v3
	v_cmp_eq_u32_e32 vcc_lo, 0, v116
	v_min_u32_e32 v33, 32, v33
	v_subrev_nc_u32_e32 v113, 28, v33
	v_sub_nc_u32_e32 v33, 29, v33
	v_lshlrev_b32_e32 v113, v113, v28
	v_cndmask_b32_e32 v33, v116, v33, vcc_lo
	v_and_b32_e32 v113, 7, v113
	v_lshl_add_u32 v33, v33, 23, 0x3b800000
	v_cndmask_b32_e32 v3, v3, v113, vcc_lo
	v_and_b32_e32 v113, 0x80000000, v90
	v_lshlrev_b32_e32 v3, 20, v3
	v_or3_b32 v3, v113, v33, v3
.LBB6_3512:                             ;   in Loop: Header=BB6_3020 Depth=2
	s_or_b32 exec_lo, exec_lo, s26
	v_add_f32_e32 v2, v2, v3
	v_mov_b32_e32 v33, 0x80
	s_mov_b32 s26, exec_lo
	v_and_b32_e32 v3, 0x7f800000, v2
	v_cmpx_ne_u32_e32 0x7f800000, v3
	s_cbranch_execz .LBB6_3520
; %bb.3513:                             ;   in Loop: Header=BB6_3020 Depth=2
	v_mov_b32_e32 v33, 0
	s_mov_b32 s27, exec_lo
	v_cmpx_ne_u32_e32 0, v2
	s_cbranch_execz .LBB6_3519
; %bb.3514:                             ;   in Loop: Header=BB6_3020 Depth=2
	v_bfe_u32 v3, v2, 23, 8
	v_and_b32_e32 v33, 0x7fffff, v2
	v_sub_nc_u32_e32 v113, 0x78, v3
	v_cmp_gt_u32_e32 vcc_lo, 0x79, v3
	v_or_b32_e32 v116, 0x800000, v33
	v_cndmask_b32_e32 v113, 0, v113, vcc_lo
	v_cmp_eq_u32_e32 vcc_lo, 0, v3
	v_add_nc_u32_e32 v3, 0xffffff89, v3
	v_cndmask_b32_e64 v113, v113, 0x77, vcc_lo
	v_cndmask_b32_e32 v33, v116, v33, vcc_lo
	v_cndmask_b32_e64 v3, v3, 0xffffff8a, vcc_lo
	v_lshl_add_u32 v116, 0x100000, v113, -1
	v_lshrrev_b32_e32 v90, v113, v33
	v_lshlrev_b32_e64 v92, v113, 0x80000
	v_add_nc_u32_e32 v113, v113, v3
	v_and_b32_e32 v33, v116, v33
	v_bfe_u32 v91, v90, 20, 1
	v_cmp_eq_u32_e64 s12, v33, v92
	v_add_nc_u32_e32 v116, -1, v91
	v_cndmask_b32_e64 v33, 0, v116, s12
	v_lshrrev_b32_e32 v116, 23, v90
	s_mov_b32 s12, exec_lo
	v_add_nc_u32_e32 v33, v33, v90
	v_xor_b32_e32 v116, 1, v116
	v_and_b32_e32 v3, 0xfffff, v33
	v_add_nc_u32_e32 v33, v3, v90
                                        ; implicit-def: $vgpr3
	v_cmpx_ne_u32_e64 v113, v116
	s_xor_b32 s12, exec_lo, s12
; %bb.3515:                             ;   in Loop: Header=BB6_3020 Depth=2
	v_cmp_lt_u32_e32 vcc_lo, 0xffffff, v33
	v_sub_nc_u32_e32 v3, v113, v116
	v_cndmask_b32_e64 v113, 0, 1, vcc_lo
	v_add_co_ci_u32_e64 v3, null, 0, v3, vcc_lo
	v_lshrrev_b32_e32 v33, v113, v33
; %bb.3516:                             ;   in Loop: Header=BB6_3020 Depth=2
	s_andn2_saveexec_b32 s12, s12
; %bb.3517:                             ;   in Loop: Header=BB6_3020 Depth=2
	v_bfe_u32 v3, v33, 23, 1
; %bb.3518:                             ;   in Loop: Header=BB6_3020 Depth=2
	s_or_b32 exec_lo, exec_lo, s12
	v_lshrrev_b32_e32 v33, 20, v33
	v_min_i32_e32 v113, 15, v3
	v_cmp_gt_i32_e32 vcc_lo, 16, v3
	v_and_b32_sdwa v2, v2, v119 dst_sel:DWORD dst_unused:UNUSED_PAD src0_sel:BYTE_3 src1_sel:DWORD
	v_lshlrev_b32_e32 v113, 3, v113
	v_cndmask_b32_e32 v33, 7, v33, vcc_lo
	v_and_b32_e32 v113, 0xf8, v113
	v_and_b32_e32 v116, 7, v33
	v_or_b32_e32 v3, v3, v33
	v_or3_b32 v2, v113, v2, v116
	v_cmp_ne_u32_e32 vcc_lo, 0, v3
	v_cndmask_b32_e32 v33, 0, v2, vcc_lo
.LBB6_3519:                             ;   in Loop: Header=BB6_3020 Depth=2
	s_or_b32 exec_lo, exec_lo, s27
.LBB6_3520:                             ;   in Loop: Header=BB6_3020 Depth=2
	s_or_b32 exec_lo, exec_lo, s26
	v_cmp_gt_i16_sdwa s26, v34, v115 src0_sel:BYTE_1 src1_sel:DWORD
	s_mov_b32 s12, 0
	s_and_saveexec_b32 s27, s26
	s_xor_b32 s26, exec_lo, s27
	s_cbranch_execz .LBB6_4398
; %bb.3521:                             ;   in Loop: Header=BB6_3020 Depth=2
	v_cmp_eq_u16_sdwa s28, v34, v119 src0_sel:BYTE_1 src1_sel:DWORD
	s_mov_b32 s12, -1
	s_and_saveexec_b32 s27, s28
; %bb.3522:                             ;   in Loop: Header=BB6_3020 Depth=2
	s_xor_b32 s12, exec_lo, -1
; %bb.3523:                             ;   in Loop: Header=BB6_3020 Depth=2
	s_or_b32 exec_lo, exec_lo, s27
	s_and_b32 s12, s12, exec_lo
	s_or_saveexec_b32 s26, s26
	v_mov_b32_e32 v2, 0x7f800001
	s_xor_b32 exec_lo, exec_lo, s26
	s_cbranch_execnz .LBB6_4399
.LBB6_3524:                             ;   in Loop: Header=BB6_3020 Depth=2
	s_or_b32 exec_lo, exec_lo, s26
	s_and_saveexec_b32 s26, s12
	s_cbranch_execz .LBB6_3526
.LBB6_3525:                             ;   in Loop: Header=BB6_3020 Depth=2
	v_and_b32_sdwa v2, v41, v34 dst_sel:DWORD dst_unused:UNUSED_PAD src0_sel:DWORD src1_sel:BYTE_1
	v_and_b32_e32 v3, 7, v2
	v_bfe_u32 v90, v2, 3, 4
	v_ffbh_u32_e32 v113, v3
	v_cmp_eq_u32_e32 vcc_lo, 0, v90
	v_min_u32_e32 v113, 32, v113
	v_subrev_nc_u32_e32 v116, 28, v113
	v_sub_nc_u32_e32 v113, 29, v113
	v_lshlrev_b32_e32 v2, v116, v2
	v_lshlrev_b32_sdwa v116, v47, v34 dst_sel:DWORD dst_unused:UNUSED_PAD src0_sel:DWORD src1_sel:BYTE_1
	v_cndmask_b32_e32 v113, v90, v113, vcc_lo
	v_and_b32_e32 v2, 7, v2
	v_lshl_add_u32 v113, v113, 23, 0x3b800000
	v_cndmask_b32_e32 v2, v3, v2, vcc_lo
	v_and_b32_e32 v3, 0x80000000, v116
	v_lshlrev_b32_e32 v2, 20, v2
	v_or3_b32 v2, v3, v113, v2
.LBB6_3526:                             ;   in Loop: Header=BB6_3020 Depth=2
	s_or_b32 exec_lo, exec_lo, s26
	v_cmp_gt_i16_sdwa s26, v28, v115 src0_sel:BYTE_1 src1_sel:DWORD
	s_mov_b32 s12, 0
	s_and_saveexec_b32 s27, s26
	s_xor_b32 s26, exec_lo, s27
	s_cbranch_execz .LBB6_4400
; %bb.3527:                             ;   in Loop: Header=BB6_3020 Depth=2
	v_cmp_eq_u16_sdwa s28, v28, v119 src0_sel:BYTE_1 src1_sel:DWORD
	s_mov_b32 s12, -1
	s_and_saveexec_b32 s27, s28
; %bb.3528:                             ;   in Loop: Header=BB6_3020 Depth=2
	s_xor_b32 s12, exec_lo, -1
; %bb.3529:                             ;   in Loop: Header=BB6_3020 Depth=2
	s_or_b32 exec_lo, exec_lo, s27
	s_and_b32 s12, s12, exec_lo
	s_or_saveexec_b32 s26, s26
	v_mov_b32_e32 v3, 0x7f800001
	s_xor_b32 exec_lo, exec_lo, s26
	s_cbranch_execnz .LBB6_4401
.LBB6_3530:                             ;   in Loop: Header=BB6_3020 Depth=2
	s_or_b32 exec_lo, exec_lo, s26
	s_and_saveexec_b32 s26, s12
	s_cbranch_execz .LBB6_3532
.LBB6_3531:                             ;   in Loop: Header=BB6_3020 Depth=2
	v_and_b32_sdwa v3, v41, v28 dst_sel:DWORD dst_unused:UNUSED_PAD src0_sel:DWORD src1_sel:BYTE_1
	v_and_b32_e32 v113, 7, v3
	v_bfe_u32 v91, v3, 3, 4
	v_ffbh_u32_e32 v116, v113
	v_cmp_eq_u32_e32 vcc_lo, 0, v91
	v_min_u32_e32 v116, 32, v116
	v_subrev_nc_u32_e32 v90, 28, v116
	v_sub_nc_u32_e32 v116, 29, v116
	v_lshlrev_b32_e32 v3, v90, v3
	v_lshlrev_b32_sdwa v90, v47, v28 dst_sel:DWORD dst_unused:UNUSED_PAD src0_sel:DWORD src1_sel:BYTE_1
	v_cndmask_b32_e32 v116, v91, v116, vcc_lo
	v_and_b32_e32 v3, 7, v3
	v_lshl_add_u32 v116, v116, 23, 0x3b800000
	v_cndmask_b32_e32 v3, v113, v3, vcc_lo
	v_and_b32_e32 v113, 0x80000000, v90
	v_lshlrev_b32_e32 v3, 20, v3
	v_or3_b32 v3, v113, v116, v3
.LBB6_3532:                             ;   in Loop: Header=BB6_3020 Depth=2
	s_or_b32 exec_lo, exec_lo, s26
	v_add_f32_e32 v2, v2, v3
	v_mov_b32_e32 v90, 0x8000
	s_mov_b32 s26, exec_lo
	v_and_b32_e32 v3, 0x7f800000, v2
	v_cmpx_ne_u32_e32 0x7f800000, v3
	s_cbranch_execz .LBB6_3540
; %bb.3533:                             ;   in Loop: Header=BB6_3020 Depth=2
	v_mov_b32_e32 v90, 0
	s_mov_b32 s27, exec_lo
	v_cmpx_ne_u32_e32 0, v2
	s_cbranch_execz .LBB6_3539
; %bb.3534:                             ;   in Loop: Header=BB6_3020 Depth=2
	v_bfe_u32 v3, v2, 23, 8
	v_and_b32_e32 v113, 0x7fffff, v2
	v_sub_nc_u32_e32 v116, 0x78, v3
	v_cmp_gt_u32_e32 vcc_lo, 0x79, v3
	v_or_b32_e32 v90, 0x800000, v113
	v_cndmask_b32_e32 v116, 0, v116, vcc_lo
	v_cmp_eq_u32_e32 vcc_lo, 0, v3
	v_add_nc_u32_e32 v3, 0xffffff89, v3
	v_cndmask_b32_e64 v116, v116, 0x77, vcc_lo
	v_cndmask_b32_e32 v113, v90, v113, vcc_lo
	v_cndmask_b32_e64 v3, v3, 0xffffff8a, vcc_lo
	v_lshl_add_u32 v90, 0x100000, v116, -1
	v_lshrrev_b32_e32 v91, v116, v113
	v_lshlrev_b32_e64 v93, v116, 0x80000
	v_add_nc_u32_e32 v116, v116, v3
	v_and_b32_e32 v113, v90, v113
	v_bfe_u32 v92, v91, 20, 1
	v_cmp_eq_u32_e64 s12, v113, v93
	v_add_nc_u32_e32 v90, -1, v92
	v_cndmask_b32_e64 v113, 0, v90, s12
	v_lshrrev_b32_e32 v90, 23, v91
	s_mov_b32 s12, exec_lo
	v_add_nc_u32_e32 v113, v113, v91
	v_xor_b32_e32 v90, 1, v90
	v_and_b32_e32 v3, 0xfffff, v113
	v_add_nc_u32_e32 v113, v3, v91
                                        ; implicit-def: $vgpr3
	v_cmpx_ne_u32_e64 v116, v90
	s_xor_b32 s12, exec_lo, s12
; %bb.3535:                             ;   in Loop: Header=BB6_3020 Depth=2
	v_cmp_lt_u32_e32 vcc_lo, 0xffffff, v113
	v_sub_nc_u32_e32 v3, v116, v90
	v_cndmask_b32_e64 v116, 0, 1, vcc_lo
	v_add_co_ci_u32_e64 v3, null, 0, v3, vcc_lo
	v_lshrrev_b32_e32 v113, v116, v113
; %bb.3536:                             ;   in Loop: Header=BB6_3020 Depth=2
	s_andn2_saveexec_b32 s12, s12
; %bb.3537:                             ;   in Loop: Header=BB6_3020 Depth=2
	v_bfe_u32 v3, v113, 23, 1
; %bb.3538:                             ;   in Loop: Header=BB6_3020 Depth=2
	s_or_b32 exec_lo, exec_lo, s12
	v_lshrrev_b32_e32 v113, 20, v113
	v_min_i32_e32 v116, 15, v3
	v_cmp_gt_i32_e32 vcc_lo, 16, v3
	v_and_b32_sdwa v2, v2, v119 dst_sel:DWORD dst_unused:UNUSED_PAD src0_sel:BYTE_3 src1_sel:DWORD
	v_lshlrev_b32_e32 v116, 3, v116
	v_cndmask_b32_e32 v113, 7, v113, vcc_lo
	v_and_b32_e32 v116, 0xf8, v116
	v_and_b32_e32 v90, 7, v113
	v_or_b32_e32 v3, v3, v113
	v_or3_b32 v2, v2, v116, v90
	v_cmp_ne_u32_e32 vcc_lo, 0, v3
	v_lshlrev_b32_e32 v2, 8, v2
	v_cndmask_b32_e32 v90, 0, v2, vcc_lo
.LBB6_3539:                             ;   in Loop: Header=BB6_3020 Depth=2
	s_or_b32 exec_lo, exec_lo, s27
.LBB6_3540:                             ;   in Loop: Header=BB6_3020 Depth=2
	s_or_b32 exec_lo, exec_lo, s26
	v_and_b32_sdwa v3, v34, v56 dst_sel:DWORD dst_unused:UNUSED_PAD src0_sel:WORD_1 src1_sel:DWORD
	s_mov_b32 s12, 0
	s_mov_b32 s26, exec_lo
	v_cmpx_lt_i16_e32 0x7f, v3
	s_xor_b32 s26, exec_lo, s26
	s_cbranch_execz .LBB6_4402
; %bb.3541:                             ;   in Loop: Header=BB6_3020 Depth=2
	s_mov_b32 s12, -1
	s_mov_b32 s27, exec_lo
	v_cmpx_eq_u16_e32 0x80, v3
; %bb.3542:                             ;   in Loop: Header=BB6_3020 Depth=2
	s_xor_b32 s12, exec_lo, -1
; %bb.3543:                             ;   in Loop: Header=BB6_3020 Depth=2
	s_or_b32 exec_lo, exec_lo, s27
	s_and_b32 s12, s12, exec_lo
                                        ; implicit-def: $vgpr3
	s_or_saveexec_b32 s26, s26
	v_mov_b32_e32 v2, 0x7f800001
	s_xor_b32 exec_lo, exec_lo, s26
	s_cbranch_execnz .LBB6_4403
.LBB6_3544:                             ;   in Loop: Header=BB6_3020 Depth=2
	s_or_b32 exec_lo, exec_lo, s26
	s_and_saveexec_b32 s26, s12
	s_cbranch_execz .LBB6_3546
.LBB6_3545:                             ;   in Loop: Header=BB6_3020 Depth=2
	v_bfe_u32 v2, v34, 16, 3
	v_bfe_u32 v116, v34, 19, 4
	v_lshlrev_b32_e32 v91, 8, v34
	v_ffbh_u32_e32 v3, v2
	v_cmp_eq_u32_e32 vcc_lo, 0, v116
	v_min_u32_e32 v3, 32, v3
	v_subrev_nc_u32_e32 v113, 28, v3
	v_sub_nc_u32_e32 v3, 29, v3
	v_lshlrev_b32_sdwa v113, v113, v34 dst_sel:DWORD dst_unused:UNUSED_PAD src0_sel:DWORD src1_sel:WORD_1
	v_cndmask_b32_e32 v3, v116, v3, vcc_lo
	v_and_b32_e32 v113, 7, v113
	v_lshl_add_u32 v3, v3, 23, 0x3b800000
	v_cndmask_b32_e32 v2, v2, v113, vcc_lo
	v_and_b32_e32 v113, 0x80000000, v91
	v_lshlrev_b32_e32 v2, 20, v2
	v_or3_b32 v2, v113, v3, v2
.LBB6_3546:                             ;   in Loop: Header=BB6_3020 Depth=2
	s_or_b32 exec_lo, exec_lo, s26
	v_and_b32_sdwa v113, v28, v56 dst_sel:DWORD dst_unused:UNUSED_PAD src0_sel:WORD_1 src1_sel:DWORD
	s_mov_b32 s12, 0
	s_mov_b32 s26, exec_lo
	v_cmpx_lt_i16_e32 0x7f, v113
	s_xor_b32 s26, exec_lo, s26
	s_cbranch_execz .LBB6_4404
; %bb.3547:                             ;   in Loop: Header=BB6_3020 Depth=2
	s_mov_b32 s12, -1
	s_mov_b32 s27, exec_lo
	v_cmpx_eq_u16_e32 0x80, v113
; %bb.3548:                             ;   in Loop: Header=BB6_3020 Depth=2
	s_xor_b32 s12, exec_lo, -1
; %bb.3549:                             ;   in Loop: Header=BB6_3020 Depth=2
	s_or_b32 exec_lo, exec_lo, s27
	s_and_b32 s12, s12, exec_lo
                                        ; implicit-def: $vgpr113
	s_or_saveexec_b32 s26, s26
	v_mov_b32_e32 v3, 0x7f800001
	s_xor_b32 exec_lo, exec_lo, s26
	s_cbranch_execnz .LBB6_4405
.LBB6_3550:                             ;   in Loop: Header=BB6_3020 Depth=2
	s_or_b32 exec_lo, exec_lo, s26
	s_and_saveexec_b32 s26, s12
	s_cbranch_execz .LBB6_3552
.LBB6_3551:                             ;   in Loop: Header=BB6_3020 Depth=2
	v_bfe_u32 v3, v28, 16, 3
	v_bfe_u32 v91, v28, 19, 4
	v_lshlrev_b32_e32 v92, 8, v28
	v_ffbh_u32_e32 v113, v3
	v_cmp_eq_u32_e32 vcc_lo, 0, v91
	v_min_u32_e32 v113, 32, v113
	v_subrev_nc_u32_e32 v116, 28, v113
	v_sub_nc_u32_e32 v113, 29, v113
	v_lshlrev_b32_sdwa v116, v116, v28 dst_sel:DWORD dst_unused:UNUSED_PAD src0_sel:DWORD src1_sel:WORD_1
	v_cndmask_b32_e32 v113, v91, v113, vcc_lo
	v_and_b32_e32 v116, 7, v116
	v_lshl_add_u32 v113, v113, 23, 0x3b800000
	v_cndmask_b32_e32 v3, v3, v116, vcc_lo
	v_and_b32_e32 v116, 0x80000000, v92
	v_lshlrev_b32_e32 v3, 20, v3
	v_or3_b32 v3, v116, v113, v3
.LBB6_3552:                             ;   in Loop: Header=BB6_3020 Depth=2
	s_or_b32 exec_lo, exec_lo, s26
	v_add_f32_e32 v2, v2, v3
	v_mov_b32_e32 v91, 0x80
	s_mov_b32 s26, exec_lo
	v_and_b32_e32 v3, 0x7f800000, v2
	v_cmpx_ne_u32_e32 0x7f800000, v3
	s_cbranch_execz .LBB6_3560
; %bb.3553:                             ;   in Loop: Header=BB6_3020 Depth=2
	v_mov_b32_e32 v91, 0
	s_mov_b32 s27, exec_lo
	v_cmpx_ne_u32_e32 0, v2
	s_cbranch_execz .LBB6_3559
; %bb.3554:                             ;   in Loop: Header=BB6_3020 Depth=2
	v_bfe_u32 v3, v2, 23, 8
	v_and_b32_e32 v113, 0x7fffff, v2
	v_sub_nc_u32_e32 v116, 0x78, v3
	v_cmp_gt_u32_e32 vcc_lo, 0x79, v3
	v_or_b32_e32 v91, 0x800000, v113
	v_cndmask_b32_e32 v116, 0, v116, vcc_lo
	v_cmp_eq_u32_e32 vcc_lo, 0, v3
	v_add_nc_u32_e32 v3, 0xffffff89, v3
	v_cndmask_b32_e64 v116, v116, 0x77, vcc_lo
	v_cndmask_b32_e32 v113, v91, v113, vcc_lo
	v_cndmask_b32_e64 v3, v3, 0xffffff8a, vcc_lo
	v_lshl_add_u32 v91, 0x100000, v116, -1
	v_lshrrev_b32_e32 v92, v116, v113
	v_lshlrev_b32_e64 v94, v116, 0x80000
	v_add_nc_u32_e32 v116, v116, v3
	v_and_b32_e32 v113, v91, v113
	v_bfe_u32 v93, v92, 20, 1
	v_cmp_eq_u32_e64 s12, v113, v94
	v_add_nc_u32_e32 v91, -1, v93
	v_cndmask_b32_e64 v113, 0, v91, s12
	v_lshrrev_b32_e32 v91, 23, v92
	s_mov_b32 s12, exec_lo
	v_add_nc_u32_e32 v113, v113, v92
	v_xor_b32_e32 v91, 1, v91
	v_and_b32_e32 v3, 0xfffff, v113
	v_add_nc_u32_e32 v113, v3, v92
                                        ; implicit-def: $vgpr3
	v_cmpx_ne_u32_e64 v116, v91
	s_xor_b32 s12, exec_lo, s12
; %bb.3555:                             ;   in Loop: Header=BB6_3020 Depth=2
	v_cmp_lt_u32_e32 vcc_lo, 0xffffff, v113
	v_sub_nc_u32_e32 v3, v116, v91
	v_cndmask_b32_e64 v116, 0, 1, vcc_lo
	v_add_co_ci_u32_e64 v3, null, 0, v3, vcc_lo
	v_lshrrev_b32_e32 v113, v116, v113
; %bb.3556:                             ;   in Loop: Header=BB6_3020 Depth=2
	s_andn2_saveexec_b32 s12, s12
; %bb.3557:                             ;   in Loop: Header=BB6_3020 Depth=2
	v_bfe_u32 v3, v113, 23, 1
; %bb.3558:                             ;   in Loop: Header=BB6_3020 Depth=2
	s_or_b32 exec_lo, exec_lo, s12
	v_lshrrev_b32_e32 v113, 20, v113
	v_min_i32_e32 v116, 15, v3
	v_cmp_gt_i32_e32 vcc_lo, 16, v3
	v_and_b32_sdwa v2, v2, v119 dst_sel:DWORD dst_unused:UNUSED_PAD src0_sel:BYTE_3 src1_sel:DWORD
	v_lshlrev_b32_e32 v116, 3, v116
	v_cndmask_b32_e32 v113, 7, v113, vcc_lo
	v_and_b32_e32 v116, 0xf8, v116
	v_and_b32_e32 v91, 7, v113
	v_or_b32_e32 v3, v3, v113
	v_or3_b32 v2, v116, v2, v91
	v_cmp_ne_u32_e32 vcc_lo, 0, v3
	v_cndmask_b32_e32 v91, 0, v2, vcc_lo
.LBB6_3559:                             ;   in Loop: Header=BB6_3020 Depth=2
	s_or_b32 exec_lo, exec_lo, s27
.LBB6_3560:                             ;   in Loop: Header=BB6_3020 Depth=2
	s_or_b32 exec_lo, exec_lo, s26
	v_cmp_gt_i16_sdwa s26, v34, v115 src0_sel:BYTE_3 src1_sel:DWORD
	s_mov_b32 s12, 0
	s_and_saveexec_b32 s27, s26
	s_xor_b32 s26, exec_lo, s27
	s_cbranch_execz .LBB6_4406
; %bb.3561:                             ;   in Loop: Header=BB6_3020 Depth=2
	v_cmp_eq_u16_sdwa s28, v34, v119 src0_sel:BYTE_3 src1_sel:DWORD
	s_mov_b32 s12, -1
	s_and_saveexec_b32 s27, s28
; %bb.3562:                             ;   in Loop: Header=BB6_3020 Depth=2
	s_xor_b32 s12, exec_lo, -1
; %bb.3563:                             ;   in Loop: Header=BB6_3020 Depth=2
	s_or_b32 exec_lo, exec_lo, s27
	s_and_b32 s12, s12, exec_lo
	s_or_saveexec_b32 s26, s26
	v_mov_b32_e32 v2, 0x7f800001
	s_xor_b32 exec_lo, exec_lo, s26
	s_cbranch_execnz .LBB6_4407
.LBB6_3564:                             ;   in Loop: Header=BB6_3020 Depth=2
	s_or_b32 exec_lo, exec_lo, s26
	s_and_saveexec_b32 s26, s12
	s_cbranch_execz .LBB6_3566
.LBB6_3565:                             ;   in Loop: Header=BB6_3020 Depth=2
	v_bfe_u32 v2, v34, 24, 3
	v_bfe_u32 v116, v34, 27, 4
	v_ffbh_u32_e32 v3, v2
	v_cmp_eq_u32_e32 vcc_lo, 0, v116
	v_min_u32_e32 v3, 32, v3
	v_subrev_nc_u32_e32 v113, 28, v3
	v_sub_nc_u32_e32 v3, 29, v3
	v_lshlrev_b32_sdwa v113, v113, v34 dst_sel:DWORD dst_unused:UNUSED_PAD src0_sel:DWORD src1_sel:BYTE_3
	v_cndmask_b32_e32 v3, v116, v3, vcc_lo
	v_and_b32_e32 v34, 0x80000000, v34
	v_and_b32_e32 v113, 7, v113
	v_lshl_add_u32 v3, v3, 23, 0x3b800000
	v_cndmask_b32_e32 v2, v2, v113, vcc_lo
	v_lshlrev_b32_e32 v2, 20, v2
	v_or3_b32 v2, v34, v3, v2
.LBB6_3566:                             ;   in Loop: Header=BB6_3020 Depth=2
	s_or_b32 exec_lo, exec_lo, s26
	v_cmp_gt_i16_sdwa s26, v28, v115 src0_sel:BYTE_3 src1_sel:DWORD
	s_mov_b32 s12, 0
	s_and_saveexec_b32 s27, s26
	s_xor_b32 s26, exec_lo, s27
	s_cbranch_execz .LBB6_4408
; %bb.3567:                             ;   in Loop: Header=BB6_3020 Depth=2
	v_cmp_eq_u16_sdwa s28, v28, v119 src0_sel:BYTE_3 src1_sel:DWORD
	s_mov_b32 s12, -1
	s_and_saveexec_b32 s27, s28
; %bb.3568:                             ;   in Loop: Header=BB6_3020 Depth=2
	s_xor_b32 s12, exec_lo, -1
; %bb.3569:                             ;   in Loop: Header=BB6_3020 Depth=2
	s_or_b32 exec_lo, exec_lo, s27
	s_and_b32 s12, s12, exec_lo
	s_or_saveexec_b32 s26, s26
	v_mov_b32_e32 v3, 0x7f800001
	s_xor_b32 exec_lo, exec_lo, s26
	s_cbranch_execnz .LBB6_4409
.LBB6_3570:                             ;   in Loop: Header=BB6_3020 Depth=2
	s_or_b32 exec_lo, exec_lo, s26
	s_and_saveexec_b32 s26, s12
	s_cbranch_execz .LBB6_3572
.LBB6_3571:                             ;   in Loop: Header=BB6_3020 Depth=2
	v_bfe_u32 v3, v28, 24, 3
	v_bfe_u32 v116, v28, 27, 4
	v_ffbh_u32_e32 v34, v3
	v_cmp_eq_u32_e32 vcc_lo, 0, v116
	v_min_u32_e32 v34, 32, v34
	v_subrev_nc_u32_e32 v113, 28, v34
	v_sub_nc_u32_e32 v34, 29, v34
	v_lshlrev_b32_sdwa v113, v113, v28 dst_sel:DWORD dst_unused:UNUSED_PAD src0_sel:DWORD src1_sel:BYTE_3
	v_cndmask_b32_e32 v34, v116, v34, vcc_lo
	v_and_b32_e32 v28, 0x80000000, v28
	v_and_b32_e32 v113, 7, v113
	v_lshl_add_u32 v34, v34, 23, 0x3b800000
	v_cndmask_b32_e32 v3, v3, v113, vcc_lo
	v_lshlrev_b32_e32 v3, 20, v3
	v_or3_b32 v3, v28, v34, v3
.LBB6_3572:                             ;   in Loop: Header=BB6_3020 Depth=2
	s_or_b32 exec_lo, exec_lo, s26
	v_add_f32_e32 v2, v2, v3
	v_mov_b32_e32 v28, 0x8000
	s_mov_b32 s26, exec_lo
	v_and_b32_e32 v3, 0x7f800000, v2
	v_cmpx_ne_u32_e32 0x7f800000, v3
	s_cbranch_execz .LBB6_3580
; %bb.3573:                             ;   in Loop: Header=BB6_3020 Depth=2
	v_mov_b32_e32 v28, 0
	s_mov_b32 s27, exec_lo
	v_cmpx_ne_u32_e32 0, v2
	s_cbranch_execz .LBB6_3579
; %bb.3574:                             ;   in Loop: Header=BB6_3020 Depth=2
	v_bfe_u32 v3, v2, 23, 8
	v_and_b32_e32 v28, 0x7fffff, v2
	v_sub_nc_u32_e32 v34, 0x78, v3
	v_cmp_gt_u32_e32 vcc_lo, 0x79, v3
	v_or_b32_e32 v113, 0x800000, v28
	v_cndmask_b32_e32 v34, 0, v34, vcc_lo
	v_cmp_eq_u32_e32 vcc_lo, 0, v3
	v_add_nc_u32_e32 v3, 0xffffff89, v3
	v_cndmask_b32_e64 v34, v34, 0x77, vcc_lo
	v_cndmask_b32_e32 v28, v113, v28, vcc_lo
	v_cndmask_b32_e64 v3, v3, 0xffffff8a, vcc_lo
	v_lshl_add_u32 v113, 0x100000, v34, -1
	v_lshrrev_b32_e32 v116, v34, v28
	v_lshlrev_b32_e64 v93, v34, 0x80000
	v_add_nc_u32_e32 v34, v34, v3
	v_and_b32_e32 v28, v113, v28
	v_bfe_u32 v92, v116, 20, 1
	v_cmp_eq_u32_e64 s12, v28, v93
	v_add_nc_u32_e32 v113, -1, v92
	v_cndmask_b32_e64 v28, 0, v113, s12
	v_lshrrev_b32_e32 v113, 23, v116
	s_mov_b32 s12, exec_lo
	v_add_nc_u32_e32 v28, v28, v116
	v_xor_b32_e32 v113, 1, v113
	v_and_b32_e32 v3, 0xfffff, v28
	v_add_nc_u32_e32 v28, v3, v116
                                        ; implicit-def: $vgpr3
	v_cmpx_ne_u32_e64 v34, v113
	s_xor_b32 s12, exec_lo, s12
; %bb.3575:                             ;   in Loop: Header=BB6_3020 Depth=2
	v_cmp_lt_u32_e32 vcc_lo, 0xffffff, v28
	v_sub_nc_u32_e32 v3, v34, v113
	v_cndmask_b32_e64 v34, 0, 1, vcc_lo
	v_add_co_ci_u32_e64 v3, null, 0, v3, vcc_lo
	v_lshrrev_b32_e32 v28, v34, v28
; %bb.3576:                             ;   in Loop: Header=BB6_3020 Depth=2
	s_andn2_saveexec_b32 s12, s12
; %bb.3577:                             ;   in Loop: Header=BB6_3020 Depth=2
	v_bfe_u32 v3, v28, 23, 1
; %bb.3578:                             ;   in Loop: Header=BB6_3020 Depth=2
	s_or_b32 exec_lo, exec_lo, s12
	v_lshrrev_b32_e32 v28, 20, v28
	v_min_i32_e32 v34, 15, v3
	v_cmp_gt_i32_e32 vcc_lo, 16, v3
	v_and_b32_sdwa v2, v2, v119 dst_sel:DWORD dst_unused:UNUSED_PAD src0_sel:BYTE_3 src1_sel:DWORD
	v_lshlrev_b32_e32 v34, 3, v34
	v_cndmask_b32_e32 v28, 7, v28, vcc_lo
	v_and_b32_e32 v34, 0xf8, v34
	v_and_b32_e32 v113, 7, v28
	v_or_b32_e32 v3, v3, v28
	v_or3_b32 v2, v2, v34, v113
	v_cmp_ne_u32_e32 vcc_lo, 0, v3
	v_lshlrev_b32_e32 v2, 8, v2
	v_cndmask_b32_e32 v28, 0, v2, vcc_lo
.LBB6_3579:                             ;   in Loop: Header=BB6_3020 Depth=2
	s_or_b32 exec_lo, exec_lo, s27
.LBB6_3580:                             ;   in Loop: Header=BB6_3020 Depth=2
	s_or_b32 exec_lo, exec_lo, s26
	v_cmp_gt_i16_sdwa s26, v35, v115 src0_sel:BYTE_0 src1_sel:DWORD
	s_mov_b32 s12, 0
	s_and_saveexec_b32 s27, s26
	s_xor_b32 s26, exec_lo, s27
	s_cbranch_execz .LBB6_4410
; %bb.3581:                             ;   in Loop: Header=BB6_3020 Depth=2
	v_cmp_eq_u16_sdwa s28, v35, v119 src0_sel:BYTE_0 src1_sel:DWORD
	s_mov_b32 s12, -1
	s_and_saveexec_b32 s27, s28
; %bb.3582:                             ;   in Loop: Header=BB6_3020 Depth=2
	s_xor_b32 s12, exec_lo, -1
; %bb.3583:                             ;   in Loop: Header=BB6_3020 Depth=2
	s_or_b32 exec_lo, exec_lo, s27
	s_and_b32 s12, s12, exec_lo
	s_or_saveexec_b32 s26, s26
	v_mov_b32_e32 v2, 0x7f800001
	s_xor_b32 exec_lo, exec_lo, s26
	s_cbranch_execnz .LBB6_4411
.LBB6_3584:                             ;   in Loop: Header=BB6_3020 Depth=2
	s_or_b32 exec_lo, exec_lo, s26
	s_and_saveexec_b32 s26, s12
	s_cbranch_execz .LBB6_3586
.LBB6_3585:                             ;   in Loop: Header=BB6_3020 Depth=2
	v_and_b32_e32 v2, 7, v35
	v_bfe_u32 v113, v35, 3, 4
	v_lshlrev_b32_e32 v116, 24, v35
	v_ffbh_u32_e32 v3, v2
	v_cmp_eq_u32_e32 vcc_lo, 0, v113
	v_min_u32_e32 v3, 32, v3
	v_subrev_nc_u32_e32 v34, 28, v3
	v_sub_nc_u32_e32 v3, 29, v3
	v_lshlrev_b32_e32 v34, v34, v35
	v_cndmask_b32_e32 v3, v113, v3, vcc_lo
	v_and_b32_e32 v34, 7, v34
	v_lshl_add_u32 v3, v3, 23, 0x3b800000
	v_cndmask_b32_e32 v2, v2, v34, vcc_lo
	v_and_b32_e32 v34, 0x80000000, v116
	v_lshlrev_b32_e32 v2, 20, v2
	v_or3_b32 v2, v34, v3, v2
.LBB6_3586:                             ;   in Loop: Header=BB6_3020 Depth=2
	s_or_b32 exec_lo, exec_lo, s26
	v_cmp_gt_i16_sdwa s26, v29, v115 src0_sel:BYTE_0 src1_sel:DWORD
	s_mov_b32 s12, 0
	s_and_saveexec_b32 s27, s26
	s_xor_b32 s26, exec_lo, s27
	s_cbranch_execz .LBB6_4412
; %bb.3587:                             ;   in Loop: Header=BB6_3020 Depth=2
	v_cmp_eq_u16_sdwa s28, v29, v119 src0_sel:BYTE_0 src1_sel:DWORD
	s_mov_b32 s12, -1
	s_and_saveexec_b32 s27, s28
; %bb.3588:                             ;   in Loop: Header=BB6_3020 Depth=2
	s_xor_b32 s12, exec_lo, -1
; %bb.3589:                             ;   in Loop: Header=BB6_3020 Depth=2
	s_or_b32 exec_lo, exec_lo, s27
	s_and_b32 s12, s12, exec_lo
	s_or_saveexec_b32 s26, s26
	v_mov_b32_e32 v3, 0x7f800001
	s_xor_b32 exec_lo, exec_lo, s26
	s_cbranch_execnz .LBB6_4413
.LBB6_3590:                             ;   in Loop: Header=BB6_3020 Depth=2
	s_or_b32 exec_lo, exec_lo, s26
	s_and_saveexec_b32 s26, s12
	s_cbranch_execz .LBB6_3592
.LBB6_3591:                             ;   in Loop: Header=BB6_3020 Depth=2
	v_and_b32_e32 v3, 7, v29
	v_bfe_u32 v116, v29, 3, 4
	v_lshlrev_b32_e32 v92, 24, v29
	v_ffbh_u32_e32 v34, v3
	v_cmp_eq_u32_e32 vcc_lo, 0, v116
	v_min_u32_e32 v34, 32, v34
	v_subrev_nc_u32_e32 v113, 28, v34
	v_sub_nc_u32_e32 v34, 29, v34
	v_lshlrev_b32_e32 v113, v113, v29
	v_cndmask_b32_e32 v34, v116, v34, vcc_lo
	v_and_b32_e32 v113, 7, v113
	v_lshl_add_u32 v34, v34, 23, 0x3b800000
	v_cndmask_b32_e32 v3, v3, v113, vcc_lo
	v_and_b32_e32 v113, 0x80000000, v92
	v_lshlrev_b32_e32 v3, 20, v3
	v_or3_b32 v3, v113, v34, v3
.LBB6_3592:                             ;   in Loop: Header=BB6_3020 Depth=2
	s_or_b32 exec_lo, exec_lo, s26
	v_add_f32_e32 v2, v2, v3
	v_mov_b32_e32 v34, 0x80
	s_mov_b32 s26, exec_lo
	v_and_b32_e32 v3, 0x7f800000, v2
	v_cmpx_ne_u32_e32 0x7f800000, v3
	s_cbranch_execz .LBB6_3600
; %bb.3593:                             ;   in Loop: Header=BB6_3020 Depth=2
	v_mov_b32_e32 v34, 0
	s_mov_b32 s27, exec_lo
	v_cmpx_ne_u32_e32 0, v2
	s_cbranch_execz .LBB6_3599
; %bb.3594:                             ;   in Loop: Header=BB6_3020 Depth=2
	v_bfe_u32 v3, v2, 23, 8
	v_and_b32_e32 v34, 0x7fffff, v2
	v_sub_nc_u32_e32 v113, 0x78, v3
	v_cmp_gt_u32_e32 vcc_lo, 0x79, v3
	v_or_b32_e32 v116, 0x800000, v34
	v_cndmask_b32_e32 v113, 0, v113, vcc_lo
	v_cmp_eq_u32_e32 vcc_lo, 0, v3
	v_add_nc_u32_e32 v3, 0xffffff89, v3
	v_cndmask_b32_e64 v113, v113, 0x77, vcc_lo
	v_cndmask_b32_e32 v34, v116, v34, vcc_lo
	v_cndmask_b32_e64 v3, v3, 0xffffff8a, vcc_lo
	v_lshl_add_u32 v116, 0x100000, v113, -1
	v_lshrrev_b32_e32 v92, v113, v34
	v_lshlrev_b32_e64 v94, v113, 0x80000
	v_add_nc_u32_e32 v113, v113, v3
	v_and_b32_e32 v34, v116, v34
	v_bfe_u32 v93, v92, 20, 1
	v_cmp_eq_u32_e64 s12, v34, v94
	v_add_nc_u32_e32 v116, -1, v93
	v_cndmask_b32_e64 v34, 0, v116, s12
	v_lshrrev_b32_e32 v116, 23, v92
	s_mov_b32 s12, exec_lo
	v_add_nc_u32_e32 v34, v34, v92
	v_xor_b32_e32 v116, 1, v116
	v_and_b32_e32 v3, 0xfffff, v34
	v_add_nc_u32_e32 v34, v3, v92
                                        ; implicit-def: $vgpr3
	v_cmpx_ne_u32_e64 v113, v116
	s_xor_b32 s12, exec_lo, s12
; %bb.3595:                             ;   in Loop: Header=BB6_3020 Depth=2
	v_cmp_lt_u32_e32 vcc_lo, 0xffffff, v34
	v_sub_nc_u32_e32 v3, v113, v116
	v_cndmask_b32_e64 v113, 0, 1, vcc_lo
	v_add_co_ci_u32_e64 v3, null, 0, v3, vcc_lo
	v_lshrrev_b32_e32 v34, v113, v34
; %bb.3596:                             ;   in Loop: Header=BB6_3020 Depth=2
	s_andn2_saveexec_b32 s12, s12
; %bb.3597:                             ;   in Loop: Header=BB6_3020 Depth=2
	v_bfe_u32 v3, v34, 23, 1
; %bb.3598:                             ;   in Loop: Header=BB6_3020 Depth=2
	s_or_b32 exec_lo, exec_lo, s12
	v_lshrrev_b32_e32 v34, 20, v34
	v_min_i32_e32 v113, 15, v3
	v_cmp_gt_i32_e32 vcc_lo, 16, v3
	v_and_b32_sdwa v2, v2, v119 dst_sel:DWORD dst_unused:UNUSED_PAD src0_sel:BYTE_3 src1_sel:DWORD
	v_lshlrev_b32_e32 v113, 3, v113
	v_cndmask_b32_e32 v34, 7, v34, vcc_lo
	v_and_b32_e32 v113, 0xf8, v113
	v_and_b32_e32 v116, 7, v34
	v_or_b32_e32 v3, v3, v34
	v_or3_b32 v2, v113, v2, v116
	v_cmp_ne_u32_e32 vcc_lo, 0, v3
	v_cndmask_b32_e32 v34, 0, v2, vcc_lo
.LBB6_3599:                             ;   in Loop: Header=BB6_3020 Depth=2
	s_or_b32 exec_lo, exec_lo, s27
.LBB6_3600:                             ;   in Loop: Header=BB6_3020 Depth=2
	s_or_b32 exec_lo, exec_lo, s26
	v_cmp_gt_i16_sdwa s26, v35, v115 src0_sel:BYTE_1 src1_sel:DWORD
	s_mov_b32 s12, 0
	s_and_saveexec_b32 s27, s26
	s_xor_b32 s26, exec_lo, s27
	s_cbranch_execz .LBB6_4414
; %bb.3601:                             ;   in Loop: Header=BB6_3020 Depth=2
	v_cmp_eq_u16_sdwa s28, v35, v119 src0_sel:BYTE_1 src1_sel:DWORD
	s_mov_b32 s12, -1
	s_and_saveexec_b32 s27, s28
; %bb.3602:                             ;   in Loop: Header=BB6_3020 Depth=2
	s_xor_b32 s12, exec_lo, -1
; %bb.3603:                             ;   in Loop: Header=BB6_3020 Depth=2
	s_or_b32 exec_lo, exec_lo, s27
	s_and_b32 s12, s12, exec_lo
	s_or_saveexec_b32 s26, s26
	v_mov_b32_e32 v2, 0x7f800001
	s_xor_b32 exec_lo, exec_lo, s26
	s_cbranch_execnz .LBB6_4415
.LBB6_3604:                             ;   in Loop: Header=BB6_3020 Depth=2
	s_or_b32 exec_lo, exec_lo, s26
	s_and_saveexec_b32 s26, s12
	s_cbranch_execz .LBB6_3606
.LBB6_3605:                             ;   in Loop: Header=BB6_3020 Depth=2
	v_and_b32_sdwa v2, v41, v35 dst_sel:DWORD dst_unused:UNUSED_PAD src0_sel:DWORD src1_sel:BYTE_1
	v_and_b32_e32 v3, 7, v2
	v_bfe_u32 v92, v2, 3, 4
	v_ffbh_u32_e32 v113, v3
	v_cmp_eq_u32_e32 vcc_lo, 0, v92
	v_min_u32_e32 v113, 32, v113
	v_subrev_nc_u32_e32 v116, 28, v113
	v_sub_nc_u32_e32 v113, 29, v113
	v_lshlrev_b32_e32 v2, v116, v2
	v_lshlrev_b32_sdwa v116, v47, v35 dst_sel:DWORD dst_unused:UNUSED_PAD src0_sel:DWORD src1_sel:BYTE_1
	v_cndmask_b32_e32 v113, v92, v113, vcc_lo
	v_and_b32_e32 v2, 7, v2
	v_lshl_add_u32 v113, v113, 23, 0x3b800000
	v_cndmask_b32_e32 v2, v3, v2, vcc_lo
	v_and_b32_e32 v3, 0x80000000, v116
	v_lshlrev_b32_e32 v2, 20, v2
	v_or3_b32 v2, v3, v113, v2
.LBB6_3606:                             ;   in Loop: Header=BB6_3020 Depth=2
	s_or_b32 exec_lo, exec_lo, s26
	v_cmp_gt_i16_sdwa s26, v29, v115 src0_sel:BYTE_1 src1_sel:DWORD
	s_mov_b32 s12, 0
	s_and_saveexec_b32 s27, s26
	s_xor_b32 s26, exec_lo, s27
	s_cbranch_execz .LBB6_4416
; %bb.3607:                             ;   in Loop: Header=BB6_3020 Depth=2
	v_cmp_eq_u16_sdwa s28, v29, v119 src0_sel:BYTE_1 src1_sel:DWORD
	s_mov_b32 s12, -1
	s_and_saveexec_b32 s27, s28
; %bb.3608:                             ;   in Loop: Header=BB6_3020 Depth=2
	s_xor_b32 s12, exec_lo, -1
; %bb.3609:                             ;   in Loop: Header=BB6_3020 Depth=2
	s_or_b32 exec_lo, exec_lo, s27
	s_and_b32 s12, s12, exec_lo
	s_or_saveexec_b32 s26, s26
	v_mov_b32_e32 v3, 0x7f800001
	s_xor_b32 exec_lo, exec_lo, s26
	s_cbranch_execnz .LBB6_4417
.LBB6_3610:                             ;   in Loop: Header=BB6_3020 Depth=2
	s_or_b32 exec_lo, exec_lo, s26
	s_and_saveexec_b32 s26, s12
	s_cbranch_execz .LBB6_3612
.LBB6_3611:                             ;   in Loop: Header=BB6_3020 Depth=2
	v_and_b32_sdwa v3, v41, v29 dst_sel:DWORD dst_unused:UNUSED_PAD src0_sel:DWORD src1_sel:BYTE_1
	v_and_b32_e32 v113, 7, v3
	v_bfe_u32 v93, v3, 3, 4
	v_ffbh_u32_e32 v116, v113
	v_cmp_eq_u32_e32 vcc_lo, 0, v93
	v_min_u32_e32 v116, 32, v116
	v_subrev_nc_u32_e32 v92, 28, v116
	v_sub_nc_u32_e32 v116, 29, v116
	v_lshlrev_b32_e32 v3, v92, v3
	v_lshlrev_b32_sdwa v92, v47, v29 dst_sel:DWORD dst_unused:UNUSED_PAD src0_sel:DWORD src1_sel:BYTE_1
	v_cndmask_b32_e32 v116, v93, v116, vcc_lo
	v_and_b32_e32 v3, 7, v3
	v_lshl_add_u32 v116, v116, 23, 0x3b800000
	v_cndmask_b32_e32 v3, v113, v3, vcc_lo
	v_and_b32_e32 v113, 0x80000000, v92
	v_lshlrev_b32_e32 v3, 20, v3
	v_or3_b32 v3, v113, v116, v3
.LBB6_3612:                             ;   in Loop: Header=BB6_3020 Depth=2
	s_or_b32 exec_lo, exec_lo, s26
	v_add_f32_e32 v2, v2, v3
	v_mov_b32_e32 v92, 0x8000
	s_mov_b32 s26, exec_lo
	v_and_b32_e32 v3, 0x7f800000, v2
	v_cmpx_ne_u32_e32 0x7f800000, v3
	s_cbranch_execz .LBB6_3620
; %bb.3613:                             ;   in Loop: Header=BB6_3020 Depth=2
	v_mov_b32_e32 v92, 0
	s_mov_b32 s27, exec_lo
	v_cmpx_ne_u32_e32 0, v2
	s_cbranch_execz .LBB6_3619
; %bb.3614:                             ;   in Loop: Header=BB6_3020 Depth=2
	v_bfe_u32 v3, v2, 23, 8
	v_and_b32_e32 v113, 0x7fffff, v2
	v_sub_nc_u32_e32 v116, 0x78, v3
	v_cmp_gt_u32_e32 vcc_lo, 0x79, v3
	v_or_b32_e32 v92, 0x800000, v113
	v_cndmask_b32_e32 v116, 0, v116, vcc_lo
	v_cmp_eq_u32_e32 vcc_lo, 0, v3
	v_add_nc_u32_e32 v3, 0xffffff89, v3
	v_cndmask_b32_e64 v116, v116, 0x77, vcc_lo
	v_cndmask_b32_e32 v113, v92, v113, vcc_lo
	v_cndmask_b32_e64 v3, v3, 0xffffff8a, vcc_lo
	v_lshl_add_u32 v92, 0x100000, v116, -1
	v_lshrrev_b32_e32 v93, v116, v113
	v_lshlrev_b32_e64 v95, v116, 0x80000
	v_add_nc_u32_e32 v116, v116, v3
	v_and_b32_e32 v113, v92, v113
	v_bfe_u32 v94, v93, 20, 1
	v_cmp_eq_u32_e64 s12, v113, v95
	v_add_nc_u32_e32 v92, -1, v94
	v_cndmask_b32_e64 v113, 0, v92, s12
	v_lshrrev_b32_e32 v92, 23, v93
	s_mov_b32 s12, exec_lo
	v_add_nc_u32_e32 v113, v113, v93
	v_xor_b32_e32 v92, 1, v92
	v_and_b32_e32 v3, 0xfffff, v113
	v_add_nc_u32_e32 v113, v3, v93
                                        ; implicit-def: $vgpr3
	v_cmpx_ne_u32_e64 v116, v92
	s_xor_b32 s12, exec_lo, s12
; %bb.3615:                             ;   in Loop: Header=BB6_3020 Depth=2
	v_cmp_lt_u32_e32 vcc_lo, 0xffffff, v113
	v_sub_nc_u32_e32 v3, v116, v92
	v_cndmask_b32_e64 v116, 0, 1, vcc_lo
	v_add_co_ci_u32_e64 v3, null, 0, v3, vcc_lo
	v_lshrrev_b32_e32 v113, v116, v113
; %bb.3616:                             ;   in Loop: Header=BB6_3020 Depth=2
	s_andn2_saveexec_b32 s12, s12
; %bb.3617:                             ;   in Loop: Header=BB6_3020 Depth=2
	v_bfe_u32 v3, v113, 23, 1
; %bb.3618:                             ;   in Loop: Header=BB6_3020 Depth=2
	s_or_b32 exec_lo, exec_lo, s12
	v_lshrrev_b32_e32 v113, 20, v113
	v_min_i32_e32 v116, 15, v3
	v_cmp_gt_i32_e32 vcc_lo, 16, v3
	v_and_b32_sdwa v2, v2, v119 dst_sel:DWORD dst_unused:UNUSED_PAD src0_sel:BYTE_3 src1_sel:DWORD
	v_lshlrev_b32_e32 v116, 3, v116
	v_cndmask_b32_e32 v113, 7, v113, vcc_lo
	v_and_b32_e32 v116, 0xf8, v116
	v_and_b32_e32 v92, 7, v113
	v_or_b32_e32 v3, v3, v113
	v_or3_b32 v2, v2, v116, v92
	v_cmp_ne_u32_e32 vcc_lo, 0, v3
	v_lshlrev_b32_e32 v2, 8, v2
	v_cndmask_b32_e32 v92, 0, v2, vcc_lo
.LBB6_3619:                             ;   in Loop: Header=BB6_3020 Depth=2
	s_or_b32 exec_lo, exec_lo, s27
.LBB6_3620:                             ;   in Loop: Header=BB6_3020 Depth=2
	s_or_b32 exec_lo, exec_lo, s26
	v_and_b32_sdwa v3, v35, v56 dst_sel:DWORD dst_unused:UNUSED_PAD src0_sel:WORD_1 src1_sel:DWORD
	s_mov_b32 s12, 0
	s_mov_b32 s26, exec_lo
	v_cmpx_lt_i16_e32 0x7f, v3
	s_xor_b32 s26, exec_lo, s26
	s_cbranch_execz .LBB6_4418
; %bb.3621:                             ;   in Loop: Header=BB6_3020 Depth=2
	s_mov_b32 s12, -1
	s_mov_b32 s27, exec_lo
	v_cmpx_eq_u16_e32 0x80, v3
; %bb.3622:                             ;   in Loop: Header=BB6_3020 Depth=2
	s_xor_b32 s12, exec_lo, -1
; %bb.3623:                             ;   in Loop: Header=BB6_3020 Depth=2
	s_or_b32 exec_lo, exec_lo, s27
	s_and_b32 s12, s12, exec_lo
                                        ; implicit-def: $vgpr3
	s_or_saveexec_b32 s26, s26
	v_mov_b32_e32 v2, 0x7f800001
	s_xor_b32 exec_lo, exec_lo, s26
	s_cbranch_execnz .LBB6_4419
.LBB6_3624:                             ;   in Loop: Header=BB6_3020 Depth=2
	s_or_b32 exec_lo, exec_lo, s26
	s_and_saveexec_b32 s26, s12
	s_cbranch_execz .LBB6_3626
.LBB6_3625:                             ;   in Loop: Header=BB6_3020 Depth=2
	v_bfe_u32 v2, v35, 16, 3
	v_bfe_u32 v116, v35, 19, 4
	v_lshlrev_b32_e32 v93, 8, v35
	v_ffbh_u32_e32 v3, v2
	v_cmp_eq_u32_e32 vcc_lo, 0, v116
	v_min_u32_e32 v3, 32, v3
	v_subrev_nc_u32_e32 v113, 28, v3
	v_sub_nc_u32_e32 v3, 29, v3
	v_lshlrev_b32_sdwa v113, v113, v35 dst_sel:DWORD dst_unused:UNUSED_PAD src0_sel:DWORD src1_sel:WORD_1
	v_cndmask_b32_e32 v3, v116, v3, vcc_lo
	v_and_b32_e32 v113, 7, v113
	v_lshl_add_u32 v3, v3, 23, 0x3b800000
	v_cndmask_b32_e32 v2, v2, v113, vcc_lo
	v_and_b32_e32 v113, 0x80000000, v93
	v_lshlrev_b32_e32 v2, 20, v2
	v_or3_b32 v2, v113, v3, v2
.LBB6_3626:                             ;   in Loop: Header=BB6_3020 Depth=2
	s_or_b32 exec_lo, exec_lo, s26
	v_and_b32_sdwa v113, v29, v56 dst_sel:DWORD dst_unused:UNUSED_PAD src0_sel:WORD_1 src1_sel:DWORD
	s_mov_b32 s12, 0
	s_mov_b32 s26, exec_lo
	v_cmpx_lt_i16_e32 0x7f, v113
	s_xor_b32 s26, exec_lo, s26
	s_cbranch_execz .LBB6_4420
; %bb.3627:                             ;   in Loop: Header=BB6_3020 Depth=2
	s_mov_b32 s12, -1
	s_mov_b32 s27, exec_lo
	v_cmpx_eq_u16_e32 0x80, v113
; %bb.3628:                             ;   in Loop: Header=BB6_3020 Depth=2
	s_xor_b32 s12, exec_lo, -1
; %bb.3629:                             ;   in Loop: Header=BB6_3020 Depth=2
	s_or_b32 exec_lo, exec_lo, s27
	s_and_b32 s12, s12, exec_lo
                                        ; implicit-def: $vgpr113
	s_or_saveexec_b32 s26, s26
	v_mov_b32_e32 v3, 0x7f800001
	s_xor_b32 exec_lo, exec_lo, s26
	s_cbranch_execnz .LBB6_4421
.LBB6_3630:                             ;   in Loop: Header=BB6_3020 Depth=2
	s_or_b32 exec_lo, exec_lo, s26
	s_and_saveexec_b32 s26, s12
	s_cbranch_execz .LBB6_3632
.LBB6_3631:                             ;   in Loop: Header=BB6_3020 Depth=2
	v_bfe_u32 v3, v29, 16, 3
	v_bfe_u32 v93, v29, 19, 4
	v_lshlrev_b32_e32 v94, 8, v29
	v_ffbh_u32_e32 v113, v3
	v_cmp_eq_u32_e32 vcc_lo, 0, v93
	v_min_u32_e32 v113, 32, v113
	v_subrev_nc_u32_e32 v116, 28, v113
	v_sub_nc_u32_e32 v113, 29, v113
	v_lshlrev_b32_sdwa v116, v116, v29 dst_sel:DWORD dst_unused:UNUSED_PAD src0_sel:DWORD src1_sel:WORD_1
	v_cndmask_b32_e32 v113, v93, v113, vcc_lo
	v_and_b32_e32 v116, 7, v116
	v_lshl_add_u32 v113, v113, 23, 0x3b800000
	v_cndmask_b32_e32 v3, v3, v116, vcc_lo
	v_and_b32_e32 v116, 0x80000000, v94
	v_lshlrev_b32_e32 v3, 20, v3
	v_or3_b32 v3, v116, v113, v3
.LBB6_3632:                             ;   in Loop: Header=BB6_3020 Depth=2
	s_or_b32 exec_lo, exec_lo, s26
	v_add_f32_e32 v2, v2, v3
	v_mov_b32_e32 v93, 0x80
	s_mov_b32 s26, exec_lo
	v_and_b32_e32 v3, 0x7f800000, v2
	v_cmpx_ne_u32_e32 0x7f800000, v3
	s_cbranch_execz .LBB6_3640
; %bb.3633:                             ;   in Loop: Header=BB6_3020 Depth=2
	v_mov_b32_e32 v93, 0
	s_mov_b32 s27, exec_lo
	v_cmpx_ne_u32_e32 0, v2
	s_cbranch_execz .LBB6_3639
; %bb.3634:                             ;   in Loop: Header=BB6_3020 Depth=2
	v_bfe_u32 v3, v2, 23, 8
	v_and_b32_e32 v113, 0x7fffff, v2
	v_sub_nc_u32_e32 v116, 0x78, v3
	v_cmp_gt_u32_e32 vcc_lo, 0x79, v3
	v_or_b32_e32 v93, 0x800000, v113
	v_cndmask_b32_e32 v116, 0, v116, vcc_lo
	v_cmp_eq_u32_e32 vcc_lo, 0, v3
	v_add_nc_u32_e32 v3, 0xffffff89, v3
	v_cndmask_b32_e64 v116, v116, 0x77, vcc_lo
	v_cndmask_b32_e32 v113, v93, v113, vcc_lo
	v_cndmask_b32_e64 v3, v3, 0xffffff8a, vcc_lo
	v_lshl_add_u32 v93, 0x100000, v116, -1
	v_lshrrev_b32_e32 v94, v116, v113
	v_lshlrev_b32_e64 v104, v116, 0x80000
	v_add_nc_u32_e32 v116, v116, v3
	v_and_b32_e32 v113, v93, v113
	v_bfe_u32 v95, v94, 20, 1
	v_cmp_eq_u32_e64 s12, v113, v104
	v_add_nc_u32_e32 v93, -1, v95
	v_cndmask_b32_e64 v113, 0, v93, s12
	v_lshrrev_b32_e32 v93, 23, v94
	s_mov_b32 s12, exec_lo
	v_add_nc_u32_e32 v113, v113, v94
	v_xor_b32_e32 v93, 1, v93
	v_and_b32_e32 v3, 0xfffff, v113
	v_add_nc_u32_e32 v113, v3, v94
                                        ; implicit-def: $vgpr3
	v_cmpx_ne_u32_e64 v116, v93
	s_xor_b32 s12, exec_lo, s12
; %bb.3635:                             ;   in Loop: Header=BB6_3020 Depth=2
	v_cmp_lt_u32_e32 vcc_lo, 0xffffff, v113
	v_sub_nc_u32_e32 v3, v116, v93
	v_cndmask_b32_e64 v116, 0, 1, vcc_lo
	v_add_co_ci_u32_e64 v3, null, 0, v3, vcc_lo
	v_lshrrev_b32_e32 v113, v116, v113
; %bb.3636:                             ;   in Loop: Header=BB6_3020 Depth=2
	s_andn2_saveexec_b32 s12, s12
; %bb.3637:                             ;   in Loop: Header=BB6_3020 Depth=2
	v_bfe_u32 v3, v113, 23, 1
; %bb.3638:                             ;   in Loop: Header=BB6_3020 Depth=2
	s_or_b32 exec_lo, exec_lo, s12
	v_lshrrev_b32_e32 v113, 20, v113
	v_min_i32_e32 v116, 15, v3
	v_cmp_gt_i32_e32 vcc_lo, 16, v3
	v_and_b32_sdwa v2, v2, v119 dst_sel:DWORD dst_unused:UNUSED_PAD src0_sel:BYTE_3 src1_sel:DWORD
	v_lshlrev_b32_e32 v116, 3, v116
	v_cndmask_b32_e32 v113, 7, v113, vcc_lo
	v_and_b32_e32 v116, 0xf8, v116
	v_and_b32_e32 v93, 7, v113
	v_or_b32_e32 v3, v3, v113
	v_or3_b32 v2, v116, v2, v93
	v_cmp_ne_u32_e32 vcc_lo, 0, v3
	v_cndmask_b32_e32 v93, 0, v2, vcc_lo
.LBB6_3639:                             ;   in Loop: Header=BB6_3020 Depth=2
	s_or_b32 exec_lo, exec_lo, s27
.LBB6_3640:                             ;   in Loop: Header=BB6_3020 Depth=2
	s_or_b32 exec_lo, exec_lo, s26
	v_cmp_gt_i16_sdwa s26, v35, v115 src0_sel:BYTE_3 src1_sel:DWORD
	s_mov_b32 s12, 0
	s_and_saveexec_b32 s27, s26
	s_xor_b32 s26, exec_lo, s27
	s_cbranch_execz .LBB6_4422
; %bb.3641:                             ;   in Loop: Header=BB6_3020 Depth=2
	v_cmp_eq_u16_sdwa s28, v35, v119 src0_sel:BYTE_3 src1_sel:DWORD
	s_mov_b32 s12, -1
	s_and_saveexec_b32 s27, s28
; %bb.3642:                             ;   in Loop: Header=BB6_3020 Depth=2
	s_xor_b32 s12, exec_lo, -1
; %bb.3643:                             ;   in Loop: Header=BB6_3020 Depth=2
	s_or_b32 exec_lo, exec_lo, s27
	s_and_b32 s12, s12, exec_lo
	s_or_saveexec_b32 s26, s26
	v_mov_b32_e32 v2, 0x7f800001
	s_xor_b32 exec_lo, exec_lo, s26
	s_cbranch_execnz .LBB6_4423
.LBB6_3644:                             ;   in Loop: Header=BB6_3020 Depth=2
	s_or_b32 exec_lo, exec_lo, s26
	s_and_saveexec_b32 s26, s12
	s_cbranch_execz .LBB6_3646
.LBB6_3645:                             ;   in Loop: Header=BB6_3020 Depth=2
	v_bfe_u32 v2, v35, 24, 3
	v_bfe_u32 v116, v35, 27, 4
	v_ffbh_u32_e32 v3, v2
	v_cmp_eq_u32_e32 vcc_lo, 0, v116
	v_min_u32_e32 v3, 32, v3
	v_subrev_nc_u32_e32 v113, 28, v3
	v_sub_nc_u32_e32 v3, 29, v3
	v_lshlrev_b32_sdwa v113, v113, v35 dst_sel:DWORD dst_unused:UNUSED_PAD src0_sel:DWORD src1_sel:BYTE_3
	v_cndmask_b32_e32 v3, v116, v3, vcc_lo
	v_and_b32_e32 v35, 0x80000000, v35
	v_and_b32_e32 v113, 7, v113
	v_lshl_add_u32 v3, v3, 23, 0x3b800000
	v_cndmask_b32_e32 v2, v2, v113, vcc_lo
	v_lshlrev_b32_e32 v2, 20, v2
	v_or3_b32 v2, v35, v3, v2
.LBB6_3646:                             ;   in Loop: Header=BB6_3020 Depth=2
	s_or_b32 exec_lo, exec_lo, s26
	v_cmp_gt_i16_sdwa s26, v29, v115 src0_sel:BYTE_3 src1_sel:DWORD
	s_mov_b32 s12, 0
	s_and_saveexec_b32 s27, s26
	s_xor_b32 s26, exec_lo, s27
	s_cbranch_execz .LBB6_4424
; %bb.3647:                             ;   in Loop: Header=BB6_3020 Depth=2
	v_cmp_eq_u16_sdwa s28, v29, v119 src0_sel:BYTE_3 src1_sel:DWORD
	s_mov_b32 s12, -1
	s_and_saveexec_b32 s27, s28
; %bb.3648:                             ;   in Loop: Header=BB6_3020 Depth=2
	s_xor_b32 s12, exec_lo, -1
; %bb.3649:                             ;   in Loop: Header=BB6_3020 Depth=2
	s_or_b32 exec_lo, exec_lo, s27
	s_and_b32 s12, s12, exec_lo
	s_or_saveexec_b32 s26, s26
	v_mov_b32_e32 v3, 0x7f800001
	s_xor_b32 exec_lo, exec_lo, s26
	s_cbranch_execnz .LBB6_4425
.LBB6_3650:                             ;   in Loop: Header=BB6_3020 Depth=2
	s_or_b32 exec_lo, exec_lo, s26
	s_and_saveexec_b32 s26, s12
	s_cbranch_execz .LBB6_3652
.LBB6_3651:                             ;   in Loop: Header=BB6_3020 Depth=2
	v_bfe_u32 v3, v29, 24, 3
	v_bfe_u32 v116, v29, 27, 4
	v_ffbh_u32_e32 v35, v3
	v_cmp_eq_u32_e32 vcc_lo, 0, v116
	v_min_u32_e32 v35, 32, v35
	v_subrev_nc_u32_e32 v113, 28, v35
	v_sub_nc_u32_e32 v35, 29, v35
	v_lshlrev_b32_sdwa v113, v113, v29 dst_sel:DWORD dst_unused:UNUSED_PAD src0_sel:DWORD src1_sel:BYTE_3
	v_cndmask_b32_e32 v35, v116, v35, vcc_lo
	v_and_b32_e32 v29, 0x80000000, v29
	v_and_b32_e32 v113, 7, v113
	v_lshl_add_u32 v35, v35, 23, 0x3b800000
	v_cndmask_b32_e32 v3, v3, v113, vcc_lo
	v_lshlrev_b32_e32 v3, 20, v3
	v_or3_b32 v3, v29, v35, v3
.LBB6_3652:                             ;   in Loop: Header=BB6_3020 Depth=2
	s_or_b32 exec_lo, exec_lo, s26
	v_add_f32_e32 v2, v2, v3
	v_mov_b32_e32 v29, 0x8000
	s_mov_b32 s26, exec_lo
	v_and_b32_e32 v3, 0x7f800000, v2
	v_cmpx_ne_u32_e32 0x7f800000, v3
	s_cbranch_execz .LBB6_3660
; %bb.3653:                             ;   in Loop: Header=BB6_3020 Depth=2
	v_mov_b32_e32 v29, 0
	s_mov_b32 s27, exec_lo
	v_cmpx_ne_u32_e32 0, v2
	s_cbranch_execz .LBB6_3659
; %bb.3654:                             ;   in Loop: Header=BB6_3020 Depth=2
	v_bfe_u32 v3, v2, 23, 8
	v_and_b32_e32 v29, 0x7fffff, v2
	v_sub_nc_u32_e32 v35, 0x78, v3
	v_cmp_gt_u32_e32 vcc_lo, 0x79, v3
	v_or_b32_e32 v113, 0x800000, v29
	v_cndmask_b32_e32 v35, 0, v35, vcc_lo
	v_cmp_eq_u32_e32 vcc_lo, 0, v3
	v_add_nc_u32_e32 v3, 0xffffff89, v3
	v_cndmask_b32_e64 v35, v35, 0x77, vcc_lo
	v_cndmask_b32_e32 v29, v113, v29, vcc_lo
	v_cndmask_b32_e64 v3, v3, 0xffffff8a, vcc_lo
	v_lshl_add_u32 v113, 0x100000, v35, -1
	v_lshrrev_b32_e32 v116, v35, v29
	v_lshlrev_b32_e64 v95, v35, 0x80000
	v_add_nc_u32_e32 v35, v35, v3
	v_and_b32_e32 v29, v113, v29
	v_bfe_u32 v94, v116, 20, 1
	v_cmp_eq_u32_e64 s12, v29, v95
	v_add_nc_u32_e32 v113, -1, v94
	v_cndmask_b32_e64 v29, 0, v113, s12
	v_lshrrev_b32_e32 v113, 23, v116
	s_mov_b32 s12, exec_lo
	v_add_nc_u32_e32 v29, v29, v116
	v_xor_b32_e32 v113, 1, v113
	v_and_b32_e32 v3, 0xfffff, v29
	v_add_nc_u32_e32 v29, v3, v116
                                        ; implicit-def: $vgpr3
	v_cmpx_ne_u32_e64 v35, v113
	s_xor_b32 s12, exec_lo, s12
; %bb.3655:                             ;   in Loop: Header=BB6_3020 Depth=2
	v_cmp_lt_u32_e32 vcc_lo, 0xffffff, v29
	v_sub_nc_u32_e32 v3, v35, v113
	v_cndmask_b32_e64 v35, 0, 1, vcc_lo
	v_add_co_ci_u32_e64 v3, null, 0, v3, vcc_lo
	v_lshrrev_b32_e32 v29, v35, v29
; %bb.3656:                             ;   in Loop: Header=BB6_3020 Depth=2
	s_andn2_saveexec_b32 s12, s12
; %bb.3657:                             ;   in Loop: Header=BB6_3020 Depth=2
	v_bfe_u32 v3, v29, 23, 1
; %bb.3658:                             ;   in Loop: Header=BB6_3020 Depth=2
	s_or_b32 exec_lo, exec_lo, s12
	v_lshrrev_b32_e32 v29, 20, v29
	v_min_i32_e32 v35, 15, v3
	v_cmp_gt_i32_e32 vcc_lo, 16, v3
	v_and_b32_sdwa v2, v2, v119 dst_sel:DWORD dst_unused:UNUSED_PAD src0_sel:BYTE_3 src1_sel:DWORD
	v_lshlrev_b32_e32 v35, 3, v35
	v_cndmask_b32_e32 v29, 7, v29, vcc_lo
	v_and_b32_e32 v35, 0xf8, v35
	v_and_b32_e32 v113, 7, v29
	v_or_b32_e32 v3, v3, v29
	v_or3_b32 v2, v2, v35, v113
	v_cmp_ne_u32_e32 vcc_lo, 0, v3
	v_lshlrev_b32_e32 v2, 8, v2
	v_cndmask_b32_e32 v29, 0, v2, vcc_lo
.LBB6_3659:                             ;   in Loop: Header=BB6_3020 Depth=2
	s_or_b32 exec_lo, exec_lo, s27
.LBB6_3660:                             ;   in Loop: Header=BB6_3020 Depth=2
	s_or_b32 exec_lo, exec_lo, s26
	v_cmp_gt_i16_sdwa s26, v22, v115 src0_sel:BYTE_0 src1_sel:DWORD
	s_mov_b32 s12, 0
	s_and_saveexec_b32 s27, s26
	s_xor_b32 s26, exec_lo, s27
	s_cbranch_execz .LBB6_4426
; %bb.3661:                             ;   in Loop: Header=BB6_3020 Depth=2
	v_cmp_eq_u16_sdwa s28, v22, v119 src0_sel:BYTE_0 src1_sel:DWORD
	s_mov_b32 s12, -1
	s_and_saveexec_b32 s27, s28
; %bb.3662:                             ;   in Loop: Header=BB6_3020 Depth=2
	s_xor_b32 s12, exec_lo, -1
; %bb.3663:                             ;   in Loop: Header=BB6_3020 Depth=2
	s_or_b32 exec_lo, exec_lo, s27
	s_and_b32 s12, s12, exec_lo
	s_or_saveexec_b32 s26, s26
	v_mov_b32_e32 v2, 0x7f800001
	s_xor_b32 exec_lo, exec_lo, s26
	s_cbranch_execnz .LBB6_4427
.LBB6_3664:                             ;   in Loop: Header=BB6_3020 Depth=2
	s_or_b32 exec_lo, exec_lo, s26
	s_and_saveexec_b32 s26, s12
	s_cbranch_execz .LBB6_3666
.LBB6_3665:                             ;   in Loop: Header=BB6_3020 Depth=2
	v_and_b32_e32 v2, 7, v22
	v_bfe_u32 v113, v22, 3, 4
	v_lshlrev_b32_e32 v116, 24, v22
	v_ffbh_u32_e32 v3, v2
	v_cmp_eq_u32_e32 vcc_lo, 0, v113
	v_min_u32_e32 v3, 32, v3
	v_subrev_nc_u32_e32 v35, 28, v3
	v_sub_nc_u32_e32 v3, 29, v3
	v_lshlrev_b32_e32 v35, v35, v22
	v_cndmask_b32_e32 v3, v113, v3, vcc_lo
	v_and_b32_e32 v35, 7, v35
	v_lshl_add_u32 v3, v3, 23, 0x3b800000
	v_cndmask_b32_e32 v2, v2, v35, vcc_lo
	v_and_b32_e32 v35, 0x80000000, v116
	v_lshlrev_b32_e32 v2, 20, v2
	v_or3_b32 v2, v35, v3, v2
.LBB6_3666:                             ;   in Loop: Header=BB6_3020 Depth=2
	s_or_b32 exec_lo, exec_lo, s26
	s_waitcnt vmcnt(1)
	v_cmp_gt_i16_sdwa s26, v18, v115 src0_sel:BYTE_0 src1_sel:DWORD
	s_mov_b32 s12, 0
	s_and_saveexec_b32 s27, s26
	s_xor_b32 s26, exec_lo, s27
	s_cbranch_execz .LBB6_4428
; %bb.3667:                             ;   in Loop: Header=BB6_3020 Depth=2
	v_cmp_eq_u16_sdwa s28, v18, v119 src0_sel:BYTE_0 src1_sel:DWORD
	s_mov_b32 s12, -1
	s_and_saveexec_b32 s27, s28
; %bb.3668:                             ;   in Loop: Header=BB6_3020 Depth=2
	s_xor_b32 s12, exec_lo, -1
; %bb.3669:                             ;   in Loop: Header=BB6_3020 Depth=2
	s_or_b32 exec_lo, exec_lo, s27
	s_and_b32 s12, s12, exec_lo
	s_or_saveexec_b32 s26, s26
	v_mov_b32_e32 v3, 0x7f800001
	s_xor_b32 exec_lo, exec_lo, s26
	s_cbranch_execnz .LBB6_4429
.LBB6_3670:                             ;   in Loop: Header=BB6_3020 Depth=2
	s_or_b32 exec_lo, exec_lo, s26
	s_and_saveexec_b32 s26, s12
	s_cbranch_execz .LBB6_3672
.LBB6_3671:                             ;   in Loop: Header=BB6_3020 Depth=2
	v_and_b32_e32 v3, 7, v18
	v_bfe_u32 v116, v18, 3, 4
	v_lshlrev_b32_e32 v94, 24, v18
	v_ffbh_u32_e32 v35, v3
	v_cmp_eq_u32_e32 vcc_lo, 0, v116
	v_min_u32_e32 v35, 32, v35
	v_subrev_nc_u32_e32 v113, 28, v35
	v_sub_nc_u32_e32 v35, 29, v35
	v_lshlrev_b32_e32 v113, v113, v18
	v_cndmask_b32_e32 v35, v116, v35, vcc_lo
	v_and_b32_e32 v113, 7, v113
	v_lshl_add_u32 v35, v35, 23, 0x3b800000
	v_cndmask_b32_e32 v3, v3, v113, vcc_lo
	v_and_b32_e32 v113, 0x80000000, v94
	v_lshlrev_b32_e32 v3, 20, v3
	v_or3_b32 v3, v113, v35, v3
.LBB6_3672:                             ;   in Loop: Header=BB6_3020 Depth=2
	s_or_b32 exec_lo, exec_lo, s26
	v_add_f32_e32 v2, v2, v3
	v_mov_b32_e32 v35, 0x80
	s_mov_b32 s26, exec_lo
	v_and_b32_e32 v3, 0x7f800000, v2
	v_cmpx_ne_u32_e32 0x7f800000, v3
	s_cbranch_execz .LBB6_3680
; %bb.3673:                             ;   in Loop: Header=BB6_3020 Depth=2
	v_mov_b32_e32 v35, 0
	s_mov_b32 s27, exec_lo
	v_cmpx_ne_u32_e32 0, v2
	s_cbranch_execz .LBB6_3679
; %bb.3674:                             ;   in Loop: Header=BB6_3020 Depth=2
	v_bfe_u32 v3, v2, 23, 8
	v_and_b32_e32 v35, 0x7fffff, v2
	v_sub_nc_u32_e32 v113, 0x78, v3
	v_cmp_gt_u32_e32 vcc_lo, 0x79, v3
	v_or_b32_e32 v116, 0x800000, v35
	v_cndmask_b32_e32 v113, 0, v113, vcc_lo
	v_cmp_eq_u32_e32 vcc_lo, 0, v3
	v_add_nc_u32_e32 v3, 0xffffff89, v3
	v_cndmask_b32_e64 v113, v113, 0x77, vcc_lo
	v_cndmask_b32_e32 v35, v116, v35, vcc_lo
	v_cndmask_b32_e64 v3, v3, 0xffffff8a, vcc_lo
	v_lshl_add_u32 v116, 0x100000, v113, -1
	v_lshrrev_b32_e32 v94, v113, v35
	v_lshlrev_b32_e64 v104, v113, 0x80000
	v_add_nc_u32_e32 v113, v113, v3
	v_and_b32_e32 v35, v116, v35
	v_bfe_u32 v95, v94, 20, 1
	v_cmp_eq_u32_e64 s12, v35, v104
	v_add_nc_u32_e32 v116, -1, v95
	v_cndmask_b32_e64 v35, 0, v116, s12
	v_lshrrev_b32_e32 v116, 23, v94
	s_mov_b32 s12, exec_lo
	v_add_nc_u32_e32 v35, v35, v94
	v_xor_b32_e32 v116, 1, v116
	v_and_b32_e32 v3, 0xfffff, v35
	v_add_nc_u32_e32 v35, v3, v94
                                        ; implicit-def: $vgpr3
	v_cmpx_ne_u32_e64 v113, v116
	s_xor_b32 s12, exec_lo, s12
; %bb.3675:                             ;   in Loop: Header=BB6_3020 Depth=2
	v_cmp_lt_u32_e32 vcc_lo, 0xffffff, v35
	v_sub_nc_u32_e32 v3, v113, v116
	v_cndmask_b32_e64 v113, 0, 1, vcc_lo
	v_add_co_ci_u32_e64 v3, null, 0, v3, vcc_lo
	v_lshrrev_b32_e32 v35, v113, v35
; %bb.3676:                             ;   in Loop: Header=BB6_3020 Depth=2
	s_andn2_saveexec_b32 s12, s12
; %bb.3677:                             ;   in Loop: Header=BB6_3020 Depth=2
	v_bfe_u32 v3, v35, 23, 1
; %bb.3678:                             ;   in Loop: Header=BB6_3020 Depth=2
	s_or_b32 exec_lo, exec_lo, s12
	v_lshrrev_b32_e32 v35, 20, v35
	v_min_i32_e32 v113, 15, v3
	v_cmp_gt_i32_e32 vcc_lo, 16, v3
	v_and_b32_sdwa v2, v2, v119 dst_sel:DWORD dst_unused:UNUSED_PAD src0_sel:BYTE_3 src1_sel:DWORD
	v_lshlrev_b32_e32 v113, 3, v113
	v_cndmask_b32_e32 v35, 7, v35, vcc_lo
	v_and_b32_e32 v113, 0xf8, v113
	v_and_b32_e32 v116, 7, v35
	v_or_b32_e32 v3, v3, v35
	v_or3_b32 v2, v113, v2, v116
	v_cmp_ne_u32_e32 vcc_lo, 0, v3
	v_cndmask_b32_e32 v35, 0, v2, vcc_lo
.LBB6_3679:                             ;   in Loop: Header=BB6_3020 Depth=2
	s_or_b32 exec_lo, exec_lo, s27
.LBB6_3680:                             ;   in Loop: Header=BB6_3020 Depth=2
	s_or_b32 exec_lo, exec_lo, s26
	v_cmp_gt_i16_sdwa s26, v22, v115 src0_sel:BYTE_1 src1_sel:DWORD
	s_mov_b32 s12, 0
	s_and_saveexec_b32 s27, s26
	s_xor_b32 s26, exec_lo, s27
	s_cbranch_execz .LBB6_4430
; %bb.3681:                             ;   in Loop: Header=BB6_3020 Depth=2
	v_cmp_eq_u16_sdwa s28, v22, v119 src0_sel:BYTE_1 src1_sel:DWORD
	s_mov_b32 s12, -1
	s_and_saveexec_b32 s27, s28
; %bb.3682:                             ;   in Loop: Header=BB6_3020 Depth=2
	s_xor_b32 s12, exec_lo, -1
; %bb.3683:                             ;   in Loop: Header=BB6_3020 Depth=2
	s_or_b32 exec_lo, exec_lo, s27
	s_and_b32 s12, s12, exec_lo
	s_or_saveexec_b32 s26, s26
	v_mov_b32_e32 v2, 0x7f800001
	s_xor_b32 exec_lo, exec_lo, s26
	s_cbranch_execnz .LBB6_4431
.LBB6_3684:                             ;   in Loop: Header=BB6_3020 Depth=2
	s_or_b32 exec_lo, exec_lo, s26
	s_and_saveexec_b32 s26, s12
	s_cbranch_execz .LBB6_3686
.LBB6_3685:                             ;   in Loop: Header=BB6_3020 Depth=2
	v_and_b32_sdwa v2, v41, v22 dst_sel:DWORD dst_unused:UNUSED_PAD src0_sel:DWORD src1_sel:BYTE_1
	v_and_b32_e32 v3, 7, v2
	v_bfe_u32 v94, v2, 3, 4
	v_ffbh_u32_e32 v113, v3
	v_cmp_eq_u32_e32 vcc_lo, 0, v94
	v_min_u32_e32 v113, 32, v113
	v_subrev_nc_u32_e32 v116, 28, v113
	v_sub_nc_u32_e32 v113, 29, v113
	v_lshlrev_b32_e32 v2, v116, v2
	v_lshlrev_b32_sdwa v116, v47, v22 dst_sel:DWORD dst_unused:UNUSED_PAD src0_sel:DWORD src1_sel:BYTE_1
	v_cndmask_b32_e32 v113, v94, v113, vcc_lo
	v_and_b32_e32 v2, 7, v2
	v_lshl_add_u32 v113, v113, 23, 0x3b800000
	v_cndmask_b32_e32 v2, v3, v2, vcc_lo
	v_and_b32_e32 v3, 0x80000000, v116
	v_lshlrev_b32_e32 v2, 20, v2
	v_or3_b32 v2, v3, v113, v2
.LBB6_3686:                             ;   in Loop: Header=BB6_3020 Depth=2
	s_or_b32 exec_lo, exec_lo, s26
	v_cmp_gt_i16_sdwa s26, v18, v115 src0_sel:BYTE_1 src1_sel:DWORD
	s_mov_b32 s12, 0
	s_and_saveexec_b32 s27, s26
	s_xor_b32 s26, exec_lo, s27
	s_cbranch_execz .LBB6_4432
; %bb.3687:                             ;   in Loop: Header=BB6_3020 Depth=2
	v_cmp_eq_u16_sdwa s28, v18, v119 src0_sel:BYTE_1 src1_sel:DWORD
	s_mov_b32 s12, -1
	s_and_saveexec_b32 s27, s28
; %bb.3688:                             ;   in Loop: Header=BB6_3020 Depth=2
	s_xor_b32 s12, exec_lo, -1
; %bb.3689:                             ;   in Loop: Header=BB6_3020 Depth=2
	s_or_b32 exec_lo, exec_lo, s27
	s_and_b32 s12, s12, exec_lo
	s_or_saveexec_b32 s26, s26
	v_mov_b32_e32 v3, 0x7f800001
	s_xor_b32 exec_lo, exec_lo, s26
	s_cbranch_execnz .LBB6_4433
.LBB6_3690:                             ;   in Loop: Header=BB6_3020 Depth=2
	s_or_b32 exec_lo, exec_lo, s26
	s_and_saveexec_b32 s26, s12
	s_cbranch_execz .LBB6_3692
.LBB6_3691:                             ;   in Loop: Header=BB6_3020 Depth=2
	v_and_b32_sdwa v3, v41, v18 dst_sel:DWORD dst_unused:UNUSED_PAD src0_sel:DWORD src1_sel:BYTE_1
	v_and_b32_e32 v113, 7, v3
	v_bfe_u32 v95, v3, 3, 4
	v_ffbh_u32_e32 v116, v113
	v_cmp_eq_u32_e32 vcc_lo, 0, v95
	v_min_u32_e32 v116, 32, v116
	v_subrev_nc_u32_e32 v94, 28, v116
	v_sub_nc_u32_e32 v116, 29, v116
	v_lshlrev_b32_e32 v3, v94, v3
	v_lshlrev_b32_sdwa v94, v47, v18 dst_sel:DWORD dst_unused:UNUSED_PAD src0_sel:DWORD src1_sel:BYTE_1
	v_cndmask_b32_e32 v116, v95, v116, vcc_lo
	v_and_b32_e32 v3, 7, v3
	v_lshl_add_u32 v116, v116, 23, 0x3b800000
	v_cndmask_b32_e32 v3, v113, v3, vcc_lo
	v_and_b32_e32 v113, 0x80000000, v94
	v_lshlrev_b32_e32 v3, 20, v3
	v_or3_b32 v3, v113, v116, v3
.LBB6_3692:                             ;   in Loop: Header=BB6_3020 Depth=2
	s_or_b32 exec_lo, exec_lo, s26
	v_add_f32_e32 v2, v2, v3
	v_mov_b32_e32 v94, 0x8000
	s_mov_b32 s26, exec_lo
	v_and_b32_e32 v3, 0x7f800000, v2
	v_cmpx_ne_u32_e32 0x7f800000, v3
	s_cbranch_execz .LBB6_3700
; %bb.3693:                             ;   in Loop: Header=BB6_3020 Depth=2
	v_mov_b32_e32 v94, 0
	s_mov_b32 s27, exec_lo
	v_cmpx_ne_u32_e32 0, v2
	s_cbranch_execz .LBB6_3699
; %bb.3694:                             ;   in Loop: Header=BB6_3020 Depth=2
	v_bfe_u32 v3, v2, 23, 8
	v_and_b32_e32 v113, 0x7fffff, v2
	v_sub_nc_u32_e32 v116, 0x78, v3
	v_cmp_gt_u32_e32 vcc_lo, 0x79, v3
	v_or_b32_e32 v94, 0x800000, v113
	v_cndmask_b32_e32 v116, 0, v116, vcc_lo
	v_cmp_eq_u32_e32 vcc_lo, 0, v3
	v_add_nc_u32_e32 v3, 0xffffff89, v3
	v_cndmask_b32_e64 v116, v116, 0x77, vcc_lo
	v_cndmask_b32_e32 v113, v94, v113, vcc_lo
	v_cndmask_b32_e64 v3, v3, 0xffffff8a, vcc_lo
	v_lshl_add_u32 v94, 0x100000, v116, -1
	v_lshrrev_b32_e32 v95, v116, v113
	v_lshlrev_b32_e64 v105, v116, 0x80000
	v_add_nc_u32_e32 v116, v116, v3
	v_and_b32_e32 v113, v94, v113
	v_bfe_u32 v104, v95, 20, 1
	v_cmp_eq_u32_e64 s12, v113, v105
	v_add_nc_u32_e32 v94, -1, v104
	v_cndmask_b32_e64 v113, 0, v94, s12
	v_lshrrev_b32_e32 v94, 23, v95
	s_mov_b32 s12, exec_lo
	v_add_nc_u32_e32 v113, v113, v95
	v_xor_b32_e32 v94, 1, v94
	v_and_b32_e32 v3, 0xfffff, v113
	v_add_nc_u32_e32 v113, v3, v95
                                        ; implicit-def: $vgpr3
	v_cmpx_ne_u32_e64 v116, v94
	s_xor_b32 s12, exec_lo, s12
; %bb.3695:                             ;   in Loop: Header=BB6_3020 Depth=2
	v_cmp_lt_u32_e32 vcc_lo, 0xffffff, v113
	v_sub_nc_u32_e32 v3, v116, v94
	v_cndmask_b32_e64 v116, 0, 1, vcc_lo
	v_add_co_ci_u32_e64 v3, null, 0, v3, vcc_lo
	v_lshrrev_b32_e32 v113, v116, v113
; %bb.3696:                             ;   in Loop: Header=BB6_3020 Depth=2
	s_andn2_saveexec_b32 s12, s12
; %bb.3697:                             ;   in Loop: Header=BB6_3020 Depth=2
	v_bfe_u32 v3, v113, 23, 1
; %bb.3698:                             ;   in Loop: Header=BB6_3020 Depth=2
	s_or_b32 exec_lo, exec_lo, s12
	v_lshrrev_b32_e32 v113, 20, v113
	v_min_i32_e32 v116, 15, v3
	v_cmp_gt_i32_e32 vcc_lo, 16, v3
	v_and_b32_sdwa v2, v2, v119 dst_sel:DWORD dst_unused:UNUSED_PAD src0_sel:BYTE_3 src1_sel:DWORD
	v_lshlrev_b32_e32 v116, 3, v116
	v_cndmask_b32_e32 v113, 7, v113, vcc_lo
	v_and_b32_e32 v116, 0xf8, v116
	v_and_b32_e32 v94, 7, v113
	v_or_b32_e32 v3, v3, v113
	v_or3_b32 v2, v2, v116, v94
	v_cmp_ne_u32_e32 vcc_lo, 0, v3
	v_lshlrev_b32_e32 v2, 8, v2
	v_cndmask_b32_e32 v94, 0, v2, vcc_lo
.LBB6_3699:                             ;   in Loop: Header=BB6_3020 Depth=2
	s_or_b32 exec_lo, exec_lo, s27
.LBB6_3700:                             ;   in Loop: Header=BB6_3020 Depth=2
	s_or_b32 exec_lo, exec_lo, s26
	v_and_b32_sdwa v3, v22, v56 dst_sel:DWORD dst_unused:UNUSED_PAD src0_sel:WORD_1 src1_sel:DWORD
	s_mov_b32 s12, 0
	s_mov_b32 s26, exec_lo
	v_cmpx_lt_i16_e32 0x7f, v3
	s_xor_b32 s26, exec_lo, s26
	s_cbranch_execz .LBB6_4434
; %bb.3701:                             ;   in Loop: Header=BB6_3020 Depth=2
	s_mov_b32 s12, -1
	s_mov_b32 s27, exec_lo
	v_cmpx_eq_u16_e32 0x80, v3
; %bb.3702:                             ;   in Loop: Header=BB6_3020 Depth=2
	s_xor_b32 s12, exec_lo, -1
; %bb.3703:                             ;   in Loop: Header=BB6_3020 Depth=2
	s_or_b32 exec_lo, exec_lo, s27
	s_and_b32 s12, s12, exec_lo
                                        ; implicit-def: $vgpr3
	s_or_saveexec_b32 s26, s26
	v_mov_b32_e32 v2, 0x7f800001
	s_xor_b32 exec_lo, exec_lo, s26
	s_cbranch_execnz .LBB6_4435
.LBB6_3704:                             ;   in Loop: Header=BB6_3020 Depth=2
	s_or_b32 exec_lo, exec_lo, s26
	s_and_saveexec_b32 s26, s12
	s_cbranch_execz .LBB6_3706
.LBB6_3705:                             ;   in Loop: Header=BB6_3020 Depth=2
	v_bfe_u32 v2, v22, 16, 3
	v_bfe_u32 v116, v22, 19, 4
	v_lshlrev_b32_e32 v95, 8, v22
	v_ffbh_u32_e32 v3, v2
	v_cmp_eq_u32_e32 vcc_lo, 0, v116
	v_min_u32_e32 v3, 32, v3
	v_subrev_nc_u32_e32 v113, 28, v3
	v_sub_nc_u32_e32 v3, 29, v3
	v_lshlrev_b32_sdwa v113, v113, v22 dst_sel:DWORD dst_unused:UNUSED_PAD src0_sel:DWORD src1_sel:WORD_1
	v_cndmask_b32_e32 v3, v116, v3, vcc_lo
	v_and_b32_e32 v113, 7, v113
	v_lshl_add_u32 v3, v3, 23, 0x3b800000
	v_cndmask_b32_e32 v2, v2, v113, vcc_lo
	v_and_b32_e32 v113, 0x80000000, v95
	v_lshlrev_b32_e32 v2, 20, v2
	v_or3_b32 v2, v113, v3, v2
.LBB6_3706:                             ;   in Loop: Header=BB6_3020 Depth=2
	s_or_b32 exec_lo, exec_lo, s26
	v_and_b32_sdwa v113, v18, v56 dst_sel:DWORD dst_unused:UNUSED_PAD src0_sel:WORD_1 src1_sel:DWORD
	s_mov_b32 s12, 0
	s_mov_b32 s26, exec_lo
	v_cmpx_lt_i16_e32 0x7f, v113
	s_xor_b32 s26, exec_lo, s26
	s_cbranch_execz .LBB6_4436
; %bb.3707:                             ;   in Loop: Header=BB6_3020 Depth=2
	s_mov_b32 s12, -1
	s_mov_b32 s27, exec_lo
	v_cmpx_eq_u16_e32 0x80, v113
; %bb.3708:                             ;   in Loop: Header=BB6_3020 Depth=2
	s_xor_b32 s12, exec_lo, -1
; %bb.3709:                             ;   in Loop: Header=BB6_3020 Depth=2
	s_or_b32 exec_lo, exec_lo, s27
	s_and_b32 s12, s12, exec_lo
                                        ; implicit-def: $vgpr113
	s_or_saveexec_b32 s26, s26
	v_mov_b32_e32 v3, 0x7f800001
	s_xor_b32 exec_lo, exec_lo, s26
	s_cbranch_execnz .LBB6_4437
.LBB6_3710:                             ;   in Loop: Header=BB6_3020 Depth=2
	s_or_b32 exec_lo, exec_lo, s26
	s_and_saveexec_b32 s26, s12
	s_cbranch_execz .LBB6_3712
.LBB6_3711:                             ;   in Loop: Header=BB6_3020 Depth=2
	v_bfe_u32 v3, v18, 16, 3
	v_bfe_u32 v95, v18, 19, 4
	v_lshlrev_b32_e32 v104, 8, v18
	v_ffbh_u32_e32 v113, v3
	v_cmp_eq_u32_e32 vcc_lo, 0, v95
	v_min_u32_e32 v113, 32, v113
	v_subrev_nc_u32_e32 v116, 28, v113
	v_sub_nc_u32_e32 v113, 29, v113
	v_lshlrev_b32_sdwa v116, v116, v18 dst_sel:DWORD dst_unused:UNUSED_PAD src0_sel:DWORD src1_sel:WORD_1
	v_cndmask_b32_e32 v113, v95, v113, vcc_lo
	v_and_b32_e32 v116, 7, v116
	v_lshl_add_u32 v113, v113, 23, 0x3b800000
	v_cndmask_b32_e32 v3, v3, v116, vcc_lo
	v_and_b32_e32 v116, 0x80000000, v104
	v_lshlrev_b32_e32 v3, 20, v3
	v_or3_b32 v3, v116, v113, v3
.LBB6_3712:                             ;   in Loop: Header=BB6_3020 Depth=2
	s_or_b32 exec_lo, exec_lo, s26
	v_add_f32_e32 v2, v2, v3
	v_mov_b32_e32 v95, 0x80
	s_mov_b32 s26, exec_lo
	v_and_b32_e32 v3, 0x7f800000, v2
	v_cmpx_ne_u32_e32 0x7f800000, v3
	s_cbranch_execz .LBB6_3720
; %bb.3713:                             ;   in Loop: Header=BB6_3020 Depth=2
	v_mov_b32_e32 v95, 0
	s_mov_b32 s27, exec_lo
	v_cmpx_ne_u32_e32 0, v2
	s_cbranch_execz .LBB6_3719
; %bb.3714:                             ;   in Loop: Header=BB6_3020 Depth=2
	v_bfe_u32 v3, v2, 23, 8
	v_and_b32_e32 v113, 0x7fffff, v2
	v_sub_nc_u32_e32 v116, 0x78, v3
	v_cmp_gt_u32_e32 vcc_lo, 0x79, v3
	v_or_b32_e32 v95, 0x800000, v113
	v_cndmask_b32_e32 v116, 0, v116, vcc_lo
	v_cmp_eq_u32_e32 vcc_lo, 0, v3
	v_add_nc_u32_e32 v3, 0xffffff89, v3
	v_cndmask_b32_e64 v116, v116, 0x77, vcc_lo
	v_cndmask_b32_e32 v113, v95, v113, vcc_lo
	v_cndmask_b32_e64 v3, v3, 0xffffff8a, vcc_lo
	v_lshl_add_u32 v95, 0x100000, v116, -1
	v_lshrrev_b32_e32 v104, v116, v113
	v_lshlrev_b32_e64 v106, v116, 0x80000
	v_add_nc_u32_e32 v116, v116, v3
	v_and_b32_e32 v113, v95, v113
	v_bfe_u32 v105, v104, 20, 1
	v_cmp_eq_u32_e64 s12, v113, v106
	v_add_nc_u32_e32 v95, -1, v105
	v_cndmask_b32_e64 v113, 0, v95, s12
	v_lshrrev_b32_e32 v95, 23, v104
	s_mov_b32 s12, exec_lo
	v_add_nc_u32_e32 v113, v113, v104
	v_xor_b32_e32 v95, 1, v95
	v_and_b32_e32 v3, 0xfffff, v113
	v_add_nc_u32_e32 v113, v3, v104
                                        ; implicit-def: $vgpr3
	v_cmpx_ne_u32_e64 v116, v95
	s_xor_b32 s12, exec_lo, s12
; %bb.3715:                             ;   in Loop: Header=BB6_3020 Depth=2
	v_cmp_lt_u32_e32 vcc_lo, 0xffffff, v113
	v_sub_nc_u32_e32 v3, v116, v95
	v_cndmask_b32_e64 v116, 0, 1, vcc_lo
	v_add_co_ci_u32_e64 v3, null, 0, v3, vcc_lo
	v_lshrrev_b32_e32 v113, v116, v113
; %bb.3716:                             ;   in Loop: Header=BB6_3020 Depth=2
	s_andn2_saveexec_b32 s12, s12
; %bb.3717:                             ;   in Loop: Header=BB6_3020 Depth=2
	v_bfe_u32 v3, v113, 23, 1
; %bb.3718:                             ;   in Loop: Header=BB6_3020 Depth=2
	s_or_b32 exec_lo, exec_lo, s12
	v_lshrrev_b32_e32 v113, 20, v113
	v_min_i32_e32 v116, 15, v3
	v_cmp_gt_i32_e32 vcc_lo, 16, v3
	v_and_b32_sdwa v2, v2, v119 dst_sel:DWORD dst_unused:UNUSED_PAD src0_sel:BYTE_3 src1_sel:DWORD
	v_lshlrev_b32_e32 v116, 3, v116
	v_cndmask_b32_e32 v113, 7, v113, vcc_lo
	v_and_b32_e32 v116, 0xf8, v116
	v_and_b32_e32 v95, 7, v113
	v_or_b32_e32 v3, v3, v113
	v_or3_b32 v2, v116, v2, v95
	v_cmp_ne_u32_e32 vcc_lo, 0, v3
	v_cndmask_b32_e32 v95, 0, v2, vcc_lo
.LBB6_3719:                             ;   in Loop: Header=BB6_3020 Depth=2
	s_or_b32 exec_lo, exec_lo, s27
.LBB6_3720:                             ;   in Loop: Header=BB6_3020 Depth=2
	s_or_b32 exec_lo, exec_lo, s26
	v_cmp_gt_i16_sdwa s26, v22, v115 src0_sel:BYTE_3 src1_sel:DWORD
	s_mov_b32 s12, 0
	s_and_saveexec_b32 s27, s26
	s_xor_b32 s26, exec_lo, s27
	s_cbranch_execz .LBB6_4438
; %bb.3721:                             ;   in Loop: Header=BB6_3020 Depth=2
	v_cmp_eq_u16_sdwa s28, v22, v119 src0_sel:BYTE_3 src1_sel:DWORD
	s_mov_b32 s12, -1
	s_and_saveexec_b32 s27, s28
; %bb.3722:                             ;   in Loop: Header=BB6_3020 Depth=2
	s_xor_b32 s12, exec_lo, -1
; %bb.3723:                             ;   in Loop: Header=BB6_3020 Depth=2
	s_or_b32 exec_lo, exec_lo, s27
	s_and_b32 s12, s12, exec_lo
	s_or_saveexec_b32 s26, s26
	v_mov_b32_e32 v2, 0x7f800001
	s_xor_b32 exec_lo, exec_lo, s26
	s_cbranch_execnz .LBB6_4439
.LBB6_3724:                             ;   in Loop: Header=BB6_3020 Depth=2
	s_or_b32 exec_lo, exec_lo, s26
	s_and_saveexec_b32 s26, s12
	s_cbranch_execz .LBB6_3726
.LBB6_3725:                             ;   in Loop: Header=BB6_3020 Depth=2
	v_bfe_u32 v2, v22, 24, 3
	v_bfe_u32 v116, v22, 27, 4
	v_ffbh_u32_e32 v3, v2
	v_cmp_eq_u32_e32 vcc_lo, 0, v116
	v_min_u32_e32 v3, 32, v3
	v_subrev_nc_u32_e32 v113, 28, v3
	v_sub_nc_u32_e32 v3, 29, v3
	v_lshlrev_b32_sdwa v113, v113, v22 dst_sel:DWORD dst_unused:UNUSED_PAD src0_sel:DWORD src1_sel:BYTE_3
	v_cndmask_b32_e32 v3, v116, v3, vcc_lo
	v_and_b32_e32 v22, 0x80000000, v22
	v_and_b32_e32 v113, 7, v113
	v_lshl_add_u32 v3, v3, 23, 0x3b800000
	v_cndmask_b32_e32 v2, v2, v113, vcc_lo
	v_lshlrev_b32_e32 v2, 20, v2
	v_or3_b32 v2, v22, v3, v2
.LBB6_3726:                             ;   in Loop: Header=BB6_3020 Depth=2
	s_or_b32 exec_lo, exec_lo, s26
	v_cmp_gt_i16_sdwa s26, v18, v115 src0_sel:BYTE_3 src1_sel:DWORD
	s_mov_b32 s12, 0
	s_and_saveexec_b32 s27, s26
	s_xor_b32 s26, exec_lo, s27
	s_cbranch_execz .LBB6_4440
; %bb.3727:                             ;   in Loop: Header=BB6_3020 Depth=2
	v_cmp_eq_u16_sdwa s28, v18, v119 src0_sel:BYTE_3 src1_sel:DWORD
	s_mov_b32 s12, -1
	s_and_saveexec_b32 s27, s28
; %bb.3728:                             ;   in Loop: Header=BB6_3020 Depth=2
	s_xor_b32 s12, exec_lo, -1
; %bb.3729:                             ;   in Loop: Header=BB6_3020 Depth=2
	s_or_b32 exec_lo, exec_lo, s27
	s_and_b32 s12, s12, exec_lo
	s_or_saveexec_b32 s26, s26
	v_mov_b32_e32 v3, 0x7f800001
	s_xor_b32 exec_lo, exec_lo, s26
	s_cbranch_execnz .LBB6_4441
.LBB6_3730:                             ;   in Loop: Header=BB6_3020 Depth=2
	s_or_b32 exec_lo, exec_lo, s26
	s_and_saveexec_b32 s26, s12
	s_cbranch_execz .LBB6_3732
.LBB6_3731:                             ;   in Loop: Header=BB6_3020 Depth=2
	v_bfe_u32 v3, v18, 24, 3
	v_bfe_u32 v116, v18, 27, 4
	v_ffbh_u32_e32 v22, v3
	v_cmp_eq_u32_e32 vcc_lo, 0, v116
	v_min_u32_e32 v22, 32, v22
	v_subrev_nc_u32_e32 v113, 28, v22
	v_sub_nc_u32_e32 v22, 29, v22
	v_lshlrev_b32_sdwa v113, v113, v18 dst_sel:DWORD dst_unused:UNUSED_PAD src0_sel:DWORD src1_sel:BYTE_3
	v_cndmask_b32_e32 v22, v116, v22, vcc_lo
	v_and_b32_e32 v18, 0x80000000, v18
	v_and_b32_e32 v113, 7, v113
	v_lshl_add_u32 v22, v22, 23, 0x3b800000
	v_cndmask_b32_e32 v3, v3, v113, vcc_lo
	v_lshlrev_b32_e32 v3, 20, v3
	v_or3_b32 v3, v18, v22, v3
.LBB6_3732:                             ;   in Loop: Header=BB6_3020 Depth=2
	s_or_b32 exec_lo, exec_lo, s26
	v_add_f32_e32 v2, v2, v3
	v_mov_b32_e32 v18, 0x8000
	s_mov_b32 s26, exec_lo
	v_and_b32_e32 v3, 0x7f800000, v2
	v_cmpx_ne_u32_e32 0x7f800000, v3
	s_cbranch_execz .LBB6_3740
; %bb.3733:                             ;   in Loop: Header=BB6_3020 Depth=2
	v_mov_b32_e32 v18, 0
	s_mov_b32 s27, exec_lo
	v_cmpx_ne_u32_e32 0, v2
	s_cbranch_execz .LBB6_3739
; %bb.3734:                             ;   in Loop: Header=BB6_3020 Depth=2
	v_bfe_u32 v3, v2, 23, 8
	v_and_b32_e32 v18, 0x7fffff, v2
	v_sub_nc_u32_e32 v22, 0x78, v3
	v_cmp_gt_u32_e32 vcc_lo, 0x79, v3
	v_or_b32_e32 v113, 0x800000, v18
	v_cndmask_b32_e32 v22, 0, v22, vcc_lo
	v_cmp_eq_u32_e32 vcc_lo, 0, v3
	v_add_nc_u32_e32 v3, 0xffffff89, v3
	v_cndmask_b32_e64 v22, v22, 0x77, vcc_lo
	v_cndmask_b32_e32 v18, v113, v18, vcc_lo
	v_cndmask_b32_e64 v3, v3, 0xffffff8a, vcc_lo
	v_lshl_add_u32 v113, 0x100000, v22, -1
	v_lshrrev_b32_e32 v116, v22, v18
	v_lshlrev_b32_e64 v105, v22, 0x80000
	v_add_nc_u32_e32 v22, v22, v3
	v_and_b32_e32 v18, v113, v18
	v_bfe_u32 v104, v116, 20, 1
	v_cmp_eq_u32_e64 s12, v18, v105
	v_add_nc_u32_e32 v113, -1, v104
	v_cndmask_b32_e64 v18, 0, v113, s12
	v_lshrrev_b32_e32 v113, 23, v116
	s_mov_b32 s12, exec_lo
	v_add_nc_u32_e32 v18, v18, v116
	v_xor_b32_e32 v113, 1, v113
	v_and_b32_e32 v3, 0xfffff, v18
	v_add_nc_u32_e32 v18, v3, v116
                                        ; implicit-def: $vgpr3
	v_cmpx_ne_u32_e64 v22, v113
	s_xor_b32 s12, exec_lo, s12
; %bb.3735:                             ;   in Loop: Header=BB6_3020 Depth=2
	v_cmp_lt_u32_e32 vcc_lo, 0xffffff, v18
	v_sub_nc_u32_e32 v3, v22, v113
	v_cndmask_b32_e64 v22, 0, 1, vcc_lo
	v_add_co_ci_u32_e64 v3, null, 0, v3, vcc_lo
	v_lshrrev_b32_e32 v18, v22, v18
; %bb.3736:                             ;   in Loop: Header=BB6_3020 Depth=2
	s_andn2_saveexec_b32 s12, s12
; %bb.3737:                             ;   in Loop: Header=BB6_3020 Depth=2
	v_bfe_u32 v3, v18, 23, 1
; %bb.3738:                             ;   in Loop: Header=BB6_3020 Depth=2
	s_or_b32 exec_lo, exec_lo, s12
	v_lshrrev_b32_e32 v18, 20, v18
	v_min_i32_e32 v22, 15, v3
	v_cmp_gt_i32_e32 vcc_lo, 16, v3
	v_and_b32_sdwa v2, v2, v119 dst_sel:DWORD dst_unused:UNUSED_PAD src0_sel:BYTE_3 src1_sel:DWORD
	v_lshlrev_b32_e32 v22, 3, v22
	v_cndmask_b32_e32 v18, 7, v18, vcc_lo
	v_and_b32_e32 v22, 0xf8, v22
	v_and_b32_e32 v113, 7, v18
	v_or_b32_e32 v3, v3, v18
	v_or3_b32 v2, v2, v22, v113
	v_cmp_ne_u32_e32 vcc_lo, 0, v3
	v_lshlrev_b32_e32 v2, 8, v2
	v_cndmask_b32_e32 v18, 0, v2, vcc_lo
.LBB6_3739:                             ;   in Loop: Header=BB6_3020 Depth=2
	s_or_b32 exec_lo, exec_lo, s27
.LBB6_3740:                             ;   in Loop: Header=BB6_3020 Depth=2
	s_or_b32 exec_lo, exec_lo, s26
	v_cmp_gt_i16_sdwa s26, v23, v115 src0_sel:BYTE_0 src1_sel:DWORD
	s_mov_b32 s12, 0
	s_and_saveexec_b32 s27, s26
	s_xor_b32 s26, exec_lo, s27
	s_cbranch_execz .LBB6_4442
; %bb.3741:                             ;   in Loop: Header=BB6_3020 Depth=2
	v_cmp_eq_u16_sdwa s28, v23, v119 src0_sel:BYTE_0 src1_sel:DWORD
	s_mov_b32 s12, -1
	s_and_saveexec_b32 s27, s28
; %bb.3742:                             ;   in Loop: Header=BB6_3020 Depth=2
	s_xor_b32 s12, exec_lo, -1
; %bb.3743:                             ;   in Loop: Header=BB6_3020 Depth=2
	s_or_b32 exec_lo, exec_lo, s27
	s_and_b32 s12, s12, exec_lo
	s_or_saveexec_b32 s26, s26
	v_mov_b32_e32 v2, 0x7f800001
	s_xor_b32 exec_lo, exec_lo, s26
	s_cbranch_execnz .LBB6_4443
.LBB6_3744:                             ;   in Loop: Header=BB6_3020 Depth=2
	s_or_b32 exec_lo, exec_lo, s26
	s_and_saveexec_b32 s26, s12
	s_cbranch_execz .LBB6_3746
.LBB6_3745:                             ;   in Loop: Header=BB6_3020 Depth=2
	v_and_b32_e32 v2, 7, v23
	v_bfe_u32 v113, v23, 3, 4
	v_lshlrev_b32_e32 v116, 24, v23
	v_ffbh_u32_e32 v3, v2
	v_cmp_eq_u32_e32 vcc_lo, 0, v113
	v_min_u32_e32 v3, 32, v3
	v_subrev_nc_u32_e32 v22, 28, v3
	v_sub_nc_u32_e32 v3, 29, v3
	v_lshlrev_b32_e32 v22, v22, v23
	v_cndmask_b32_e32 v3, v113, v3, vcc_lo
	v_and_b32_e32 v22, 7, v22
	v_lshl_add_u32 v3, v3, 23, 0x3b800000
	v_cndmask_b32_e32 v2, v2, v22, vcc_lo
	v_and_b32_e32 v22, 0x80000000, v116
	v_lshlrev_b32_e32 v2, 20, v2
	v_or3_b32 v2, v22, v3, v2
.LBB6_3746:                             ;   in Loop: Header=BB6_3020 Depth=2
	s_or_b32 exec_lo, exec_lo, s26
	v_cmp_gt_i16_sdwa s26, v19, v115 src0_sel:BYTE_0 src1_sel:DWORD
	s_mov_b32 s12, 0
	s_and_saveexec_b32 s27, s26
	s_xor_b32 s26, exec_lo, s27
	s_cbranch_execz .LBB6_4444
; %bb.3747:                             ;   in Loop: Header=BB6_3020 Depth=2
	v_cmp_eq_u16_sdwa s28, v19, v119 src0_sel:BYTE_0 src1_sel:DWORD
	s_mov_b32 s12, -1
	s_and_saveexec_b32 s27, s28
; %bb.3748:                             ;   in Loop: Header=BB6_3020 Depth=2
	s_xor_b32 s12, exec_lo, -1
; %bb.3749:                             ;   in Loop: Header=BB6_3020 Depth=2
	s_or_b32 exec_lo, exec_lo, s27
	s_and_b32 s12, s12, exec_lo
	s_or_saveexec_b32 s26, s26
	v_mov_b32_e32 v3, 0x7f800001
	s_xor_b32 exec_lo, exec_lo, s26
	s_cbranch_execnz .LBB6_4445
.LBB6_3750:                             ;   in Loop: Header=BB6_3020 Depth=2
	s_or_b32 exec_lo, exec_lo, s26
	s_and_saveexec_b32 s26, s12
	s_cbranch_execz .LBB6_3752
.LBB6_3751:                             ;   in Loop: Header=BB6_3020 Depth=2
	v_and_b32_e32 v3, 7, v19
	v_bfe_u32 v116, v19, 3, 4
	v_lshlrev_b32_e32 v104, 24, v19
	v_ffbh_u32_e32 v22, v3
	v_cmp_eq_u32_e32 vcc_lo, 0, v116
	v_min_u32_e32 v22, 32, v22
	v_subrev_nc_u32_e32 v113, 28, v22
	v_sub_nc_u32_e32 v22, 29, v22
	v_lshlrev_b32_e32 v113, v113, v19
	v_cndmask_b32_e32 v22, v116, v22, vcc_lo
	v_and_b32_e32 v113, 7, v113
	v_lshl_add_u32 v22, v22, 23, 0x3b800000
	v_cndmask_b32_e32 v3, v3, v113, vcc_lo
	v_and_b32_e32 v113, 0x80000000, v104
	v_lshlrev_b32_e32 v3, 20, v3
	v_or3_b32 v3, v113, v22, v3
.LBB6_3752:                             ;   in Loop: Header=BB6_3020 Depth=2
	s_or_b32 exec_lo, exec_lo, s26
	v_add_f32_e32 v2, v2, v3
	v_mov_b32_e32 v22, 0x80
	s_mov_b32 s26, exec_lo
	v_and_b32_e32 v3, 0x7f800000, v2
	v_cmpx_ne_u32_e32 0x7f800000, v3
	s_cbranch_execz .LBB6_3760
; %bb.3753:                             ;   in Loop: Header=BB6_3020 Depth=2
	v_mov_b32_e32 v22, 0
	s_mov_b32 s27, exec_lo
	v_cmpx_ne_u32_e32 0, v2
	s_cbranch_execz .LBB6_3759
; %bb.3754:                             ;   in Loop: Header=BB6_3020 Depth=2
	v_bfe_u32 v3, v2, 23, 8
	v_and_b32_e32 v22, 0x7fffff, v2
	v_sub_nc_u32_e32 v113, 0x78, v3
	v_cmp_gt_u32_e32 vcc_lo, 0x79, v3
	v_or_b32_e32 v116, 0x800000, v22
	v_cndmask_b32_e32 v113, 0, v113, vcc_lo
	v_cmp_eq_u32_e32 vcc_lo, 0, v3
	v_add_nc_u32_e32 v3, 0xffffff89, v3
	v_cndmask_b32_e64 v113, v113, 0x77, vcc_lo
	v_cndmask_b32_e32 v22, v116, v22, vcc_lo
	v_cndmask_b32_e64 v3, v3, 0xffffff8a, vcc_lo
	v_lshl_add_u32 v116, 0x100000, v113, -1
	v_lshrrev_b32_e32 v104, v113, v22
	v_lshlrev_b32_e64 v106, v113, 0x80000
	v_add_nc_u32_e32 v113, v113, v3
	v_and_b32_e32 v22, v116, v22
	v_bfe_u32 v105, v104, 20, 1
	v_cmp_eq_u32_e64 s12, v22, v106
	v_add_nc_u32_e32 v116, -1, v105
	v_cndmask_b32_e64 v22, 0, v116, s12
	v_lshrrev_b32_e32 v116, 23, v104
	s_mov_b32 s12, exec_lo
	v_add_nc_u32_e32 v22, v22, v104
	v_xor_b32_e32 v116, 1, v116
	v_and_b32_e32 v3, 0xfffff, v22
	v_add_nc_u32_e32 v22, v3, v104
                                        ; implicit-def: $vgpr3
	v_cmpx_ne_u32_e64 v113, v116
	s_xor_b32 s12, exec_lo, s12
; %bb.3755:                             ;   in Loop: Header=BB6_3020 Depth=2
	v_cmp_lt_u32_e32 vcc_lo, 0xffffff, v22
	v_sub_nc_u32_e32 v3, v113, v116
	v_cndmask_b32_e64 v113, 0, 1, vcc_lo
	v_add_co_ci_u32_e64 v3, null, 0, v3, vcc_lo
	v_lshrrev_b32_e32 v22, v113, v22
; %bb.3756:                             ;   in Loop: Header=BB6_3020 Depth=2
	s_andn2_saveexec_b32 s12, s12
; %bb.3757:                             ;   in Loop: Header=BB6_3020 Depth=2
	v_bfe_u32 v3, v22, 23, 1
; %bb.3758:                             ;   in Loop: Header=BB6_3020 Depth=2
	s_or_b32 exec_lo, exec_lo, s12
	v_lshrrev_b32_e32 v22, 20, v22
	v_min_i32_e32 v113, 15, v3
	v_cmp_gt_i32_e32 vcc_lo, 16, v3
	v_and_b32_sdwa v2, v2, v119 dst_sel:DWORD dst_unused:UNUSED_PAD src0_sel:BYTE_3 src1_sel:DWORD
	v_lshlrev_b32_e32 v113, 3, v113
	v_cndmask_b32_e32 v22, 7, v22, vcc_lo
	v_and_b32_e32 v113, 0xf8, v113
	v_and_b32_e32 v116, 7, v22
	v_or_b32_e32 v3, v3, v22
	v_or3_b32 v2, v113, v2, v116
	v_cmp_ne_u32_e32 vcc_lo, 0, v3
	v_cndmask_b32_e32 v22, 0, v2, vcc_lo
.LBB6_3759:                             ;   in Loop: Header=BB6_3020 Depth=2
	s_or_b32 exec_lo, exec_lo, s27
.LBB6_3760:                             ;   in Loop: Header=BB6_3020 Depth=2
	s_or_b32 exec_lo, exec_lo, s26
	v_cmp_gt_i16_sdwa s26, v23, v115 src0_sel:BYTE_1 src1_sel:DWORD
	s_mov_b32 s12, 0
	s_and_saveexec_b32 s27, s26
	s_xor_b32 s26, exec_lo, s27
	s_cbranch_execz .LBB6_4446
; %bb.3761:                             ;   in Loop: Header=BB6_3020 Depth=2
	v_cmp_eq_u16_sdwa s28, v23, v119 src0_sel:BYTE_1 src1_sel:DWORD
	s_mov_b32 s12, -1
	s_and_saveexec_b32 s27, s28
; %bb.3762:                             ;   in Loop: Header=BB6_3020 Depth=2
	s_xor_b32 s12, exec_lo, -1
; %bb.3763:                             ;   in Loop: Header=BB6_3020 Depth=2
	s_or_b32 exec_lo, exec_lo, s27
	s_and_b32 s12, s12, exec_lo
	s_or_saveexec_b32 s26, s26
	v_mov_b32_e32 v2, 0x7f800001
	s_xor_b32 exec_lo, exec_lo, s26
	s_cbranch_execnz .LBB6_4447
.LBB6_3764:                             ;   in Loop: Header=BB6_3020 Depth=2
	s_or_b32 exec_lo, exec_lo, s26
	s_and_saveexec_b32 s26, s12
	s_cbranch_execz .LBB6_3766
.LBB6_3765:                             ;   in Loop: Header=BB6_3020 Depth=2
	v_and_b32_sdwa v2, v41, v23 dst_sel:DWORD dst_unused:UNUSED_PAD src0_sel:DWORD src1_sel:BYTE_1
	v_and_b32_e32 v3, 7, v2
	v_bfe_u32 v104, v2, 3, 4
	v_ffbh_u32_e32 v113, v3
	v_cmp_eq_u32_e32 vcc_lo, 0, v104
	v_min_u32_e32 v113, 32, v113
	v_subrev_nc_u32_e32 v116, 28, v113
	v_sub_nc_u32_e32 v113, 29, v113
	v_lshlrev_b32_e32 v2, v116, v2
	v_lshlrev_b32_sdwa v116, v47, v23 dst_sel:DWORD dst_unused:UNUSED_PAD src0_sel:DWORD src1_sel:BYTE_1
	v_cndmask_b32_e32 v113, v104, v113, vcc_lo
	v_and_b32_e32 v2, 7, v2
	v_lshl_add_u32 v113, v113, 23, 0x3b800000
	v_cndmask_b32_e32 v2, v3, v2, vcc_lo
	v_and_b32_e32 v3, 0x80000000, v116
	v_lshlrev_b32_e32 v2, 20, v2
	v_or3_b32 v2, v3, v113, v2
.LBB6_3766:                             ;   in Loop: Header=BB6_3020 Depth=2
	s_or_b32 exec_lo, exec_lo, s26
	v_cmp_gt_i16_sdwa s26, v19, v115 src0_sel:BYTE_1 src1_sel:DWORD
	s_mov_b32 s12, 0
	s_and_saveexec_b32 s27, s26
	s_xor_b32 s26, exec_lo, s27
	s_cbranch_execz .LBB6_4448
; %bb.3767:                             ;   in Loop: Header=BB6_3020 Depth=2
	v_cmp_eq_u16_sdwa s28, v19, v119 src0_sel:BYTE_1 src1_sel:DWORD
	s_mov_b32 s12, -1
	s_and_saveexec_b32 s27, s28
; %bb.3768:                             ;   in Loop: Header=BB6_3020 Depth=2
	s_xor_b32 s12, exec_lo, -1
; %bb.3769:                             ;   in Loop: Header=BB6_3020 Depth=2
	s_or_b32 exec_lo, exec_lo, s27
	s_and_b32 s12, s12, exec_lo
	s_or_saveexec_b32 s26, s26
	v_mov_b32_e32 v3, 0x7f800001
	s_xor_b32 exec_lo, exec_lo, s26
	s_cbranch_execnz .LBB6_4449
.LBB6_3770:                             ;   in Loop: Header=BB6_3020 Depth=2
	s_or_b32 exec_lo, exec_lo, s26
	s_and_saveexec_b32 s26, s12
	s_cbranch_execz .LBB6_3772
.LBB6_3771:                             ;   in Loop: Header=BB6_3020 Depth=2
	v_and_b32_sdwa v3, v41, v19 dst_sel:DWORD dst_unused:UNUSED_PAD src0_sel:DWORD src1_sel:BYTE_1
	v_and_b32_e32 v113, 7, v3
	v_bfe_u32 v105, v3, 3, 4
	v_ffbh_u32_e32 v116, v113
	v_cmp_eq_u32_e32 vcc_lo, 0, v105
	v_min_u32_e32 v116, 32, v116
	v_subrev_nc_u32_e32 v104, 28, v116
	v_sub_nc_u32_e32 v116, 29, v116
	v_lshlrev_b32_e32 v3, v104, v3
	v_lshlrev_b32_sdwa v104, v47, v19 dst_sel:DWORD dst_unused:UNUSED_PAD src0_sel:DWORD src1_sel:BYTE_1
	v_cndmask_b32_e32 v116, v105, v116, vcc_lo
	v_and_b32_e32 v3, 7, v3
	v_lshl_add_u32 v116, v116, 23, 0x3b800000
	v_cndmask_b32_e32 v3, v113, v3, vcc_lo
	v_and_b32_e32 v113, 0x80000000, v104
	v_lshlrev_b32_e32 v3, 20, v3
	v_or3_b32 v3, v113, v116, v3
.LBB6_3772:                             ;   in Loop: Header=BB6_3020 Depth=2
	s_or_b32 exec_lo, exec_lo, s26
	v_add_f32_e32 v2, v2, v3
	v_mov_b32_e32 v104, 0x8000
	s_mov_b32 s26, exec_lo
	v_and_b32_e32 v3, 0x7f800000, v2
	v_cmpx_ne_u32_e32 0x7f800000, v3
	s_cbranch_execz .LBB6_3780
; %bb.3773:                             ;   in Loop: Header=BB6_3020 Depth=2
	v_mov_b32_e32 v104, 0
	s_mov_b32 s27, exec_lo
	v_cmpx_ne_u32_e32 0, v2
	s_cbranch_execz .LBB6_3779
; %bb.3774:                             ;   in Loop: Header=BB6_3020 Depth=2
	v_bfe_u32 v3, v2, 23, 8
	v_and_b32_e32 v113, 0x7fffff, v2
	v_sub_nc_u32_e32 v116, 0x78, v3
	v_cmp_gt_u32_e32 vcc_lo, 0x79, v3
	v_or_b32_e32 v104, 0x800000, v113
	v_cndmask_b32_e32 v116, 0, v116, vcc_lo
	v_cmp_eq_u32_e32 vcc_lo, 0, v3
	v_add_nc_u32_e32 v3, 0xffffff89, v3
	v_cndmask_b32_e64 v116, v116, 0x77, vcc_lo
	v_cndmask_b32_e32 v113, v104, v113, vcc_lo
	v_cndmask_b32_e64 v3, v3, 0xffffff8a, vcc_lo
	v_lshl_add_u32 v104, 0x100000, v116, -1
	v_lshrrev_b32_e32 v105, v116, v113
	v_lshlrev_b32_e64 v107, v116, 0x80000
	v_add_nc_u32_e32 v116, v116, v3
	v_and_b32_e32 v113, v104, v113
	v_bfe_u32 v106, v105, 20, 1
	v_cmp_eq_u32_e64 s12, v113, v107
	v_add_nc_u32_e32 v104, -1, v106
	v_cndmask_b32_e64 v113, 0, v104, s12
	v_lshrrev_b32_e32 v104, 23, v105
	s_mov_b32 s12, exec_lo
	v_add_nc_u32_e32 v113, v113, v105
	v_xor_b32_e32 v104, 1, v104
	v_and_b32_e32 v3, 0xfffff, v113
	v_add_nc_u32_e32 v113, v3, v105
                                        ; implicit-def: $vgpr3
	v_cmpx_ne_u32_e64 v116, v104
	s_xor_b32 s12, exec_lo, s12
; %bb.3775:                             ;   in Loop: Header=BB6_3020 Depth=2
	v_cmp_lt_u32_e32 vcc_lo, 0xffffff, v113
	v_sub_nc_u32_e32 v3, v116, v104
	v_cndmask_b32_e64 v116, 0, 1, vcc_lo
	v_add_co_ci_u32_e64 v3, null, 0, v3, vcc_lo
	v_lshrrev_b32_e32 v113, v116, v113
; %bb.3776:                             ;   in Loop: Header=BB6_3020 Depth=2
	s_andn2_saveexec_b32 s12, s12
; %bb.3777:                             ;   in Loop: Header=BB6_3020 Depth=2
	v_bfe_u32 v3, v113, 23, 1
; %bb.3778:                             ;   in Loop: Header=BB6_3020 Depth=2
	s_or_b32 exec_lo, exec_lo, s12
	v_lshrrev_b32_e32 v113, 20, v113
	v_min_i32_e32 v116, 15, v3
	v_cmp_gt_i32_e32 vcc_lo, 16, v3
	v_and_b32_sdwa v2, v2, v119 dst_sel:DWORD dst_unused:UNUSED_PAD src0_sel:BYTE_3 src1_sel:DWORD
	v_lshlrev_b32_e32 v116, 3, v116
	v_cndmask_b32_e32 v113, 7, v113, vcc_lo
	v_and_b32_e32 v116, 0xf8, v116
	v_and_b32_e32 v104, 7, v113
	v_or_b32_e32 v3, v3, v113
	v_or3_b32 v2, v2, v116, v104
	v_cmp_ne_u32_e32 vcc_lo, 0, v3
	v_lshlrev_b32_e32 v2, 8, v2
	v_cndmask_b32_e32 v104, 0, v2, vcc_lo
.LBB6_3779:                             ;   in Loop: Header=BB6_3020 Depth=2
	s_or_b32 exec_lo, exec_lo, s27
.LBB6_3780:                             ;   in Loop: Header=BB6_3020 Depth=2
	s_or_b32 exec_lo, exec_lo, s26
	v_and_b32_sdwa v3, v23, v56 dst_sel:DWORD dst_unused:UNUSED_PAD src0_sel:WORD_1 src1_sel:DWORD
	s_mov_b32 s12, 0
	s_mov_b32 s26, exec_lo
	v_cmpx_lt_i16_e32 0x7f, v3
	s_xor_b32 s26, exec_lo, s26
	s_cbranch_execz .LBB6_4450
; %bb.3781:                             ;   in Loop: Header=BB6_3020 Depth=2
	s_mov_b32 s12, -1
	s_mov_b32 s27, exec_lo
	v_cmpx_eq_u16_e32 0x80, v3
; %bb.3782:                             ;   in Loop: Header=BB6_3020 Depth=2
	s_xor_b32 s12, exec_lo, -1
; %bb.3783:                             ;   in Loop: Header=BB6_3020 Depth=2
	s_or_b32 exec_lo, exec_lo, s27
	s_and_b32 s12, s12, exec_lo
                                        ; implicit-def: $vgpr3
	s_or_saveexec_b32 s26, s26
	v_mov_b32_e32 v2, 0x7f800001
	s_xor_b32 exec_lo, exec_lo, s26
	s_cbranch_execnz .LBB6_4451
.LBB6_3784:                             ;   in Loop: Header=BB6_3020 Depth=2
	s_or_b32 exec_lo, exec_lo, s26
	s_and_saveexec_b32 s26, s12
	s_cbranch_execz .LBB6_3786
.LBB6_3785:                             ;   in Loop: Header=BB6_3020 Depth=2
	v_bfe_u32 v2, v23, 16, 3
	v_bfe_u32 v116, v23, 19, 4
	v_lshlrev_b32_e32 v105, 8, v23
	v_ffbh_u32_e32 v3, v2
	v_cmp_eq_u32_e32 vcc_lo, 0, v116
	v_min_u32_e32 v3, 32, v3
	v_subrev_nc_u32_e32 v113, 28, v3
	v_sub_nc_u32_e32 v3, 29, v3
	v_lshlrev_b32_sdwa v113, v113, v23 dst_sel:DWORD dst_unused:UNUSED_PAD src0_sel:DWORD src1_sel:WORD_1
	v_cndmask_b32_e32 v3, v116, v3, vcc_lo
	v_and_b32_e32 v113, 7, v113
	v_lshl_add_u32 v3, v3, 23, 0x3b800000
	v_cndmask_b32_e32 v2, v2, v113, vcc_lo
	v_and_b32_e32 v113, 0x80000000, v105
	v_lshlrev_b32_e32 v2, 20, v2
	v_or3_b32 v2, v113, v3, v2
.LBB6_3786:                             ;   in Loop: Header=BB6_3020 Depth=2
	s_or_b32 exec_lo, exec_lo, s26
	v_and_b32_sdwa v113, v19, v56 dst_sel:DWORD dst_unused:UNUSED_PAD src0_sel:WORD_1 src1_sel:DWORD
	s_mov_b32 s12, 0
	s_mov_b32 s26, exec_lo
	v_cmpx_lt_i16_e32 0x7f, v113
	s_xor_b32 s26, exec_lo, s26
	s_cbranch_execz .LBB6_4452
; %bb.3787:                             ;   in Loop: Header=BB6_3020 Depth=2
	s_mov_b32 s12, -1
	s_mov_b32 s27, exec_lo
	v_cmpx_eq_u16_e32 0x80, v113
; %bb.3788:                             ;   in Loop: Header=BB6_3020 Depth=2
	s_xor_b32 s12, exec_lo, -1
; %bb.3789:                             ;   in Loop: Header=BB6_3020 Depth=2
	s_or_b32 exec_lo, exec_lo, s27
	s_and_b32 s12, s12, exec_lo
                                        ; implicit-def: $vgpr113
	s_or_saveexec_b32 s26, s26
	v_mov_b32_e32 v3, 0x7f800001
	s_xor_b32 exec_lo, exec_lo, s26
	s_cbranch_execnz .LBB6_4453
.LBB6_3790:                             ;   in Loop: Header=BB6_3020 Depth=2
	s_or_b32 exec_lo, exec_lo, s26
	s_and_saveexec_b32 s26, s12
	s_cbranch_execz .LBB6_3792
.LBB6_3791:                             ;   in Loop: Header=BB6_3020 Depth=2
	v_bfe_u32 v3, v19, 16, 3
	v_bfe_u32 v105, v19, 19, 4
	v_lshlrev_b32_e32 v106, 8, v19
	v_ffbh_u32_e32 v113, v3
	v_cmp_eq_u32_e32 vcc_lo, 0, v105
	v_min_u32_e32 v113, 32, v113
	v_subrev_nc_u32_e32 v116, 28, v113
	v_sub_nc_u32_e32 v113, 29, v113
	v_lshlrev_b32_sdwa v116, v116, v19 dst_sel:DWORD dst_unused:UNUSED_PAD src0_sel:DWORD src1_sel:WORD_1
	v_cndmask_b32_e32 v113, v105, v113, vcc_lo
	v_and_b32_e32 v116, 7, v116
	v_lshl_add_u32 v113, v113, 23, 0x3b800000
	v_cndmask_b32_e32 v3, v3, v116, vcc_lo
	v_and_b32_e32 v116, 0x80000000, v106
	v_lshlrev_b32_e32 v3, 20, v3
	v_or3_b32 v3, v116, v113, v3
.LBB6_3792:                             ;   in Loop: Header=BB6_3020 Depth=2
	s_or_b32 exec_lo, exec_lo, s26
	v_add_f32_e32 v2, v2, v3
	v_mov_b32_e32 v105, 0x80
	s_mov_b32 s26, exec_lo
	v_and_b32_e32 v3, 0x7f800000, v2
	v_cmpx_ne_u32_e32 0x7f800000, v3
	s_cbranch_execz .LBB6_3800
; %bb.3793:                             ;   in Loop: Header=BB6_3020 Depth=2
	v_mov_b32_e32 v105, 0
	s_mov_b32 s27, exec_lo
	v_cmpx_ne_u32_e32 0, v2
	s_cbranch_execz .LBB6_3799
; %bb.3794:                             ;   in Loop: Header=BB6_3020 Depth=2
	v_bfe_u32 v3, v2, 23, 8
	v_and_b32_e32 v113, 0x7fffff, v2
	v_sub_nc_u32_e32 v116, 0x78, v3
	v_cmp_gt_u32_e32 vcc_lo, 0x79, v3
	v_or_b32_e32 v105, 0x800000, v113
	v_cndmask_b32_e32 v116, 0, v116, vcc_lo
	v_cmp_eq_u32_e32 vcc_lo, 0, v3
	v_add_nc_u32_e32 v3, 0xffffff89, v3
	v_cndmask_b32_e64 v116, v116, 0x77, vcc_lo
	v_cndmask_b32_e32 v113, v105, v113, vcc_lo
	v_cndmask_b32_e64 v3, v3, 0xffffff8a, vcc_lo
	v_lshl_add_u32 v105, 0x100000, v116, -1
	v_lshrrev_b32_e32 v106, v116, v113
	v_lshlrev_b32_e64 v108, v116, 0x80000
	v_add_nc_u32_e32 v116, v116, v3
	v_and_b32_e32 v113, v105, v113
	v_bfe_u32 v107, v106, 20, 1
	v_cmp_eq_u32_e64 s12, v113, v108
	v_add_nc_u32_e32 v105, -1, v107
	v_cndmask_b32_e64 v113, 0, v105, s12
	v_lshrrev_b32_e32 v105, 23, v106
	s_mov_b32 s12, exec_lo
	v_add_nc_u32_e32 v113, v113, v106
	v_xor_b32_e32 v105, 1, v105
	v_and_b32_e32 v3, 0xfffff, v113
	v_add_nc_u32_e32 v113, v3, v106
                                        ; implicit-def: $vgpr3
	v_cmpx_ne_u32_e64 v116, v105
	s_xor_b32 s12, exec_lo, s12
; %bb.3795:                             ;   in Loop: Header=BB6_3020 Depth=2
	v_cmp_lt_u32_e32 vcc_lo, 0xffffff, v113
	v_sub_nc_u32_e32 v3, v116, v105
	v_cndmask_b32_e64 v116, 0, 1, vcc_lo
	v_add_co_ci_u32_e64 v3, null, 0, v3, vcc_lo
	v_lshrrev_b32_e32 v113, v116, v113
; %bb.3796:                             ;   in Loop: Header=BB6_3020 Depth=2
	s_andn2_saveexec_b32 s12, s12
; %bb.3797:                             ;   in Loop: Header=BB6_3020 Depth=2
	v_bfe_u32 v3, v113, 23, 1
; %bb.3798:                             ;   in Loop: Header=BB6_3020 Depth=2
	s_or_b32 exec_lo, exec_lo, s12
	v_lshrrev_b32_e32 v113, 20, v113
	v_min_i32_e32 v116, 15, v3
	v_cmp_gt_i32_e32 vcc_lo, 16, v3
	v_and_b32_sdwa v2, v2, v119 dst_sel:DWORD dst_unused:UNUSED_PAD src0_sel:BYTE_3 src1_sel:DWORD
	v_lshlrev_b32_e32 v116, 3, v116
	v_cndmask_b32_e32 v113, 7, v113, vcc_lo
	v_and_b32_e32 v116, 0xf8, v116
	v_and_b32_e32 v105, 7, v113
	v_or_b32_e32 v3, v3, v113
	v_or3_b32 v2, v116, v2, v105
	v_cmp_ne_u32_e32 vcc_lo, 0, v3
	v_cndmask_b32_e32 v105, 0, v2, vcc_lo
.LBB6_3799:                             ;   in Loop: Header=BB6_3020 Depth=2
	s_or_b32 exec_lo, exec_lo, s27
.LBB6_3800:                             ;   in Loop: Header=BB6_3020 Depth=2
	s_or_b32 exec_lo, exec_lo, s26
	v_cmp_gt_i16_sdwa s26, v23, v115 src0_sel:BYTE_3 src1_sel:DWORD
	s_mov_b32 s12, 0
	s_and_saveexec_b32 s27, s26
	s_xor_b32 s26, exec_lo, s27
	s_cbranch_execz .LBB6_4454
; %bb.3801:                             ;   in Loop: Header=BB6_3020 Depth=2
	v_cmp_eq_u16_sdwa s28, v23, v119 src0_sel:BYTE_3 src1_sel:DWORD
	s_mov_b32 s12, -1
	s_and_saveexec_b32 s27, s28
; %bb.3802:                             ;   in Loop: Header=BB6_3020 Depth=2
	s_xor_b32 s12, exec_lo, -1
; %bb.3803:                             ;   in Loop: Header=BB6_3020 Depth=2
	s_or_b32 exec_lo, exec_lo, s27
	s_and_b32 s12, s12, exec_lo
	s_or_saveexec_b32 s26, s26
	v_mov_b32_e32 v2, 0x7f800001
	s_xor_b32 exec_lo, exec_lo, s26
	s_cbranch_execnz .LBB6_4455
.LBB6_3804:                             ;   in Loop: Header=BB6_3020 Depth=2
	s_or_b32 exec_lo, exec_lo, s26
	s_and_saveexec_b32 s26, s12
	s_cbranch_execz .LBB6_3806
.LBB6_3805:                             ;   in Loop: Header=BB6_3020 Depth=2
	v_bfe_u32 v2, v23, 24, 3
	v_bfe_u32 v116, v23, 27, 4
	v_ffbh_u32_e32 v3, v2
	v_cmp_eq_u32_e32 vcc_lo, 0, v116
	v_min_u32_e32 v3, 32, v3
	v_subrev_nc_u32_e32 v113, 28, v3
	v_sub_nc_u32_e32 v3, 29, v3
	v_lshlrev_b32_sdwa v113, v113, v23 dst_sel:DWORD dst_unused:UNUSED_PAD src0_sel:DWORD src1_sel:BYTE_3
	v_cndmask_b32_e32 v3, v116, v3, vcc_lo
	v_and_b32_e32 v23, 0x80000000, v23
	v_and_b32_e32 v113, 7, v113
	v_lshl_add_u32 v3, v3, 23, 0x3b800000
	v_cndmask_b32_e32 v2, v2, v113, vcc_lo
	v_lshlrev_b32_e32 v2, 20, v2
	v_or3_b32 v2, v23, v3, v2
.LBB6_3806:                             ;   in Loop: Header=BB6_3020 Depth=2
	s_or_b32 exec_lo, exec_lo, s26
	v_cmp_gt_i16_sdwa s26, v19, v115 src0_sel:BYTE_3 src1_sel:DWORD
	s_mov_b32 s12, 0
	s_and_saveexec_b32 s27, s26
	s_xor_b32 s26, exec_lo, s27
	s_cbranch_execz .LBB6_4456
; %bb.3807:                             ;   in Loop: Header=BB6_3020 Depth=2
	v_cmp_eq_u16_sdwa s28, v19, v119 src0_sel:BYTE_3 src1_sel:DWORD
	s_mov_b32 s12, -1
	s_and_saveexec_b32 s27, s28
; %bb.3808:                             ;   in Loop: Header=BB6_3020 Depth=2
	s_xor_b32 s12, exec_lo, -1
; %bb.3809:                             ;   in Loop: Header=BB6_3020 Depth=2
	s_or_b32 exec_lo, exec_lo, s27
	s_and_b32 s12, s12, exec_lo
	s_or_saveexec_b32 s26, s26
	v_mov_b32_e32 v3, 0x7f800001
	s_xor_b32 exec_lo, exec_lo, s26
	s_cbranch_execnz .LBB6_4457
.LBB6_3810:                             ;   in Loop: Header=BB6_3020 Depth=2
	s_or_b32 exec_lo, exec_lo, s26
	s_and_saveexec_b32 s26, s12
	s_cbranch_execz .LBB6_3812
.LBB6_3811:                             ;   in Loop: Header=BB6_3020 Depth=2
	v_bfe_u32 v3, v19, 24, 3
	v_bfe_u32 v116, v19, 27, 4
	v_ffbh_u32_e32 v23, v3
	v_cmp_eq_u32_e32 vcc_lo, 0, v116
	v_min_u32_e32 v23, 32, v23
	v_subrev_nc_u32_e32 v113, 28, v23
	v_sub_nc_u32_e32 v23, 29, v23
	v_lshlrev_b32_sdwa v113, v113, v19 dst_sel:DWORD dst_unused:UNUSED_PAD src0_sel:DWORD src1_sel:BYTE_3
	v_cndmask_b32_e32 v23, v116, v23, vcc_lo
	v_and_b32_e32 v19, 0x80000000, v19
	v_and_b32_e32 v113, 7, v113
	v_lshl_add_u32 v23, v23, 23, 0x3b800000
	v_cndmask_b32_e32 v3, v3, v113, vcc_lo
	v_lshlrev_b32_e32 v3, 20, v3
	v_or3_b32 v3, v19, v23, v3
.LBB6_3812:                             ;   in Loop: Header=BB6_3020 Depth=2
	s_or_b32 exec_lo, exec_lo, s26
	v_add_f32_e32 v2, v2, v3
	v_mov_b32_e32 v19, 0x8000
	s_mov_b32 s26, exec_lo
	v_and_b32_e32 v3, 0x7f800000, v2
	v_cmpx_ne_u32_e32 0x7f800000, v3
	s_cbranch_execz .LBB6_3820
; %bb.3813:                             ;   in Loop: Header=BB6_3020 Depth=2
	v_mov_b32_e32 v19, 0
	s_mov_b32 s27, exec_lo
	v_cmpx_ne_u32_e32 0, v2
	s_cbranch_execz .LBB6_3819
; %bb.3814:                             ;   in Loop: Header=BB6_3020 Depth=2
	v_bfe_u32 v3, v2, 23, 8
	v_and_b32_e32 v19, 0x7fffff, v2
	v_sub_nc_u32_e32 v23, 0x78, v3
	v_cmp_gt_u32_e32 vcc_lo, 0x79, v3
	v_or_b32_e32 v113, 0x800000, v19
	v_cndmask_b32_e32 v23, 0, v23, vcc_lo
	v_cmp_eq_u32_e32 vcc_lo, 0, v3
	v_add_nc_u32_e32 v3, 0xffffff89, v3
	v_cndmask_b32_e64 v23, v23, 0x77, vcc_lo
	v_cndmask_b32_e32 v19, v113, v19, vcc_lo
	v_cndmask_b32_e64 v3, v3, 0xffffff8a, vcc_lo
	v_lshl_add_u32 v113, 0x100000, v23, -1
	v_lshrrev_b32_e32 v116, v23, v19
	v_lshlrev_b32_e64 v107, v23, 0x80000
	v_add_nc_u32_e32 v23, v23, v3
	v_and_b32_e32 v19, v113, v19
	v_bfe_u32 v106, v116, 20, 1
	v_cmp_eq_u32_e64 s12, v19, v107
	v_add_nc_u32_e32 v113, -1, v106
	v_cndmask_b32_e64 v19, 0, v113, s12
	v_lshrrev_b32_e32 v113, 23, v116
	s_mov_b32 s12, exec_lo
	v_add_nc_u32_e32 v19, v19, v116
	v_xor_b32_e32 v113, 1, v113
	v_and_b32_e32 v3, 0xfffff, v19
	v_add_nc_u32_e32 v19, v3, v116
                                        ; implicit-def: $vgpr3
	v_cmpx_ne_u32_e64 v23, v113
	s_xor_b32 s12, exec_lo, s12
; %bb.3815:                             ;   in Loop: Header=BB6_3020 Depth=2
	v_cmp_lt_u32_e32 vcc_lo, 0xffffff, v19
	v_sub_nc_u32_e32 v3, v23, v113
	v_cndmask_b32_e64 v23, 0, 1, vcc_lo
	v_add_co_ci_u32_e64 v3, null, 0, v3, vcc_lo
	v_lshrrev_b32_e32 v19, v23, v19
; %bb.3816:                             ;   in Loop: Header=BB6_3020 Depth=2
	s_andn2_saveexec_b32 s12, s12
; %bb.3817:                             ;   in Loop: Header=BB6_3020 Depth=2
	v_bfe_u32 v3, v19, 23, 1
; %bb.3818:                             ;   in Loop: Header=BB6_3020 Depth=2
	s_or_b32 exec_lo, exec_lo, s12
	v_lshrrev_b32_e32 v19, 20, v19
	v_min_i32_e32 v23, 15, v3
	v_cmp_gt_i32_e32 vcc_lo, 16, v3
	v_and_b32_sdwa v2, v2, v119 dst_sel:DWORD dst_unused:UNUSED_PAD src0_sel:BYTE_3 src1_sel:DWORD
	v_lshlrev_b32_e32 v23, 3, v23
	v_cndmask_b32_e32 v19, 7, v19, vcc_lo
	v_and_b32_e32 v23, 0xf8, v23
	v_and_b32_e32 v113, 7, v19
	v_or_b32_e32 v3, v3, v19
	v_or3_b32 v2, v2, v23, v113
	v_cmp_ne_u32_e32 vcc_lo, 0, v3
	v_lshlrev_b32_e32 v2, 8, v2
	v_cndmask_b32_e32 v19, 0, v2, vcc_lo
.LBB6_3819:                             ;   in Loop: Header=BB6_3020 Depth=2
	s_or_b32 exec_lo, exec_lo, s27
.LBB6_3820:                             ;   in Loop: Header=BB6_3020 Depth=2
	s_or_b32 exec_lo, exec_lo, s26
	v_cmp_gt_i16_sdwa s26, v24, v115 src0_sel:BYTE_0 src1_sel:DWORD
	s_mov_b32 s12, 0
	s_and_saveexec_b32 s27, s26
	s_xor_b32 s26, exec_lo, s27
	s_cbranch_execz .LBB6_4458
; %bb.3821:                             ;   in Loop: Header=BB6_3020 Depth=2
	v_cmp_eq_u16_sdwa s28, v24, v119 src0_sel:BYTE_0 src1_sel:DWORD
	s_mov_b32 s12, -1
	s_and_saveexec_b32 s27, s28
; %bb.3822:                             ;   in Loop: Header=BB6_3020 Depth=2
	s_xor_b32 s12, exec_lo, -1
; %bb.3823:                             ;   in Loop: Header=BB6_3020 Depth=2
	s_or_b32 exec_lo, exec_lo, s27
	s_and_b32 s12, s12, exec_lo
	s_or_saveexec_b32 s26, s26
	v_mov_b32_e32 v2, 0x7f800001
	s_xor_b32 exec_lo, exec_lo, s26
	s_cbranch_execnz .LBB6_4459
.LBB6_3824:                             ;   in Loop: Header=BB6_3020 Depth=2
	s_or_b32 exec_lo, exec_lo, s26
	s_and_saveexec_b32 s26, s12
	s_cbranch_execz .LBB6_3826
.LBB6_3825:                             ;   in Loop: Header=BB6_3020 Depth=2
	v_and_b32_e32 v2, 7, v24
	v_bfe_u32 v113, v24, 3, 4
	v_lshlrev_b32_e32 v116, 24, v24
	v_ffbh_u32_e32 v3, v2
	v_cmp_eq_u32_e32 vcc_lo, 0, v113
	v_min_u32_e32 v3, 32, v3
	v_subrev_nc_u32_e32 v23, 28, v3
	v_sub_nc_u32_e32 v3, 29, v3
	v_lshlrev_b32_e32 v23, v23, v24
	v_cndmask_b32_e32 v3, v113, v3, vcc_lo
	v_and_b32_e32 v23, 7, v23
	v_lshl_add_u32 v3, v3, 23, 0x3b800000
	v_cndmask_b32_e32 v2, v2, v23, vcc_lo
	v_and_b32_e32 v23, 0x80000000, v116
	v_lshlrev_b32_e32 v2, 20, v2
	v_or3_b32 v2, v23, v3, v2
.LBB6_3826:                             ;   in Loop: Header=BB6_3020 Depth=2
	s_or_b32 exec_lo, exec_lo, s26
	v_cmp_gt_i16_sdwa s26, v20, v115 src0_sel:BYTE_0 src1_sel:DWORD
	s_mov_b32 s12, 0
	s_and_saveexec_b32 s27, s26
	s_xor_b32 s26, exec_lo, s27
	s_cbranch_execz .LBB6_4460
; %bb.3827:                             ;   in Loop: Header=BB6_3020 Depth=2
	v_cmp_eq_u16_sdwa s28, v20, v119 src0_sel:BYTE_0 src1_sel:DWORD
	s_mov_b32 s12, -1
	s_and_saveexec_b32 s27, s28
; %bb.3828:                             ;   in Loop: Header=BB6_3020 Depth=2
	s_xor_b32 s12, exec_lo, -1
; %bb.3829:                             ;   in Loop: Header=BB6_3020 Depth=2
	s_or_b32 exec_lo, exec_lo, s27
	s_and_b32 s12, s12, exec_lo
	s_or_saveexec_b32 s26, s26
	v_mov_b32_e32 v3, 0x7f800001
	s_xor_b32 exec_lo, exec_lo, s26
	s_cbranch_execnz .LBB6_4461
.LBB6_3830:                             ;   in Loop: Header=BB6_3020 Depth=2
	s_or_b32 exec_lo, exec_lo, s26
	s_and_saveexec_b32 s26, s12
	s_cbranch_execz .LBB6_3832
.LBB6_3831:                             ;   in Loop: Header=BB6_3020 Depth=2
	v_and_b32_e32 v3, 7, v20
	v_bfe_u32 v116, v20, 3, 4
	v_lshlrev_b32_e32 v106, 24, v20
	v_ffbh_u32_e32 v23, v3
	v_cmp_eq_u32_e32 vcc_lo, 0, v116
	v_min_u32_e32 v23, 32, v23
	v_subrev_nc_u32_e32 v113, 28, v23
	v_sub_nc_u32_e32 v23, 29, v23
	v_lshlrev_b32_e32 v113, v113, v20
	v_cndmask_b32_e32 v23, v116, v23, vcc_lo
	v_and_b32_e32 v113, 7, v113
	v_lshl_add_u32 v23, v23, 23, 0x3b800000
	v_cndmask_b32_e32 v3, v3, v113, vcc_lo
	v_and_b32_e32 v113, 0x80000000, v106
	v_lshlrev_b32_e32 v3, 20, v3
	v_or3_b32 v3, v113, v23, v3
.LBB6_3832:                             ;   in Loop: Header=BB6_3020 Depth=2
	s_or_b32 exec_lo, exec_lo, s26
	v_add_f32_e32 v2, v2, v3
	v_mov_b32_e32 v23, 0x80
	s_mov_b32 s26, exec_lo
	v_and_b32_e32 v3, 0x7f800000, v2
	v_cmpx_ne_u32_e32 0x7f800000, v3
	s_cbranch_execz .LBB6_3840
; %bb.3833:                             ;   in Loop: Header=BB6_3020 Depth=2
	v_mov_b32_e32 v23, 0
	s_mov_b32 s27, exec_lo
	v_cmpx_ne_u32_e32 0, v2
	s_cbranch_execz .LBB6_3839
; %bb.3834:                             ;   in Loop: Header=BB6_3020 Depth=2
	v_bfe_u32 v3, v2, 23, 8
	v_and_b32_e32 v23, 0x7fffff, v2
	v_sub_nc_u32_e32 v113, 0x78, v3
	v_cmp_gt_u32_e32 vcc_lo, 0x79, v3
	v_or_b32_e32 v116, 0x800000, v23
	v_cndmask_b32_e32 v113, 0, v113, vcc_lo
	v_cmp_eq_u32_e32 vcc_lo, 0, v3
	v_add_nc_u32_e32 v3, 0xffffff89, v3
	v_cndmask_b32_e64 v113, v113, 0x77, vcc_lo
	v_cndmask_b32_e32 v23, v116, v23, vcc_lo
	v_cndmask_b32_e64 v3, v3, 0xffffff8a, vcc_lo
	v_lshl_add_u32 v116, 0x100000, v113, -1
	v_lshrrev_b32_e32 v106, v113, v23
	v_lshlrev_b32_e64 v108, v113, 0x80000
	v_add_nc_u32_e32 v113, v113, v3
	v_and_b32_e32 v23, v116, v23
	v_bfe_u32 v107, v106, 20, 1
	v_cmp_eq_u32_e64 s12, v23, v108
	v_add_nc_u32_e32 v116, -1, v107
	v_cndmask_b32_e64 v23, 0, v116, s12
	v_lshrrev_b32_e32 v116, 23, v106
	s_mov_b32 s12, exec_lo
	v_add_nc_u32_e32 v23, v23, v106
	v_xor_b32_e32 v116, 1, v116
	v_and_b32_e32 v3, 0xfffff, v23
	v_add_nc_u32_e32 v23, v3, v106
                                        ; implicit-def: $vgpr3
	v_cmpx_ne_u32_e64 v113, v116
	s_xor_b32 s12, exec_lo, s12
; %bb.3835:                             ;   in Loop: Header=BB6_3020 Depth=2
	v_cmp_lt_u32_e32 vcc_lo, 0xffffff, v23
	v_sub_nc_u32_e32 v3, v113, v116
	v_cndmask_b32_e64 v113, 0, 1, vcc_lo
	v_add_co_ci_u32_e64 v3, null, 0, v3, vcc_lo
	v_lshrrev_b32_e32 v23, v113, v23
; %bb.3836:                             ;   in Loop: Header=BB6_3020 Depth=2
	s_andn2_saveexec_b32 s12, s12
; %bb.3837:                             ;   in Loop: Header=BB6_3020 Depth=2
	v_bfe_u32 v3, v23, 23, 1
; %bb.3838:                             ;   in Loop: Header=BB6_3020 Depth=2
	s_or_b32 exec_lo, exec_lo, s12
	v_lshrrev_b32_e32 v23, 20, v23
	v_min_i32_e32 v113, 15, v3
	v_cmp_gt_i32_e32 vcc_lo, 16, v3
	v_and_b32_sdwa v2, v2, v119 dst_sel:DWORD dst_unused:UNUSED_PAD src0_sel:BYTE_3 src1_sel:DWORD
	v_lshlrev_b32_e32 v113, 3, v113
	v_cndmask_b32_e32 v23, 7, v23, vcc_lo
	v_and_b32_e32 v113, 0xf8, v113
	v_and_b32_e32 v116, 7, v23
	v_or_b32_e32 v3, v3, v23
	v_or3_b32 v2, v113, v2, v116
	v_cmp_ne_u32_e32 vcc_lo, 0, v3
	v_cndmask_b32_e32 v23, 0, v2, vcc_lo
.LBB6_3839:                             ;   in Loop: Header=BB6_3020 Depth=2
	s_or_b32 exec_lo, exec_lo, s27
.LBB6_3840:                             ;   in Loop: Header=BB6_3020 Depth=2
	s_or_b32 exec_lo, exec_lo, s26
	v_cmp_gt_i16_sdwa s26, v24, v115 src0_sel:BYTE_1 src1_sel:DWORD
	s_mov_b32 s12, 0
	s_and_saveexec_b32 s27, s26
	s_xor_b32 s26, exec_lo, s27
	s_cbranch_execz .LBB6_4462
; %bb.3841:                             ;   in Loop: Header=BB6_3020 Depth=2
	v_cmp_eq_u16_sdwa s28, v24, v119 src0_sel:BYTE_1 src1_sel:DWORD
	s_mov_b32 s12, -1
	s_and_saveexec_b32 s27, s28
; %bb.3842:                             ;   in Loop: Header=BB6_3020 Depth=2
	s_xor_b32 s12, exec_lo, -1
; %bb.3843:                             ;   in Loop: Header=BB6_3020 Depth=2
	s_or_b32 exec_lo, exec_lo, s27
	s_and_b32 s12, s12, exec_lo
	s_or_saveexec_b32 s26, s26
	v_mov_b32_e32 v2, 0x7f800001
	s_xor_b32 exec_lo, exec_lo, s26
	s_cbranch_execnz .LBB6_4463
.LBB6_3844:                             ;   in Loop: Header=BB6_3020 Depth=2
	s_or_b32 exec_lo, exec_lo, s26
	s_and_saveexec_b32 s26, s12
	s_cbranch_execz .LBB6_3846
.LBB6_3845:                             ;   in Loop: Header=BB6_3020 Depth=2
	v_and_b32_sdwa v2, v41, v24 dst_sel:DWORD dst_unused:UNUSED_PAD src0_sel:DWORD src1_sel:BYTE_1
	v_and_b32_e32 v3, 7, v2
	v_bfe_u32 v106, v2, 3, 4
	v_ffbh_u32_e32 v113, v3
	v_cmp_eq_u32_e32 vcc_lo, 0, v106
	v_min_u32_e32 v113, 32, v113
	v_subrev_nc_u32_e32 v116, 28, v113
	v_sub_nc_u32_e32 v113, 29, v113
	v_lshlrev_b32_e32 v2, v116, v2
	v_lshlrev_b32_sdwa v116, v47, v24 dst_sel:DWORD dst_unused:UNUSED_PAD src0_sel:DWORD src1_sel:BYTE_1
	v_cndmask_b32_e32 v113, v106, v113, vcc_lo
	v_and_b32_e32 v2, 7, v2
	v_lshl_add_u32 v113, v113, 23, 0x3b800000
	v_cndmask_b32_e32 v2, v3, v2, vcc_lo
	v_and_b32_e32 v3, 0x80000000, v116
	v_lshlrev_b32_e32 v2, 20, v2
	v_or3_b32 v2, v3, v113, v2
.LBB6_3846:                             ;   in Loop: Header=BB6_3020 Depth=2
	s_or_b32 exec_lo, exec_lo, s26
	v_cmp_gt_i16_sdwa s26, v20, v115 src0_sel:BYTE_1 src1_sel:DWORD
	s_mov_b32 s12, 0
	s_and_saveexec_b32 s27, s26
	s_xor_b32 s26, exec_lo, s27
	s_cbranch_execz .LBB6_4464
; %bb.3847:                             ;   in Loop: Header=BB6_3020 Depth=2
	v_cmp_eq_u16_sdwa s28, v20, v119 src0_sel:BYTE_1 src1_sel:DWORD
	s_mov_b32 s12, -1
	s_and_saveexec_b32 s27, s28
; %bb.3848:                             ;   in Loop: Header=BB6_3020 Depth=2
	s_xor_b32 s12, exec_lo, -1
; %bb.3849:                             ;   in Loop: Header=BB6_3020 Depth=2
	s_or_b32 exec_lo, exec_lo, s27
	s_and_b32 s12, s12, exec_lo
	s_or_saveexec_b32 s26, s26
	v_mov_b32_e32 v3, 0x7f800001
	s_xor_b32 exec_lo, exec_lo, s26
	s_cbranch_execnz .LBB6_4465
.LBB6_3850:                             ;   in Loop: Header=BB6_3020 Depth=2
	s_or_b32 exec_lo, exec_lo, s26
	s_and_saveexec_b32 s26, s12
	s_cbranch_execz .LBB6_3852
.LBB6_3851:                             ;   in Loop: Header=BB6_3020 Depth=2
	v_and_b32_sdwa v3, v41, v20 dst_sel:DWORD dst_unused:UNUSED_PAD src0_sel:DWORD src1_sel:BYTE_1
	v_and_b32_e32 v113, 7, v3
	v_bfe_u32 v107, v3, 3, 4
	v_ffbh_u32_e32 v116, v113
	v_cmp_eq_u32_e32 vcc_lo, 0, v107
	v_min_u32_e32 v116, 32, v116
	v_subrev_nc_u32_e32 v106, 28, v116
	v_sub_nc_u32_e32 v116, 29, v116
	v_lshlrev_b32_e32 v3, v106, v3
	v_lshlrev_b32_sdwa v106, v47, v20 dst_sel:DWORD dst_unused:UNUSED_PAD src0_sel:DWORD src1_sel:BYTE_1
	v_cndmask_b32_e32 v116, v107, v116, vcc_lo
	v_and_b32_e32 v3, 7, v3
	v_lshl_add_u32 v116, v116, 23, 0x3b800000
	v_cndmask_b32_e32 v3, v113, v3, vcc_lo
	v_and_b32_e32 v113, 0x80000000, v106
	v_lshlrev_b32_e32 v3, 20, v3
	v_or3_b32 v3, v113, v116, v3
.LBB6_3852:                             ;   in Loop: Header=BB6_3020 Depth=2
	s_or_b32 exec_lo, exec_lo, s26
	v_add_f32_e32 v2, v2, v3
	v_mov_b32_e32 v106, 0x8000
	s_mov_b32 s26, exec_lo
	v_and_b32_e32 v3, 0x7f800000, v2
	v_cmpx_ne_u32_e32 0x7f800000, v3
	s_cbranch_execz .LBB6_3860
; %bb.3853:                             ;   in Loop: Header=BB6_3020 Depth=2
	v_mov_b32_e32 v106, 0
	s_mov_b32 s27, exec_lo
	v_cmpx_ne_u32_e32 0, v2
	s_cbranch_execz .LBB6_3859
; %bb.3854:                             ;   in Loop: Header=BB6_3020 Depth=2
	v_bfe_u32 v3, v2, 23, 8
	v_and_b32_e32 v113, 0x7fffff, v2
	v_sub_nc_u32_e32 v116, 0x78, v3
	v_cmp_gt_u32_e32 vcc_lo, 0x79, v3
	v_or_b32_e32 v106, 0x800000, v113
	v_cndmask_b32_e32 v116, 0, v116, vcc_lo
	v_cmp_eq_u32_e32 vcc_lo, 0, v3
	v_add_nc_u32_e32 v3, 0xffffff89, v3
	v_cndmask_b32_e64 v116, v116, 0x77, vcc_lo
	v_cndmask_b32_e32 v113, v106, v113, vcc_lo
	v_cndmask_b32_e64 v3, v3, 0xffffff8a, vcc_lo
	v_lshl_add_u32 v106, 0x100000, v116, -1
	v_lshrrev_b32_e32 v107, v116, v113
	v_lshlrev_b32_e64 v109, v116, 0x80000
	v_add_nc_u32_e32 v116, v116, v3
	v_and_b32_e32 v113, v106, v113
	v_bfe_u32 v108, v107, 20, 1
	v_cmp_eq_u32_e64 s12, v113, v109
	v_add_nc_u32_e32 v106, -1, v108
	v_cndmask_b32_e64 v113, 0, v106, s12
	v_lshrrev_b32_e32 v106, 23, v107
	s_mov_b32 s12, exec_lo
	v_add_nc_u32_e32 v113, v113, v107
	v_xor_b32_e32 v106, 1, v106
	v_and_b32_e32 v3, 0xfffff, v113
	v_add_nc_u32_e32 v113, v3, v107
                                        ; implicit-def: $vgpr3
	v_cmpx_ne_u32_e64 v116, v106
	s_xor_b32 s12, exec_lo, s12
; %bb.3855:                             ;   in Loop: Header=BB6_3020 Depth=2
	v_cmp_lt_u32_e32 vcc_lo, 0xffffff, v113
	v_sub_nc_u32_e32 v3, v116, v106
	v_cndmask_b32_e64 v116, 0, 1, vcc_lo
	v_add_co_ci_u32_e64 v3, null, 0, v3, vcc_lo
	v_lshrrev_b32_e32 v113, v116, v113
; %bb.3856:                             ;   in Loop: Header=BB6_3020 Depth=2
	s_andn2_saveexec_b32 s12, s12
; %bb.3857:                             ;   in Loop: Header=BB6_3020 Depth=2
	v_bfe_u32 v3, v113, 23, 1
; %bb.3858:                             ;   in Loop: Header=BB6_3020 Depth=2
	s_or_b32 exec_lo, exec_lo, s12
	v_lshrrev_b32_e32 v113, 20, v113
	v_min_i32_e32 v116, 15, v3
	v_cmp_gt_i32_e32 vcc_lo, 16, v3
	v_and_b32_sdwa v2, v2, v119 dst_sel:DWORD dst_unused:UNUSED_PAD src0_sel:BYTE_3 src1_sel:DWORD
	v_lshlrev_b32_e32 v116, 3, v116
	v_cndmask_b32_e32 v113, 7, v113, vcc_lo
	v_and_b32_e32 v116, 0xf8, v116
	v_and_b32_e32 v106, 7, v113
	v_or_b32_e32 v3, v3, v113
	v_or3_b32 v2, v2, v116, v106
	v_cmp_ne_u32_e32 vcc_lo, 0, v3
	v_lshlrev_b32_e32 v2, 8, v2
	v_cndmask_b32_e32 v106, 0, v2, vcc_lo
.LBB6_3859:                             ;   in Loop: Header=BB6_3020 Depth=2
	s_or_b32 exec_lo, exec_lo, s27
.LBB6_3860:                             ;   in Loop: Header=BB6_3020 Depth=2
	s_or_b32 exec_lo, exec_lo, s26
	v_and_b32_sdwa v3, v24, v56 dst_sel:DWORD dst_unused:UNUSED_PAD src0_sel:WORD_1 src1_sel:DWORD
	s_mov_b32 s12, 0
	s_mov_b32 s26, exec_lo
	v_cmpx_lt_i16_e32 0x7f, v3
	s_xor_b32 s26, exec_lo, s26
	s_cbranch_execz .LBB6_4466
; %bb.3861:                             ;   in Loop: Header=BB6_3020 Depth=2
	s_mov_b32 s12, -1
	s_mov_b32 s27, exec_lo
	v_cmpx_eq_u16_e32 0x80, v3
; %bb.3862:                             ;   in Loop: Header=BB6_3020 Depth=2
	s_xor_b32 s12, exec_lo, -1
; %bb.3863:                             ;   in Loop: Header=BB6_3020 Depth=2
	s_or_b32 exec_lo, exec_lo, s27
	s_and_b32 s12, s12, exec_lo
                                        ; implicit-def: $vgpr3
	s_or_saveexec_b32 s26, s26
	v_mov_b32_e32 v2, 0x7f800001
	s_xor_b32 exec_lo, exec_lo, s26
	s_cbranch_execnz .LBB6_4467
.LBB6_3864:                             ;   in Loop: Header=BB6_3020 Depth=2
	s_or_b32 exec_lo, exec_lo, s26
	s_and_saveexec_b32 s26, s12
	s_cbranch_execz .LBB6_3866
.LBB6_3865:                             ;   in Loop: Header=BB6_3020 Depth=2
	v_bfe_u32 v2, v24, 16, 3
	v_bfe_u32 v116, v24, 19, 4
	v_lshlrev_b32_e32 v107, 8, v24
	v_ffbh_u32_e32 v3, v2
	v_cmp_eq_u32_e32 vcc_lo, 0, v116
	v_min_u32_e32 v3, 32, v3
	v_subrev_nc_u32_e32 v113, 28, v3
	v_sub_nc_u32_e32 v3, 29, v3
	v_lshlrev_b32_sdwa v113, v113, v24 dst_sel:DWORD dst_unused:UNUSED_PAD src0_sel:DWORD src1_sel:WORD_1
	v_cndmask_b32_e32 v3, v116, v3, vcc_lo
	v_and_b32_e32 v113, 7, v113
	v_lshl_add_u32 v3, v3, 23, 0x3b800000
	v_cndmask_b32_e32 v2, v2, v113, vcc_lo
	v_and_b32_e32 v113, 0x80000000, v107
	v_lshlrev_b32_e32 v2, 20, v2
	v_or3_b32 v2, v113, v3, v2
.LBB6_3866:                             ;   in Loop: Header=BB6_3020 Depth=2
	s_or_b32 exec_lo, exec_lo, s26
	v_and_b32_sdwa v113, v20, v56 dst_sel:DWORD dst_unused:UNUSED_PAD src0_sel:WORD_1 src1_sel:DWORD
	s_mov_b32 s12, 0
	s_mov_b32 s26, exec_lo
	v_cmpx_lt_i16_e32 0x7f, v113
	s_xor_b32 s26, exec_lo, s26
	s_cbranch_execz .LBB6_4468
; %bb.3867:                             ;   in Loop: Header=BB6_3020 Depth=2
	s_mov_b32 s12, -1
	s_mov_b32 s27, exec_lo
	v_cmpx_eq_u16_e32 0x80, v113
; %bb.3868:                             ;   in Loop: Header=BB6_3020 Depth=2
	s_xor_b32 s12, exec_lo, -1
; %bb.3869:                             ;   in Loop: Header=BB6_3020 Depth=2
	s_or_b32 exec_lo, exec_lo, s27
	s_and_b32 s12, s12, exec_lo
                                        ; implicit-def: $vgpr113
	s_or_saveexec_b32 s26, s26
	v_mov_b32_e32 v3, 0x7f800001
	s_xor_b32 exec_lo, exec_lo, s26
	s_cbranch_execnz .LBB6_4469
.LBB6_3870:                             ;   in Loop: Header=BB6_3020 Depth=2
	s_or_b32 exec_lo, exec_lo, s26
	s_and_saveexec_b32 s26, s12
	s_cbranch_execz .LBB6_3872
.LBB6_3871:                             ;   in Loop: Header=BB6_3020 Depth=2
	v_bfe_u32 v3, v20, 16, 3
	v_bfe_u32 v107, v20, 19, 4
	v_lshlrev_b32_e32 v108, 8, v20
	v_ffbh_u32_e32 v113, v3
	v_cmp_eq_u32_e32 vcc_lo, 0, v107
	v_min_u32_e32 v113, 32, v113
	v_subrev_nc_u32_e32 v116, 28, v113
	v_sub_nc_u32_e32 v113, 29, v113
	v_lshlrev_b32_sdwa v116, v116, v20 dst_sel:DWORD dst_unused:UNUSED_PAD src0_sel:DWORD src1_sel:WORD_1
	v_cndmask_b32_e32 v113, v107, v113, vcc_lo
	v_and_b32_e32 v116, 7, v116
	v_lshl_add_u32 v113, v113, 23, 0x3b800000
	v_cndmask_b32_e32 v3, v3, v116, vcc_lo
	v_and_b32_e32 v116, 0x80000000, v108
	v_lshlrev_b32_e32 v3, 20, v3
	v_or3_b32 v3, v116, v113, v3
.LBB6_3872:                             ;   in Loop: Header=BB6_3020 Depth=2
	s_or_b32 exec_lo, exec_lo, s26
	v_add_f32_e32 v2, v2, v3
	v_mov_b32_e32 v107, 0x80
	s_mov_b32 s26, exec_lo
	v_and_b32_e32 v3, 0x7f800000, v2
	v_cmpx_ne_u32_e32 0x7f800000, v3
	s_cbranch_execz .LBB6_3880
; %bb.3873:                             ;   in Loop: Header=BB6_3020 Depth=2
	v_mov_b32_e32 v107, 0
	s_mov_b32 s27, exec_lo
	v_cmpx_ne_u32_e32 0, v2
	s_cbranch_execz .LBB6_3879
; %bb.3874:                             ;   in Loop: Header=BB6_3020 Depth=2
	v_bfe_u32 v3, v2, 23, 8
	v_and_b32_e32 v113, 0x7fffff, v2
	v_sub_nc_u32_e32 v116, 0x78, v3
	v_cmp_gt_u32_e32 vcc_lo, 0x79, v3
	v_or_b32_e32 v107, 0x800000, v113
	v_cndmask_b32_e32 v116, 0, v116, vcc_lo
	v_cmp_eq_u32_e32 vcc_lo, 0, v3
	v_add_nc_u32_e32 v3, 0xffffff89, v3
	v_cndmask_b32_e64 v116, v116, 0x77, vcc_lo
	v_cndmask_b32_e32 v113, v107, v113, vcc_lo
	v_cndmask_b32_e64 v3, v3, 0xffffff8a, vcc_lo
	v_lshl_add_u32 v107, 0x100000, v116, -1
	v_lshrrev_b32_e32 v108, v116, v113
	v_lshlrev_b32_e64 v110, v116, 0x80000
	v_add_nc_u32_e32 v116, v116, v3
	v_and_b32_e32 v113, v107, v113
	v_bfe_u32 v109, v108, 20, 1
	v_cmp_eq_u32_e64 s12, v113, v110
	v_add_nc_u32_e32 v107, -1, v109
	v_cndmask_b32_e64 v113, 0, v107, s12
	v_lshrrev_b32_e32 v107, 23, v108
	s_mov_b32 s12, exec_lo
	v_add_nc_u32_e32 v113, v113, v108
	v_xor_b32_e32 v107, 1, v107
	v_and_b32_e32 v3, 0xfffff, v113
	v_add_nc_u32_e32 v113, v3, v108
                                        ; implicit-def: $vgpr3
	v_cmpx_ne_u32_e64 v116, v107
	s_xor_b32 s12, exec_lo, s12
; %bb.3875:                             ;   in Loop: Header=BB6_3020 Depth=2
	v_cmp_lt_u32_e32 vcc_lo, 0xffffff, v113
	v_sub_nc_u32_e32 v3, v116, v107
	v_cndmask_b32_e64 v116, 0, 1, vcc_lo
	v_add_co_ci_u32_e64 v3, null, 0, v3, vcc_lo
	v_lshrrev_b32_e32 v113, v116, v113
; %bb.3876:                             ;   in Loop: Header=BB6_3020 Depth=2
	s_andn2_saveexec_b32 s12, s12
; %bb.3877:                             ;   in Loop: Header=BB6_3020 Depth=2
	v_bfe_u32 v3, v113, 23, 1
; %bb.3878:                             ;   in Loop: Header=BB6_3020 Depth=2
	s_or_b32 exec_lo, exec_lo, s12
	v_lshrrev_b32_e32 v113, 20, v113
	v_min_i32_e32 v116, 15, v3
	v_cmp_gt_i32_e32 vcc_lo, 16, v3
	v_and_b32_sdwa v2, v2, v119 dst_sel:DWORD dst_unused:UNUSED_PAD src0_sel:BYTE_3 src1_sel:DWORD
	v_lshlrev_b32_e32 v116, 3, v116
	v_cndmask_b32_e32 v113, 7, v113, vcc_lo
	v_and_b32_e32 v116, 0xf8, v116
	v_and_b32_e32 v107, 7, v113
	v_or_b32_e32 v3, v3, v113
	v_or3_b32 v2, v116, v2, v107
	v_cmp_ne_u32_e32 vcc_lo, 0, v3
	v_cndmask_b32_e32 v107, 0, v2, vcc_lo
.LBB6_3879:                             ;   in Loop: Header=BB6_3020 Depth=2
	s_or_b32 exec_lo, exec_lo, s27
.LBB6_3880:                             ;   in Loop: Header=BB6_3020 Depth=2
	s_or_b32 exec_lo, exec_lo, s26
	v_cmp_gt_i16_sdwa s26, v24, v115 src0_sel:BYTE_3 src1_sel:DWORD
	s_mov_b32 s12, 0
	s_and_saveexec_b32 s27, s26
	s_xor_b32 s26, exec_lo, s27
	s_cbranch_execz .LBB6_4470
; %bb.3881:                             ;   in Loop: Header=BB6_3020 Depth=2
	v_cmp_eq_u16_sdwa s28, v24, v119 src0_sel:BYTE_3 src1_sel:DWORD
	s_mov_b32 s12, -1
	s_and_saveexec_b32 s27, s28
; %bb.3882:                             ;   in Loop: Header=BB6_3020 Depth=2
	s_xor_b32 s12, exec_lo, -1
; %bb.3883:                             ;   in Loop: Header=BB6_3020 Depth=2
	s_or_b32 exec_lo, exec_lo, s27
	s_and_b32 s12, s12, exec_lo
	s_or_saveexec_b32 s26, s26
	v_mov_b32_e32 v2, 0x7f800001
	s_xor_b32 exec_lo, exec_lo, s26
	s_cbranch_execnz .LBB6_4471
.LBB6_3884:                             ;   in Loop: Header=BB6_3020 Depth=2
	s_or_b32 exec_lo, exec_lo, s26
	s_and_saveexec_b32 s26, s12
	s_cbranch_execz .LBB6_3886
.LBB6_3885:                             ;   in Loop: Header=BB6_3020 Depth=2
	v_bfe_u32 v2, v24, 24, 3
	v_bfe_u32 v116, v24, 27, 4
	v_ffbh_u32_e32 v3, v2
	v_cmp_eq_u32_e32 vcc_lo, 0, v116
	v_min_u32_e32 v3, 32, v3
	v_subrev_nc_u32_e32 v113, 28, v3
	v_sub_nc_u32_e32 v3, 29, v3
	v_lshlrev_b32_sdwa v113, v113, v24 dst_sel:DWORD dst_unused:UNUSED_PAD src0_sel:DWORD src1_sel:BYTE_3
	v_cndmask_b32_e32 v3, v116, v3, vcc_lo
	v_and_b32_e32 v24, 0x80000000, v24
	v_and_b32_e32 v113, 7, v113
	v_lshl_add_u32 v3, v3, 23, 0x3b800000
	v_cndmask_b32_e32 v2, v2, v113, vcc_lo
	v_lshlrev_b32_e32 v2, 20, v2
	v_or3_b32 v2, v24, v3, v2
.LBB6_3886:                             ;   in Loop: Header=BB6_3020 Depth=2
	s_or_b32 exec_lo, exec_lo, s26
	v_cmp_gt_i16_sdwa s26, v20, v115 src0_sel:BYTE_3 src1_sel:DWORD
	s_mov_b32 s12, 0
	s_and_saveexec_b32 s27, s26
	s_xor_b32 s26, exec_lo, s27
	s_cbranch_execz .LBB6_4472
; %bb.3887:                             ;   in Loop: Header=BB6_3020 Depth=2
	v_cmp_eq_u16_sdwa s28, v20, v119 src0_sel:BYTE_3 src1_sel:DWORD
	s_mov_b32 s12, -1
	s_and_saveexec_b32 s27, s28
; %bb.3888:                             ;   in Loop: Header=BB6_3020 Depth=2
	s_xor_b32 s12, exec_lo, -1
; %bb.3889:                             ;   in Loop: Header=BB6_3020 Depth=2
	s_or_b32 exec_lo, exec_lo, s27
	s_and_b32 s12, s12, exec_lo
	s_or_saveexec_b32 s26, s26
	v_mov_b32_e32 v3, 0x7f800001
	s_xor_b32 exec_lo, exec_lo, s26
	s_cbranch_execnz .LBB6_4473
.LBB6_3890:                             ;   in Loop: Header=BB6_3020 Depth=2
	s_or_b32 exec_lo, exec_lo, s26
	s_and_saveexec_b32 s26, s12
	s_cbranch_execz .LBB6_3892
.LBB6_3891:                             ;   in Loop: Header=BB6_3020 Depth=2
	v_bfe_u32 v3, v20, 24, 3
	v_bfe_u32 v116, v20, 27, 4
	v_ffbh_u32_e32 v24, v3
	v_cmp_eq_u32_e32 vcc_lo, 0, v116
	v_min_u32_e32 v24, 32, v24
	v_subrev_nc_u32_e32 v113, 28, v24
	v_sub_nc_u32_e32 v24, 29, v24
	v_lshlrev_b32_sdwa v113, v113, v20 dst_sel:DWORD dst_unused:UNUSED_PAD src0_sel:DWORD src1_sel:BYTE_3
	v_cndmask_b32_e32 v24, v116, v24, vcc_lo
	v_and_b32_e32 v20, 0x80000000, v20
	v_and_b32_e32 v113, 7, v113
	v_lshl_add_u32 v24, v24, 23, 0x3b800000
	v_cndmask_b32_e32 v3, v3, v113, vcc_lo
	v_lshlrev_b32_e32 v3, 20, v3
	v_or3_b32 v3, v20, v24, v3
.LBB6_3892:                             ;   in Loop: Header=BB6_3020 Depth=2
	s_or_b32 exec_lo, exec_lo, s26
	v_add_f32_e32 v2, v2, v3
	v_mov_b32_e32 v20, 0x8000
	s_mov_b32 s26, exec_lo
	v_and_b32_e32 v3, 0x7f800000, v2
	v_cmpx_ne_u32_e32 0x7f800000, v3
	s_cbranch_execz .LBB6_3900
; %bb.3893:                             ;   in Loop: Header=BB6_3020 Depth=2
	v_mov_b32_e32 v20, 0
	s_mov_b32 s27, exec_lo
	v_cmpx_ne_u32_e32 0, v2
	s_cbranch_execz .LBB6_3899
; %bb.3894:                             ;   in Loop: Header=BB6_3020 Depth=2
	v_bfe_u32 v3, v2, 23, 8
	v_and_b32_e32 v20, 0x7fffff, v2
	v_sub_nc_u32_e32 v24, 0x78, v3
	v_cmp_gt_u32_e32 vcc_lo, 0x79, v3
	v_or_b32_e32 v113, 0x800000, v20
	v_cndmask_b32_e32 v24, 0, v24, vcc_lo
	v_cmp_eq_u32_e32 vcc_lo, 0, v3
	v_add_nc_u32_e32 v3, 0xffffff89, v3
	v_cndmask_b32_e64 v24, v24, 0x77, vcc_lo
	v_cndmask_b32_e32 v20, v113, v20, vcc_lo
	v_cndmask_b32_e64 v3, v3, 0xffffff8a, vcc_lo
	v_lshl_add_u32 v113, 0x100000, v24, -1
	v_lshrrev_b32_e32 v116, v24, v20
	v_lshlrev_b32_e64 v109, v24, 0x80000
	v_add_nc_u32_e32 v24, v24, v3
	v_and_b32_e32 v20, v113, v20
	v_bfe_u32 v108, v116, 20, 1
	v_cmp_eq_u32_e64 s12, v20, v109
	v_add_nc_u32_e32 v113, -1, v108
	v_cndmask_b32_e64 v20, 0, v113, s12
	v_lshrrev_b32_e32 v113, 23, v116
	s_mov_b32 s12, exec_lo
	v_add_nc_u32_e32 v20, v20, v116
	v_xor_b32_e32 v113, 1, v113
	v_and_b32_e32 v3, 0xfffff, v20
	v_add_nc_u32_e32 v20, v3, v116
                                        ; implicit-def: $vgpr3
	v_cmpx_ne_u32_e64 v24, v113
	s_xor_b32 s12, exec_lo, s12
; %bb.3895:                             ;   in Loop: Header=BB6_3020 Depth=2
	v_cmp_lt_u32_e32 vcc_lo, 0xffffff, v20
	v_sub_nc_u32_e32 v3, v24, v113
	v_cndmask_b32_e64 v24, 0, 1, vcc_lo
	v_add_co_ci_u32_e64 v3, null, 0, v3, vcc_lo
	v_lshrrev_b32_e32 v20, v24, v20
; %bb.3896:                             ;   in Loop: Header=BB6_3020 Depth=2
	s_andn2_saveexec_b32 s12, s12
; %bb.3897:                             ;   in Loop: Header=BB6_3020 Depth=2
	v_bfe_u32 v3, v20, 23, 1
; %bb.3898:                             ;   in Loop: Header=BB6_3020 Depth=2
	s_or_b32 exec_lo, exec_lo, s12
	v_lshrrev_b32_e32 v20, 20, v20
	v_min_i32_e32 v24, 15, v3
	v_cmp_gt_i32_e32 vcc_lo, 16, v3
	v_and_b32_sdwa v2, v2, v119 dst_sel:DWORD dst_unused:UNUSED_PAD src0_sel:BYTE_3 src1_sel:DWORD
	v_lshlrev_b32_e32 v24, 3, v24
	v_cndmask_b32_e32 v20, 7, v20, vcc_lo
	v_and_b32_e32 v24, 0xf8, v24
	v_and_b32_e32 v113, 7, v20
	v_or_b32_e32 v3, v3, v20
	v_or3_b32 v2, v2, v24, v113
	v_cmp_ne_u32_e32 vcc_lo, 0, v3
	v_lshlrev_b32_e32 v2, 8, v2
	v_cndmask_b32_e32 v20, 0, v2, vcc_lo
.LBB6_3899:                             ;   in Loop: Header=BB6_3020 Depth=2
	s_or_b32 exec_lo, exec_lo, s27
.LBB6_3900:                             ;   in Loop: Header=BB6_3020 Depth=2
	s_or_b32 exec_lo, exec_lo, s26
	v_cmp_gt_i16_sdwa s26, v25, v115 src0_sel:BYTE_0 src1_sel:DWORD
	s_mov_b32 s12, 0
	s_and_saveexec_b32 s27, s26
	s_xor_b32 s26, exec_lo, s27
	s_cbranch_execz .LBB6_4474
; %bb.3901:                             ;   in Loop: Header=BB6_3020 Depth=2
	v_cmp_eq_u16_sdwa s28, v25, v119 src0_sel:BYTE_0 src1_sel:DWORD
	s_mov_b32 s12, -1
	s_and_saveexec_b32 s27, s28
; %bb.3902:                             ;   in Loop: Header=BB6_3020 Depth=2
	s_xor_b32 s12, exec_lo, -1
; %bb.3903:                             ;   in Loop: Header=BB6_3020 Depth=2
	s_or_b32 exec_lo, exec_lo, s27
	s_and_b32 s12, s12, exec_lo
	s_or_saveexec_b32 s26, s26
	v_mov_b32_e32 v2, 0x7f800001
	s_xor_b32 exec_lo, exec_lo, s26
	s_cbranch_execnz .LBB6_4475
.LBB6_3904:                             ;   in Loop: Header=BB6_3020 Depth=2
	s_or_b32 exec_lo, exec_lo, s26
	s_and_saveexec_b32 s26, s12
	s_cbranch_execz .LBB6_3906
.LBB6_3905:                             ;   in Loop: Header=BB6_3020 Depth=2
	v_and_b32_e32 v2, 7, v25
	v_bfe_u32 v113, v25, 3, 4
	v_lshlrev_b32_e32 v116, 24, v25
	v_ffbh_u32_e32 v3, v2
	v_cmp_eq_u32_e32 vcc_lo, 0, v113
	v_min_u32_e32 v3, 32, v3
	v_subrev_nc_u32_e32 v24, 28, v3
	v_sub_nc_u32_e32 v3, 29, v3
	v_lshlrev_b32_e32 v24, v24, v25
	v_cndmask_b32_e32 v3, v113, v3, vcc_lo
	v_and_b32_e32 v24, 7, v24
	v_lshl_add_u32 v3, v3, 23, 0x3b800000
	v_cndmask_b32_e32 v2, v2, v24, vcc_lo
	v_and_b32_e32 v24, 0x80000000, v116
	v_lshlrev_b32_e32 v2, 20, v2
	v_or3_b32 v2, v24, v3, v2
.LBB6_3906:                             ;   in Loop: Header=BB6_3020 Depth=2
	s_or_b32 exec_lo, exec_lo, s26
	v_cmp_gt_i16_sdwa s26, v21, v115 src0_sel:BYTE_0 src1_sel:DWORD
	s_mov_b32 s12, 0
	s_and_saveexec_b32 s27, s26
	s_xor_b32 s26, exec_lo, s27
	s_cbranch_execz .LBB6_4476
; %bb.3907:                             ;   in Loop: Header=BB6_3020 Depth=2
	v_cmp_eq_u16_sdwa s28, v21, v119 src0_sel:BYTE_0 src1_sel:DWORD
	s_mov_b32 s12, -1
	s_and_saveexec_b32 s27, s28
; %bb.3908:                             ;   in Loop: Header=BB6_3020 Depth=2
	s_xor_b32 s12, exec_lo, -1
; %bb.3909:                             ;   in Loop: Header=BB6_3020 Depth=2
	s_or_b32 exec_lo, exec_lo, s27
	s_and_b32 s12, s12, exec_lo
	s_or_saveexec_b32 s26, s26
	v_mov_b32_e32 v3, 0x7f800001
	s_xor_b32 exec_lo, exec_lo, s26
	s_cbranch_execnz .LBB6_4477
.LBB6_3910:                             ;   in Loop: Header=BB6_3020 Depth=2
	s_or_b32 exec_lo, exec_lo, s26
	s_and_saveexec_b32 s26, s12
	s_cbranch_execz .LBB6_3912
.LBB6_3911:                             ;   in Loop: Header=BB6_3020 Depth=2
	v_and_b32_e32 v3, 7, v21
	v_bfe_u32 v116, v21, 3, 4
	v_lshlrev_b32_e32 v108, 24, v21
	v_ffbh_u32_e32 v24, v3
	v_cmp_eq_u32_e32 vcc_lo, 0, v116
	v_min_u32_e32 v24, 32, v24
	v_subrev_nc_u32_e32 v113, 28, v24
	v_sub_nc_u32_e32 v24, 29, v24
	v_lshlrev_b32_e32 v113, v113, v21
	v_cndmask_b32_e32 v24, v116, v24, vcc_lo
	v_and_b32_e32 v113, 7, v113
	v_lshl_add_u32 v24, v24, 23, 0x3b800000
	v_cndmask_b32_e32 v3, v3, v113, vcc_lo
	v_and_b32_e32 v113, 0x80000000, v108
	v_lshlrev_b32_e32 v3, 20, v3
	v_or3_b32 v3, v113, v24, v3
.LBB6_3912:                             ;   in Loop: Header=BB6_3020 Depth=2
	s_or_b32 exec_lo, exec_lo, s26
	v_add_f32_e32 v2, v2, v3
	v_mov_b32_e32 v24, 0x80
	s_mov_b32 s26, exec_lo
	v_and_b32_e32 v3, 0x7f800000, v2
	v_cmpx_ne_u32_e32 0x7f800000, v3
	s_cbranch_execz .LBB6_3920
; %bb.3913:                             ;   in Loop: Header=BB6_3020 Depth=2
	v_mov_b32_e32 v24, 0
	s_mov_b32 s27, exec_lo
	v_cmpx_ne_u32_e32 0, v2
	s_cbranch_execz .LBB6_3919
; %bb.3914:                             ;   in Loop: Header=BB6_3020 Depth=2
	v_bfe_u32 v3, v2, 23, 8
	v_and_b32_e32 v24, 0x7fffff, v2
	v_sub_nc_u32_e32 v113, 0x78, v3
	v_cmp_gt_u32_e32 vcc_lo, 0x79, v3
	v_or_b32_e32 v116, 0x800000, v24
	v_cndmask_b32_e32 v113, 0, v113, vcc_lo
	v_cmp_eq_u32_e32 vcc_lo, 0, v3
	v_add_nc_u32_e32 v3, 0xffffff89, v3
	v_cndmask_b32_e64 v113, v113, 0x77, vcc_lo
	v_cndmask_b32_e32 v24, v116, v24, vcc_lo
	v_cndmask_b32_e64 v3, v3, 0xffffff8a, vcc_lo
	v_lshl_add_u32 v116, 0x100000, v113, -1
	v_lshrrev_b32_e32 v108, v113, v24
	v_lshlrev_b32_e64 v110, v113, 0x80000
	v_add_nc_u32_e32 v113, v113, v3
	v_and_b32_e32 v24, v116, v24
	v_bfe_u32 v109, v108, 20, 1
	v_cmp_eq_u32_e64 s12, v24, v110
	v_add_nc_u32_e32 v116, -1, v109
	v_cndmask_b32_e64 v24, 0, v116, s12
	v_lshrrev_b32_e32 v116, 23, v108
	s_mov_b32 s12, exec_lo
	v_add_nc_u32_e32 v24, v24, v108
	v_xor_b32_e32 v116, 1, v116
	v_and_b32_e32 v3, 0xfffff, v24
	v_add_nc_u32_e32 v24, v3, v108
                                        ; implicit-def: $vgpr3
	v_cmpx_ne_u32_e64 v113, v116
	s_xor_b32 s12, exec_lo, s12
; %bb.3915:                             ;   in Loop: Header=BB6_3020 Depth=2
	v_cmp_lt_u32_e32 vcc_lo, 0xffffff, v24
	v_sub_nc_u32_e32 v3, v113, v116
	v_cndmask_b32_e64 v113, 0, 1, vcc_lo
	v_add_co_ci_u32_e64 v3, null, 0, v3, vcc_lo
	v_lshrrev_b32_e32 v24, v113, v24
; %bb.3916:                             ;   in Loop: Header=BB6_3020 Depth=2
	s_andn2_saveexec_b32 s12, s12
; %bb.3917:                             ;   in Loop: Header=BB6_3020 Depth=2
	v_bfe_u32 v3, v24, 23, 1
; %bb.3918:                             ;   in Loop: Header=BB6_3020 Depth=2
	s_or_b32 exec_lo, exec_lo, s12
	v_lshrrev_b32_e32 v24, 20, v24
	v_min_i32_e32 v113, 15, v3
	v_cmp_gt_i32_e32 vcc_lo, 16, v3
	v_and_b32_sdwa v2, v2, v119 dst_sel:DWORD dst_unused:UNUSED_PAD src0_sel:BYTE_3 src1_sel:DWORD
	v_lshlrev_b32_e32 v113, 3, v113
	v_cndmask_b32_e32 v24, 7, v24, vcc_lo
	v_and_b32_e32 v113, 0xf8, v113
	v_and_b32_e32 v116, 7, v24
	v_or_b32_e32 v3, v3, v24
	v_or3_b32 v2, v113, v2, v116
	v_cmp_ne_u32_e32 vcc_lo, 0, v3
	v_cndmask_b32_e32 v24, 0, v2, vcc_lo
.LBB6_3919:                             ;   in Loop: Header=BB6_3020 Depth=2
	s_or_b32 exec_lo, exec_lo, s27
.LBB6_3920:                             ;   in Loop: Header=BB6_3020 Depth=2
	s_or_b32 exec_lo, exec_lo, s26
	v_cmp_gt_i16_sdwa s26, v25, v115 src0_sel:BYTE_1 src1_sel:DWORD
	s_mov_b32 s12, 0
	s_and_saveexec_b32 s27, s26
	s_xor_b32 s26, exec_lo, s27
	s_cbranch_execz .LBB6_4478
; %bb.3921:                             ;   in Loop: Header=BB6_3020 Depth=2
	v_cmp_eq_u16_sdwa s28, v25, v119 src0_sel:BYTE_1 src1_sel:DWORD
	s_mov_b32 s12, -1
	s_and_saveexec_b32 s27, s28
; %bb.3922:                             ;   in Loop: Header=BB6_3020 Depth=2
	s_xor_b32 s12, exec_lo, -1
; %bb.3923:                             ;   in Loop: Header=BB6_3020 Depth=2
	s_or_b32 exec_lo, exec_lo, s27
	s_and_b32 s12, s12, exec_lo
	s_or_saveexec_b32 s26, s26
	v_mov_b32_e32 v2, 0x7f800001
	s_xor_b32 exec_lo, exec_lo, s26
	s_cbranch_execnz .LBB6_4479
.LBB6_3924:                             ;   in Loop: Header=BB6_3020 Depth=2
	s_or_b32 exec_lo, exec_lo, s26
	s_and_saveexec_b32 s26, s12
	s_cbranch_execz .LBB6_3926
.LBB6_3925:                             ;   in Loop: Header=BB6_3020 Depth=2
	v_and_b32_sdwa v2, v41, v25 dst_sel:DWORD dst_unused:UNUSED_PAD src0_sel:DWORD src1_sel:BYTE_1
	v_and_b32_e32 v3, 7, v2
	v_bfe_u32 v108, v2, 3, 4
	v_ffbh_u32_e32 v113, v3
	v_cmp_eq_u32_e32 vcc_lo, 0, v108
	v_min_u32_e32 v113, 32, v113
	v_subrev_nc_u32_e32 v116, 28, v113
	v_sub_nc_u32_e32 v113, 29, v113
	v_lshlrev_b32_e32 v2, v116, v2
	v_lshlrev_b32_sdwa v116, v47, v25 dst_sel:DWORD dst_unused:UNUSED_PAD src0_sel:DWORD src1_sel:BYTE_1
	v_cndmask_b32_e32 v113, v108, v113, vcc_lo
	v_and_b32_e32 v2, 7, v2
	v_lshl_add_u32 v113, v113, 23, 0x3b800000
	v_cndmask_b32_e32 v2, v3, v2, vcc_lo
	v_and_b32_e32 v3, 0x80000000, v116
	v_lshlrev_b32_e32 v2, 20, v2
	v_or3_b32 v2, v3, v113, v2
.LBB6_3926:                             ;   in Loop: Header=BB6_3020 Depth=2
	s_or_b32 exec_lo, exec_lo, s26
	v_cmp_gt_i16_sdwa s26, v21, v115 src0_sel:BYTE_1 src1_sel:DWORD
	s_mov_b32 s12, 0
	s_and_saveexec_b32 s27, s26
	s_xor_b32 s26, exec_lo, s27
	s_cbranch_execz .LBB6_4480
; %bb.3927:                             ;   in Loop: Header=BB6_3020 Depth=2
	v_cmp_eq_u16_sdwa s28, v21, v119 src0_sel:BYTE_1 src1_sel:DWORD
	s_mov_b32 s12, -1
	s_and_saveexec_b32 s27, s28
; %bb.3928:                             ;   in Loop: Header=BB6_3020 Depth=2
	s_xor_b32 s12, exec_lo, -1
; %bb.3929:                             ;   in Loop: Header=BB6_3020 Depth=2
	s_or_b32 exec_lo, exec_lo, s27
	s_and_b32 s12, s12, exec_lo
	s_or_saveexec_b32 s26, s26
	v_mov_b32_e32 v3, 0x7f800001
	s_xor_b32 exec_lo, exec_lo, s26
	s_cbranch_execnz .LBB6_4481
.LBB6_3930:                             ;   in Loop: Header=BB6_3020 Depth=2
	s_or_b32 exec_lo, exec_lo, s26
	s_and_saveexec_b32 s26, s12
	s_cbranch_execz .LBB6_3932
.LBB6_3931:                             ;   in Loop: Header=BB6_3020 Depth=2
	v_and_b32_sdwa v3, v41, v21 dst_sel:DWORD dst_unused:UNUSED_PAD src0_sel:DWORD src1_sel:BYTE_1
	v_and_b32_e32 v113, 7, v3
	v_bfe_u32 v109, v3, 3, 4
	v_ffbh_u32_e32 v116, v113
	v_cmp_eq_u32_e32 vcc_lo, 0, v109
	v_min_u32_e32 v116, 32, v116
	v_subrev_nc_u32_e32 v108, 28, v116
	v_sub_nc_u32_e32 v116, 29, v116
	v_lshlrev_b32_e32 v3, v108, v3
	v_lshlrev_b32_sdwa v108, v47, v21 dst_sel:DWORD dst_unused:UNUSED_PAD src0_sel:DWORD src1_sel:BYTE_1
	v_cndmask_b32_e32 v116, v109, v116, vcc_lo
	v_and_b32_e32 v3, 7, v3
	v_lshl_add_u32 v116, v116, 23, 0x3b800000
	v_cndmask_b32_e32 v3, v113, v3, vcc_lo
	v_and_b32_e32 v113, 0x80000000, v108
	v_lshlrev_b32_e32 v3, 20, v3
	v_or3_b32 v3, v113, v116, v3
.LBB6_3932:                             ;   in Loop: Header=BB6_3020 Depth=2
	s_or_b32 exec_lo, exec_lo, s26
	v_add_f32_e32 v2, v2, v3
	v_mov_b32_e32 v108, 0x8000
	s_mov_b32 s26, exec_lo
	v_and_b32_e32 v3, 0x7f800000, v2
	v_cmpx_ne_u32_e32 0x7f800000, v3
	s_cbranch_execz .LBB6_3940
; %bb.3933:                             ;   in Loop: Header=BB6_3020 Depth=2
	v_mov_b32_e32 v108, 0
	s_mov_b32 s27, exec_lo
	v_cmpx_ne_u32_e32 0, v2
	s_cbranch_execz .LBB6_3939
; %bb.3934:                             ;   in Loop: Header=BB6_3020 Depth=2
	v_bfe_u32 v3, v2, 23, 8
	v_and_b32_e32 v113, 0x7fffff, v2
	v_sub_nc_u32_e32 v116, 0x78, v3
	v_cmp_gt_u32_e32 vcc_lo, 0x79, v3
	v_or_b32_e32 v108, 0x800000, v113
	v_cndmask_b32_e32 v116, 0, v116, vcc_lo
	v_cmp_eq_u32_e32 vcc_lo, 0, v3
	v_add_nc_u32_e32 v3, 0xffffff89, v3
	v_cndmask_b32_e64 v116, v116, 0x77, vcc_lo
	v_cndmask_b32_e32 v113, v108, v113, vcc_lo
	v_cndmask_b32_e64 v3, v3, 0xffffff8a, vcc_lo
	v_lshl_add_u32 v108, 0x100000, v116, -1
	v_lshrrev_b32_e32 v109, v116, v113
	v_lshlrev_b32_e64 v111, v116, 0x80000
	v_add_nc_u32_e32 v116, v116, v3
	v_and_b32_e32 v113, v108, v113
	v_bfe_u32 v110, v109, 20, 1
	v_cmp_eq_u32_e64 s12, v113, v111
	v_add_nc_u32_e32 v108, -1, v110
	v_cndmask_b32_e64 v113, 0, v108, s12
	v_lshrrev_b32_e32 v108, 23, v109
	s_mov_b32 s12, exec_lo
	v_add_nc_u32_e32 v113, v113, v109
	v_xor_b32_e32 v108, 1, v108
	v_and_b32_e32 v3, 0xfffff, v113
	v_add_nc_u32_e32 v113, v3, v109
                                        ; implicit-def: $vgpr3
	v_cmpx_ne_u32_e64 v116, v108
	s_xor_b32 s12, exec_lo, s12
; %bb.3935:                             ;   in Loop: Header=BB6_3020 Depth=2
	v_cmp_lt_u32_e32 vcc_lo, 0xffffff, v113
	v_sub_nc_u32_e32 v3, v116, v108
	v_cndmask_b32_e64 v116, 0, 1, vcc_lo
	v_add_co_ci_u32_e64 v3, null, 0, v3, vcc_lo
	v_lshrrev_b32_e32 v113, v116, v113
; %bb.3936:                             ;   in Loop: Header=BB6_3020 Depth=2
	s_andn2_saveexec_b32 s12, s12
; %bb.3937:                             ;   in Loop: Header=BB6_3020 Depth=2
	v_bfe_u32 v3, v113, 23, 1
; %bb.3938:                             ;   in Loop: Header=BB6_3020 Depth=2
	s_or_b32 exec_lo, exec_lo, s12
	v_lshrrev_b32_e32 v113, 20, v113
	v_min_i32_e32 v116, 15, v3
	v_cmp_gt_i32_e32 vcc_lo, 16, v3
	v_and_b32_sdwa v2, v2, v119 dst_sel:DWORD dst_unused:UNUSED_PAD src0_sel:BYTE_3 src1_sel:DWORD
	v_lshlrev_b32_e32 v116, 3, v116
	v_cndmask_b32_e32 v113, 7, v113, vcc_lo
	v_and_b32_e32 v116, 0xf8, v116
	v_and_b32_e32 v108, 7, v113
	v_or_b32_e32 v3, v3, v113
	v_or3_b32 v2, v2, v116, v108
	v_cmp_ne_u32_e32 vcc_lo, 0, v3
	v_lshlrev_b32_e32 v2, 8, v2
	v_cndmask_b32_e32 v108, 0, v2, vcc_lo
.LBB6_3939:                             ;   in Loop: Header=BB6_3020 Depth=2
	s_or_b32 exec_lo, exec_lo, s27
.LBB6_3940:                             ;   in Loop: Header=BB6_3020 Depth=2
	s_or_b32 exec_lo, exec_lo, s26
	v_and_b32_sdwa v3, v25, v56 dst_sel:DWORD dst_unused:UNUSED_PAD src0_sel:WORD_1 src1_sel:DWORD
	s_mov_b32 s12, 0
	s_mov_b32 s26, exec_lo
	v_cmpx_lt_i16_e32 0x7f, v3
	s_xor_b32 s26, exec_lo, s26
	s_cbranch_execz .LBB6_4482
; %bb.3941:                             ;   in Loop: Header=BB6_3020 Depth=2
	s_mov_b32 s12, -1
	s_mov_b32 s27, exec_lo
	v_cmpx_eq_u16_e32 0x80, v3
; %bb.3942:                             ;   in Loop: Header=BB6_3020 Depth=2
	s_xor_b32 s12, exec_lo, -1
; %bb.3943:                             ;   in Loop: Header=BB6_3020 Depth=2
	s_or_b32 exec_lo, exec_lo, s27
	s_and_b32 s12, s12, exec_lo
                                        ; implicit-def: $vgpr3
	s_or_saveexec_b32 s26, s26
	v_mov_b32_e32 v2, 0x7f800001
	s_xor_b32 exec_lo, exec_lo, s26
	s_cbranch_execnz .LBB6_4483
.LBB6_3944:                             ;   in Loop: Header=BB6_3020 Depth=2
	s_or_b32 exec_lo, exec_lo, s26
	s_and_saveexec_b32 s26, s12
	s_cbranch_execz .LBB6_3946
.LBB6_3945:                             ;   in Loop: Header=BB6_3020 Depth=2
	v_bfe_u32 v2, v25, 16, 3
	v_bfe_u32 v116, v25, 19, 4
	v_lshlrev_b32_e32 v109, 8, v25
	v_ffbh_u32_e32 v3, v2
	v_cmp_eq_u32_e32 vcc_lo, 0, v116
	v_min_u32_e32 v3, 32, v3
	v_subrev_nc_u32_e32 v113, 28, v3
	v_sub_nc_u32_e32 v3, 29, v3
	v_lshlrev_b32_sdwa v113, v113, v25 dst_sel:DWORD dst_unused:UNUSED_PAD src0_sel:DWORD src1_sel:WORD_1
	v_cndmask_b32_e32 v3, v116, v3, vcc_lo
	v_and_b32_e32 v113, 7, v113
	v_lshl_add_u32 v3, v3, 23, 0x3b800000
	v_cndmask_b32_e32 v2, v2, v113, vcc_lo
	v_and_b32_e32 v113, 0x80000000, v109
	v_lshlrev_b32_e32 v2, 20, v2
	v_or3_b32 v2, v113, v3, v2
.LBB6_3946:                             ;   in Loop: Header=BB6_3020 Depth=2
	s_or_b32 exec_lo, exec_lo, s26
	v_and_b32_sdwa v113, v21, v56 dst_sel:DWORD dst_unused:UNUSED_PAD src0_sel:WORD_1 src1_sel:DWORD
	s_mov_b32 s12, 0
	s_mov_b32 s26, exec_lo
	v_cmpx_lt_i16_e32 0x7f, v113
	s_xor_b32 s26, exec_lo, s26
	s_cbranch_execz .LBB6_4484
; %bb.3947:                             ;   in Loop: Header=BB6_3020 Depth=2
	s_mov_b32 s12, -1
	s_mov_b32 s27, exec_lo
	v_cmpx_eq_u16_e32 0x80, v113
; %bb.3948:                             ;   in Loop: Header=BB6_3020 Depth=2
	s_xor_b32 s12, exec_lo, -1
; %bb.3949:                             ;   in Loop: Header=BB6_3020 Depth=2
	s_or_b32 exec_lo, exec_lo, s27
	s_and_b32 s12, s12, exec_lo
                                        ; implicit-def: $vgpr113
	s_or_saveexec_b32 s26, s26
	v_mov_b32_e32 v3, 0x7f800001
	s_xor_b32 exec_lo, exec_lo, s26
	s_cbranch_execnz .LBB6_4485
.LBB6_3950:                             ;   in Loop: Header=BB6_3020 Depth=2
	s_or_b32 exec_lo, exec_lo, s26
	s_and_saveexec_b32 s26, s12
	s_cbranch_execz .LBB6_3952
.LBB6_3951:                             ;   in Loop: Header=BB6_3020 Depth=2
	v_bfe_u32 v3, v21, 16, 3
	v_bfe_u32 v109, v21, 19, 4
	v_lshlrev_b32_e32 v110, 8, v21
	v_ffbh_u32_e32 v113, v3
	v_cmp_eq_u32_e32 vcc_lo, 0, v109
	v_min_u32_e32 v113, 32, v113
	v_subrev_nc_u32_e32 v116, 28, v113
	v_sub_nc_u32_e32 v113, 29, v113
	v_lshlrev_b32_sdwa v116, v116, v21 dst_sel:DWORD dst_unused:UNUSED_PAD src0_sel:DWORD src1_sel:WORD_1
	v_cndmask_b32_e32 v113, v109, v113, vcc_lo
	v_and_b32_e32 v116, 7, v116
	v_lshl_add_u32 v113, v113, 23, 0x3b800000
	v_cndmask_b32_e32 v3, v3, v116, vcc_lo
	v_and_b32_e32 v116, 0x80000000, v110
	v_lshlrev_b32_e32 v3, 20, v3
	v_or3_b32 v3, v116, v113, v3
.LBB6_3952:                             ;   in Loop: Header=BB6_3020 Depth=2
	s_or_b32 exec_lo, exec_lo, s26
	v_add_f32_e32 v2, v2, v3
	v_mov_b32_e32 v109, 0x80
	s_mov_b32 s26, exec_lo
	v_and_b32_e32 v3, 0x7f800000, v2
	v_cmpx_ne_u32_e32 0x7f800000, v3
	s_cbranch_execz .LBB6_3960
; %bb.3953:                             ;   in Loop: Header=BB6_3020 Depth=2
	v_mov_b32_e32 v109, 0
	s_mov_b32 s27, exec_lo
	v_cmpx_ne_u32_e32 0, v2
	s_cbranch_execz .LBB6_3959
; %bb.3954:                             ;   in Loop: Header=BB6_3020 Depth=2
	v_bfe_u32 v3, v2, 23, 8
	v_and_b32_e32 v113, 0x7fffff, v2
	v_sub_nc_u32_e32 v116, 0x78, v3
	v_cmp_gt_u32_e32 vcc_lo, 0x79, v3
	v_or_b32_e32 v109, 0x800000, v113
	v_cndmask_b32_e32 v116, 0, v116, vcc_lo
	v_cmp_eq_u32_e32 vcc_lo, 0, v3
	v_add_nc_u32_e32 v3, 0xffffff89, v3
	v_cndmask_b32_e64 v116, v116, 0x77, vcc_lo
	v_cndmask_b32_e32 v113, v109, v113, vcc_lo
	v_cndmask_b32_e64 v3, v3, 0xffffff8a, vcc_lo
	v_lshl_add_u32 v109, 0x100000, v116, -1
	v_lshrrev_b32_e32 v110, v116, v113
	v_lshlrev_b32_e64 v120, v116, 0x80000
	v_add_nc_u32_e32 v116, v116, v3
	v_and_b32_e32 v113, v109, v113
	v_bfe_u32 v111, v110, 20, 1
	v_cmp_eq_u32_e64 s12, v113, v120
	v_add_nc_u32_e32 v109, -1, v111
	v_cndmask_b32_e64 v113, 0, v109, s12
	v_lshrrev_b32_e32 v109, 23, v110
	s_mov_b32 s12, exec_lo
	v_add_nc_u32_e32 v113, v113, v110
	v_xor_b32_e32 v109, 1, v109
	v_and_b32_e32 v3, 0xfffff, v113
	v_add_nc_u32_e32 v113, v3, v110
                                        ; implicit-def: $vgpr3
	v_cmpx_ne_u32_e64 v116, v109
	s_xor_b32 s12, exec_lo, s12
; %bb.3955:                             ;   in Loop: Header=BB6_3020 Depth=2
	v_cmp_lt_u32_e32 vcc_lo, 0xffffff, v113
	v_sub_nc_u32_e32 v3, v116, v109
	v_cndmask_b32_e64 v116, 0, 1, vcc_lo
	v_add_co_ci_u32_e64 v3, null, 0, v3, vcc_lo
	v_lshrrev_b32_e32 v113, v116, v113
; %bb.3956:                             ;   in Loop: Header=BB6_3020 Depth=2
	s_andn2_saveexec_b32 s12, s12
; %bb.3957:                             ;   in Loop: Header=BB6_3020 Depth=2
	v_bfe_u32 v3, v113, 23, 1
; %bb.3958:                             ;   in Loop: Header=BB6_3020 Depth=2
	s_or_b32 exec_lo, exec_lo, s12
	v_lshrrev_b32_e32 v113, 20, v113
	v_min_i32_e32 v116, 15, v3
	v_cmp_gt_i32_e32 vcc_lo, 16, v3
	v_and_b32_sdwa v2, v2, v119 dst_sel:DWORD dst_unused:UNUSED_PAD src0_sel:BYTE_3 src1_sel:DWORD
	v_lshlrev_b32_e32 v116, 3, v116
	v_cndmask_b32_e32 v113, 7, v113, vcc_lo
	v_and_b32_e32 v116, 0xf8, v116
	v_and_b32_e32 v109, 7, v113
	v_or_b32_e32 v3, v3, v113
	v_or3_b32 v2, v116, v2, v109
	v_cmp_ne_u32_e32 vcc_lo, 0, v3
	v_cndmask_b32_e32 v109, 0, v2, vcc_lo
.LBB6_3959:                             ;   in Loop: Header=BB6_3020 Depth=2
	s_or_b32 exec_lo, exec_lo, s27
.LBB6_3960:                             ;   in Loop: Header=BB6_3020 Depth=2
	s_or_b32 exec_lo, exec_lo, s26
	v_cmp_gt_i16_sdwa s26, v25, v115 src0_sel:BYTE_3 src1_sel:DWORD
	s_mov_b32 s12, 0
	s_and_saveexec_b32 s27, s26
	s_xor_b32 s26, exec_lo, s27
	s_cbranch_execz .LBB6_4486
; %bb.3961:                             ;   in Loop: Header=BB6_3020 Depth=2
	v_cmp_eq_u16_sdwa s28, v25, v119 src0_sel:BYTE_3 src1_sel:DWORD
	s_mov_b32 s12, -1
	s_and_saveexec_b32 s27, s28
; %bb.3962:                             ;   in Loop: Header=BB6_3020 Depth=2
	s_xor_b32 s12, exec_lo, -1
; %bb.3963:                             ;   in Loop: Header=BB6_3020 Depth=2
	s_or_b32 exec_lo, exec_lo, s27
	s_and_b32 s12, s12, exec_lo
	s_or_saveexec_b32 s26, s26
	v_mov_b32_e32 v2, 0x7f800001
	s_xor_b32 exec_lo, exec_lo, s26
	s_cbranch_execnz .LBB6_4487
.LBB6_3964:                             ;   in Loop: Header=BB6_3020 Depth=2
	s_or_b32 exec_lo, exec_lo, s26
	s_and_saveexec_b32 s26, s12
	s_cbranch_execz .LBB6_3966
.LBB6_3965:                             ;   in Loop: Header=BB6_3020 Depth=2
	v_bfe_u32 v2, v25, 24, 3
	v_bfe_u32 v116, v25, 27, 4
	v_ffbh_u32_e32 v3, v2
	v_cmp_eq_u32_e32 vcc_lo, 0, v116
	v_min_u32_e32 v3, 32, v3
	v_subrev_nc_u32_e32 v113, 28, v3
	v_sub_nc_u32_e32 v3, 29, v3
	v_lshlrev_b32_sdwa v113, v113, v25 dst_sel:DWORD dst_unused:UNUSED_PAD src0_sel:DWORD src1_sel:BYTE_3
	v_cndmask_b32_e32 v3, v116, v3, vcc_lo
	v_and_b32_e32 v25, 0x80000000, v25
	v_and_b32_e32 v113, 7, v113
	v_lshl_add_u32 v3, v3, 23, 0x3b800000
	v_cndmask_b32_e32 v2, v2, v113, vcc_lo
	v_lshlrev_b32_e32 v2, 20, v2
	v_or3_b32 v2, v25, v3, v2
.LBB6_3966:                             ;   in Loop: Header=BB6_3020 Depth=2
	s_or_b32 exec_lo, exec_lo, s26
	v_cmp_gt_i16_sdwa s26, v21, v115 src0_sel:BYTE_3 src1_sel:DWORD
	s_mov_b32 s12, 0
	s_and_saveexec_b32 s27, s26
	s_xor_b32 s26, exec_lo, s27
	s_cbranch_execz .LBB6_4488
; %bb.3967:                             ;   in Loop: Header=BB6_3020 Depth=2
	v_cmp_eq_u16_sdwa s28, v21, v119 src0_sel:BYTE_3 src1_sel:DWORD
	s_mov_b32 s12, -1
	s_and_saveexec_b32 s27, s28
; %bb.3968:                             ;   in Loop: Header=BB6_3020 Depth=2
	s_xor_b32 s12, exec_lo, -1
; %bb.3969:                             ;   in Loop: Header=BB6_3020 Depth=2
	s_or_b32 exec_lo, exec_lo, s27
	s_and_b32 s12, s12, exec_lo
	s_or_saveexec_b32 s26, s26
	v_mov_b32_e32 v3, 0x7f800001
	s_xor_b32 exec_lo, exec_lo, s26
	s_cbranch_execnz .LBB6_4489
.LBB6_3970:                             ;   in Loop: Header=BB6_3020 Depth=2
	s_or_b32 exec_lo, exec_lo, s26
	s_and_saveexec_b32 s26, s12
	s_cbranch_execz .LBB6_3972
.LBB6_3971:                             ;   in Loop: Header=BB6_3020 Depth=2
	v_bfe_u32 v3, v21, 24, 3
	v_bfe_u32 v116, v21, 27, 4
	v_ffbh_u32_e32 v25, v3
	v_cmp_eq_u32_e32 vcc_lo, 0, v116
	v_min_u32_e32 v25, 32, v25
	v_subrev_nc_u32_e32 v113, 28, v25
	v_sub_nc_u32_e32 v25, 29, v25
	v_lshlrev_b32_sdwa v113, v113, v21 dst_sel:DWORD dst_unused:UNUSED_PAD src0_sel:DWORD src1_sel:BYTE_3
	v_cndmask_b32_e32 v25, v116, v25, vcc_lo
	v_and_b32_e32 v21, 0x80000000, v21
	v_and_b32_e32 v113, 7, v113
	v_lshl_add_u32 v25, v25, 23, 0x3b800000
	v_cndmask_b32_e32 v3, v3, v113, vcc_lo
	v_lshlrev_b32_e32 v3, 20, v3
	v_or3_b32 v3, v21, v25, v3
.LBB6_3972:                             ;   in Loop: Header=BB6_3020 Depth=2
	s_or_b32 exec_lo, exec_lo, s26
	v_add_f32_e32 v2, v2, v3
	v_mov_b32_e32 v21, 0x8000
	s_mov_b32 s26, exec_lo
	v_and_b32_e32 v3, 0x7f800000, v2
	v_cmpx_ne_u32_e32 0x7f800000, v3
	s_cbranch_execz .LBB6_3980
; %bb.3973:                             ;   in Loop: Header=BB6_3020 Depth=2
	v_mov_b32_e32 v21, 0
	s_mov_b32 s27, exec_lo
	v_cmpx_ne_u32_e32 0, v2
	s_cbranch_execz .LBB6_3979
; %bb.3974:                             ;   in Loop: Header=BB6_3020 Depth=2
	v_bfe_u32 v3, v2, 23, 8
	v_and_b32_e32 v21, 0x7fffff, v2
	v_sub_nc_u32_e32 v25, 0x78, v3
	v_cmp_gt_u32_e32 vcc_lo, 0x79, v3
	v_or_b32_e32 v113, 0x800000, v21
	v_cndmask_b32_e32 v25, 0, v25, vcc_lo
	v_cmp_eq_u32_e32 vcc_lo, 0, v3
	v_add_nc_u32_e32 v3, 0xffffff89, v3
	v_cndmask_b32_e64 v25, v25, 0x77, vcc_lo
	v_cndmask_b32_e32 v21, v113, v21, vcc_lo
	v_cndmask_b32_e64 v3, v3, 0xffffff8a, vcc_lo
	v_lshl_add_u32 v113, 0x100000, v25, -1
	v_lshrrev_b32_e32 v116, v25, v21
	v_lshlrev_b32_e64 v111, v25, 0x80000
	v_add_nc_u32_e32 v25, v25, v3
	v_and_b32_e32 v21, v113, v21
	v_bfe_u32 v110, v116, 20, 1
	v_cmp_eq_u32_e64 s12, v21, v111
	v_add_nc_u32_e32 v113, -1, v110
	v_cndmask_b32_e64 v21, 0, v113, s12
	v_lshrrev_b32_e32 v113, 23, v116
	s_mov_b32 s12, exec_lo
	v_add_nc_u32_e32 v21, v21, v116
	v_xor_b32_e32 v113, 1, v113
	v_and_b32_e32 v3, 0xfffff, v21
	v_add_nc_u32_e32 v21, v3, v116
                                        ; implicit-def: $vgpr3
	v_cmpx_ne_u32_e64 v25, v113
	s_xor_b32 s12, exec_lo, s12
; %bb.3975:                             ;   in Loop: Header=BB6_3020 Depth=2
	v_cmp_lt_u32_e32 vcc_lo, 0xffffff, v21
	v_sub_nc_u32_e32 v3, v25, v113
	v_cndmask_b32_e64 v25, 0, 1, vcc_lo
	v_add_co_ci_u32_e64 v3, null, 0, v3, vcc_lo
	v_lshrrev_b32_e32 v21, v25, v21
; %bb.3976:                             ;   in Loop: Header=BB6_3020 Depth=2
	s_andn2_saveexec_b32 s12, s12
; %bb.3977:                             ;   in Loop: Header=BB6_3020 Depth=2
	v_bfe_u32 v3, v21, 23, 1
; %bb.3978:                             ;   in Loop: Header=BB6_3020 Depth=2
	s_or_b32 exec_lo, exec_lo, s12
	v_lshrrev_b32_e32 v21, 20, v21
	v_min_i32_e32 v25, 15, v3
	v_cmp_gt_i32_e32 vcc_lo, 16, v3
	v_and_b32_sdwa v2, v2, v119 dst_sel:DWORD dst_unused:UNUSED_PAD src0_sel:BYTE_3 src1_sel:DWORD
	v_lshlrev_b32_e32 v25, 3, v25
	v_cndmask_b32_e32 v21, 7, v21, vcc_lo
	v_and_b32_e32 v25, 0xf8, v25
	v_and_b32_e32 v113, 7, v21
	v_or_b32_e32 v3, v3, v21
	v_or3_b32 v2, v2, v25, v113
	v_cmp_ne_u32_e32 vcc_lo, 0, v3
	v_lshlrev_b32_e32 v2, 8, v2
	v_cndmask_b32_e32 v21, 0, v2, vcc_lo
.LBB6_3979:                             ;   in Loop: Header=BB6_3020 Depth=2
	s_or_b32 exec_lo, exec_lo, s27
.LBB6_3980:                             ;   in Loop: Header=BB6_3020 Depth=2
	s_or_b32 exec_lo, exec_lo, s26
	v_cmp_gt_i16_sdwa s26, v14, v115 src0_sel:BYTE_0 src1_sel:DWORD
	s_mov_b32 s12, 0
	s_and_saveexec_b32 s27, s26
	s_xor_b32 s26, exec_lo, s27
	s_cbranch_execz .LBB6_4490
; %bb.3981:                             ;   in Loop: Header=BB6_3020 Depth=2
	v_cmp_eq_u16_sdwa s28, v14, v119 src0_sel:BYTE_0 src1_sel:DWORD
	s_mov_b32 s12, -1
	s_and_saveexec_b32 s27, s28
; %bb.3982:                             ;   in Loop: Header=BB6_3020 Depth=2
	s_xor_b32 s12, exec_lo, -1
; %bb.3983:                             ;   in Loop: Header=BB6_3020 Depth=2
	s_or_b32 exec_lo, exec_lo, s27
	s_and_b32 s12, s12, exec_lo
	s_or_saveexec_b32 s26, s26
	v_mov_b32_e32 v2, 0x7f800001
	s_xor_b32 exec_lo, exec_lo, s26
	s_cbranch_execnz .LBB6_4491
.LBB6_3984:                             ;   in Loop: Header=BB6_3020 Depth=2
	s_or_b32 exec_lo, exec_lo, s26
	s_and_saveexec_b32 s26, s12
	s_cbranch_execz .LBB6_3986
.LBB6_3985:                             ;   in Loop: Header=BB6_3020 Depth=2
	v_and_b32_e32 v2, 7, v14
	v_bfe_u32 v113, v14, 3, 4
	v_lshlrev_b32_e32 v116, 24, v14
	v_ffbh_u32_e32 v3, v2
	v_cmp_eq_u32_e32 vcc_lo, 0, v113
	v_min_u32_e32 v3, 32, v3
	v_subrev_nc_u32_e32 v25, 28, v3
	v_sub_nc_u32_e32 v3, 29, v3
	v_lshlrev_b32_e32 v25, v25, v14
	v_cndmask_b32_e32 v3, v113, v3, vcc_lo
	v_and_b32_e32 v25, 7, v25
	v_lshl_add_u32 v3, v3, 23, 0x3b800000
	v_cndmask_b32_e32 v2, v2, v25, vcc_lo
	v_and_b32_e32 v25, 0x80000000, v116
	v_lshlrev_b32_e32 v2, 20, v2
	v_or3_b32 v2, v25, v3, v2
.LBB6_3986:                             ;   in Loop: Header=BB6_3020 Depth=2
	s_or_b32 exec_lo, exec_lo, s26
	s_waitcnt vmcnt(0)
	v_cmp_gt_i16_sdwa s26, v10, v115 src0_sel:BYTE_0 src1_sel:DWORD
	s_mov_b32 s12, 0
	s_and_saveexec_b32 s27, s26
	s_xor_b32 s26, exec_lo, s27
	s_cbranch_execz .LBB6_4492
; %bb.3987:                             ;   in Loop: Header=BB6_3020 Depth=2
	v_cmp_eq_u16_sdwa s28, v10, v119 src0_sel:BYTE_0 src1_sel:DWORD
	s_mov_b32 s12, -1
	s_and_saveexec_b32 s27, s28
; %bb.3988:                             ;   in Loop: Header=BB6_3020 Depth=2
	s_xor_b32 s12, exec_lo, -1
; %bb.3989:                             ;   in Loop: Header=BB6_3020 Depth=2
	s_or_b32 exec_lo, exec_lo, s27
	s_and_b32 s12, s12, exec_lo
	s_or_saveexec_b32 s26, s26
	v_mov_b32_e32 v3, 0x7f800001
	s_xor_b32 exec_lo, exec_lo, s26
	s_cbranch_execnz .LBB6_4493
.LBB6_3990:                             ;   in Loop: Header=BB6_3020 Depth=2
	s_or_b32 exec_lo, exec_lo, s26
	s_and_saveexec_b32 s26, s12
	s_cbranch_execz .LBB6_3992
.LBB6_3991:                             ;   in Loop: Header=BB6_3020 Depth=2
	v_and_b32_e32 v3, 7, v10
	v_bfe_u32 v116, v10, 3, 4
	v_lshlrev_b32_e32 v110, 24, v10
	v_ffbh_u32_e32 v25, v3
	v_cmp_eq_u32_e32 vcc_lo, 0, v116
	v_min_u32_e32 v25, 32, v25
	v_subrev_nc_u32_e32 v113, 28, v25
	v_sub_nc_u32_e32 v25, 29, v25
	v_lshlrev_b32_e32 v113, v113, v10
	v_cndmask_b32_e32 v25, v116, v25, vcc_lo
	v_and_b32_e32 v113, 7, v113
	v_lshl_add_u32 v25, v25, 23, 0x3b800000
	v_cndmask_b32_e32 v3, v3, v113, vcc_lo
	v_and_b32_e32 v113, 0x80000000, v110
	v_lshlrev_b32_e32 v3, 20, v3
	v_or3_b32 v3, v113, v25, v3
.LBB6_3992:                             ;   in Loop: Header=BB6_3020 Depth=2
	s_or_b32 exec_lo, exec_lo, s26
	v_add_f32_e32 v2, v2, v3
	v_mov_b32_e32 v25, 0x80
	s_mov_b32 s26, exec_lo
	v_and_b32_e32 v3, 0x7f800000, v2
	v_cmpx_ne_u32_e32 0x7f800000, v3
	s_cbranch_execz .LBB6_4000
; %bb.3993:                             ;   in Loop: Header=BB6_3020 Depth=2
	v_mov_b32_e32 v25, 0
	s_mov_b32 s27, exec_lo
	v_cmpx_ne_u32_e32 0, v2
	s_cbranch_execz .LBB6_3999
; %bb.3994:                             ;   in Loop: Header=BB6_3020 Depth=2
	v_bfe_u32 v3, v2, 23, 8
	v_and_b32_e32 v25, 0x7fffff, v2
	v_sub_nc_u32_e32 v113, 0x78, v3
	v_cmp_gt_u32_e32 vcc_lo, 0x79, v3
	v_or_b32_e32 v116, 0x800000, v25
	v_cndmask_b32_e32 v113, 0, v113, vcc_lo
	v_cmp_eq_u32_e32 vcc_lo, 0, v3
	v_add_nc_u32_e32 v3, 0xffffff89, v3
	v_cndmask_b32_e64 v113, v113, 0x77, vcc_lo
	v_cndmask_b32_e32 v25, v116, v25, vcc_lo
	v_cndmask_b32_e64 v3, v3, 0xffffff8a, vcc_lo
	v_lshl_add_u32 v116, 0x100000, v113, -1
	v_lshrrev_b32_e32 v110, v113, v25
	v_lshlrev_b32_e64 v120, v113, 0x80000
	v_add_nc_u32_e32 v113, v113, v3
	v_and_b32_e32 v25, v116, v25
	v_bfe_u32 v111, v110, 20, 1
	v_cmp_eq_u32_e64 s12, v25, v120
	v_add_nc_u32_e32 v116, -1, v111
	v_cndmask_b32_e64 v25, 0, v116, s12
	v_lshrrev_b32_e32 v116, 23, v110
	s_mov_b32 s12, exec_lo
	v_add_nc_u32_e32 v25, v25, v110
	v_xor_b32_e32 v116, 1, v116
	v_and_b32_e32 v3, 0xfffff, v25
	v_add_nc_u32_e32 v25, v3, v110
                                        ; implicit-def: $vgpr3
	v_cmpx_ne_u32_e64 v113, v116
	s_xor_b32 s12, exec_lo, s12
; %bb.3995:                             ;   in Loop: Header=BB6_3020 Depth=2
	v_cmp_lt_u32_e32 vcc_lo, 0xffffff, v25
	v_sub_nc_u32_e32 v3, v113, v116
	v_cndmask_b32_e64 v113, 0, 1, vcc_lo
	v_add_co_ci_u32_e64 v3, null, 0, v3, vcc_lo
	v_lshrrev_b32_e32 v25, v113, v25
; %bb.3996:                             ;   in Loop: Header=BB6_3020 Depth=2
	s_andn2_saveexec_b32 s12, s12
; %bb.3997:                             ;   in Loop: Header=BB6_3020 Depth=2
	v_bfe_u32 v3, v25, 23, 1
; %bb.3998:                             ;   in Loop: Header=BB6_3020 Depth=2
	s_or_b32 exec_lo, exec_lo, s12
	v_lshrrev_b32_e32 v25, 20, v25
	v_min_i32_e32 v113, 15, v3
	v_cmp_gt_i32_e32 vcc_lo, 16, v3
	v_and_b32_sdwa v2, v2, v119 dst_sel:DWORD dst_unused:UNUSED_PAD src0_sel:BYTE_3 src1_sel:DWORD
	v_lshlrev_b32_e32 v113, 3, v113
	v_cndmask_b32_e32 v25, 7, v25, vcc_lo
	v_and_b32_e32 v113, 0xf8, v113
	v_and_b32_e32 v116, 7, v25
	v_or_b32_e32 v3, v3, v25
	v_or3_b32 v2, v113, v2, v116
	v_cmp_ne_u32_e32 vcc_lo, 0, v3
	v_cndmask_b32_e32 v25, 0, v2, vcc_lo
.LBB6_3999:                             ;   in Loop: Header=BB6_3020 Depth=2
	s_or_b32 exec_lo, exec_lo, s27
.LBB6_4000:                             ;   in Loop: Header=BB6_3020 Depth=2
	s_or_b32 exec_lo, exec_lo, s26
	v_cmp_gt_i16_sdwa s26, v14, v115 src0_sel:BYTE_1 src1_sel:DWORD
	s_mov_b32 s12, 0
	s_and_saveexec_b32 s27, s26
	s_xor_b32 s26, exec_lo, s27
	s_cbranch_execz .LBB6_4494
; %bb.4001:                             ;   in Loop: Header=BB6_3020 Depth=2
	v_cmp_eq_u16_sdwa s28, v14, v119 src0_sel:BYTE_1 src1_sel:DWORD
	s_mov_b32 s12, -1
	s_and_saveexec_b32 s27, s28
; %bb.4002:                             ;   in Loop: Header=BB6_3020 Depth=2
	s_xor_b32 s12, exec_lo, -1
; %bb.4003:                             ;   in Loop: Header=BB6_3020 Depth=2
	s_or_b32 exec_lo, exec_lo, s27
	s_and_b32 s12, s12, exec_lo
	s_or_saveexec_b32 s26, s26
	v_mov_b32_e32 v2, 0x7f800001
	s_xor_b32 exec_lo, exec_lo, s26
	s_cbranch_execnz .LBB6_4495
.LBB6_4004:                             ;   in Loop: Header=BB6_3020 Depth=2
	s_or_b32 exec_lo, exec_lo, s26
	s_and_saveexec_b32 s26, s12
	s_cbranch_execz .LBB6_4006
.LBB6_4005:                             ;   in Loop: Header=BB6_3020 Depth=2
	v_and_b32_sdwa v2, v41, v14 dst_sel:DWORD dst_unused:UNUSED_PAD src0_sel:DWORD src1_sel:BYTE_1
	v_and_b32_e32 v3, 7, v2
	v_bfe_u32 v110, v2, 3, 4
	v_ffbh_u32_e32 v113, v3
	v_cmp_eq_u32_e32 vcc_lo, 0, v110
	v_min_u32_e32 v113, 32, v113
	v_subrev_nc_u32_e32 v116, 28, v113
	v_sub_nc_u32_e32 v113, 29, v113
	v_lshlrev_b32_e32 v2, v116, v2
	v_lshlrev_b32_sdwa v116, v47, v14 dst_sel:DWORD dst_unused:UNUSED_PAD src0_sel:DWORD src1_sel:BYTE_1
	v_cndmask_b32_e32 v113, v110, v113, vcc_lo
	v_and_b32_e32 v2, 7, v2
	v_lshl_add_u32 v113, v113, 23, 0x3b800000
	v_cndmask_b32_e32 v2, v3, v2, vcc_lo
	v_and_b32_e32 v3, 0x80000000, v116
	v_lshlrev_b32_e32 v2, 20, v2
	v_or3_b32 v2, v3, v113, v2
.LBB6_4006:                             ;   in Loop: Header=BB6_3020 Depth=2
	s_or_b32 exec_lo, exec_lo, s26
	v_cmp_gt_i16_sdwa s26, v10, v115 src0_sel:BYTE_1 src1_sel:DWORD
	s_mov_b32 s12, 0
	s_and_saveexec_b32 s27, s26
	s_xor_b32 s26, exec_lo, s27
	s_cbranch_execz .LBB6_4496
; %bb.4007:                             ;   in Loop: Header=BB6_3020 Depth=2
	v_cmp_eq_u16_sdwa s28, v10, v119 src0_sel:BYTE_1 src1_sel:DWORD
	s_mov_b32 s12, -1
	s_and_saveexec_b32 s27, s28
; %bb.4008:                             ;   in Loop: Header=BB6_3020 Depth=2
	s_xor_b32 s12, exec_lo, -1
; %bb.4009:                             ;   in Loop: Header=BB6_3020 Depth=2
	s_or_b32 exec_lo, exec_lo, s27
	s_and_b32 s12, s12, exec_lo
	s_or_saveexec_b32 s26, s26
	v_mov_b32_e32 v3, 0x7f800001
	s_xor_b32 exec_lo, exec_lo, s26
	s_cbranch_execnz .LBB6_4497
.LBB6_4010:                             ;   in Loop: Header=BB6_3020 Depth=2
	s_or_b32 exec_lo, exec_lo, s26
	s_and_saveexec_b32 s26, s12
	s_cbranch_execz .LBB6_4012
.LBB6_4011:                             ;   in Loop: Header=BB6_3020 Depth=2
	v_and_b32_sdwa v3, v41, v10 dst_sel:DWORD dst_unused:UNUSED_PAD src0_sel:DWORD src1_sel:BYTE_1
	v_and_b32_e32 v113, 7, v3
	v_bfe_u32 v111, v3, 3, 4
	v_ffbh_u32_e32 v116, v113
	v_cmp_eq_u32_e32 vcc_lo, 0, v111
	v_min_u32_e32 v116, 32, v116
	v_subrev_nc_u32_e32 v110, 28, v116
	v_sub_nc_u32_e32 v116, 29, v116
	v_lshlrev_b32_e32 v3, v110, v3
	v_lshlrev_b32_sdwa v110, v47, v10 dst_sel:DWORD dst_unused:UNUSED_PAD src0_sel:DWORD src1_sel:BYTE_1
	v_cndmask_b32_e32 v116, v111, v116, vcc_lo
	v_and_b32_e32 v3, 7, v3
	v_lshl_add_u32 v116, v116, 23, 0x3b800000
	v_cndmask_b32_e32 v3, v113, v3, vcc_lo
	v_and_b32_e32 v113, 0x80000000, v110
	v_lshlrev_b32_e32 v3, 20, v3
	v_or3_b32 v3, v113, v116, v3
.LBB6_4012:                             ;   in Loop: Header=BB6_3020 Depth=2
	s_or_b32 exec_lo, exec_lo, s26
	v_add_f32_e32 v2, v2, v3
	v_mov_b32_e32 v110, 0x8000
	s_mov_b32 s26, exec_lo
	v_and_b32_e32 v3, 0x7f800000, v2
	v_cmpx_ne_u32_e32 0x7f800000, v3
	s_cbranch_execz .LBB6_4020
; %bb.4013:                             ;   in Loop: Header=BB6_3020 Depth=2
	v_mov_b32_e32 v110, 0
	s_mov_b32 s27, exec_lo
	v_cmpx_ne_u32_e32 0, v2
	s_cbranch_execz .LBB6_4019
; %bb.4014:                             ;   in Loop: Header=BB6_3020 Depth=2
	v_bfe_u32 v3, v2, 23, 8
	v_and_b32_e32 v113, 0x7fffff, v2
	v_sub_nc_u32_e32 v116, 0x78, v3
	v_cmp_gt_u32_e32 vcc_lo, 0x79, v3
	v_or_b32_e32 v110, 0x800000, v113
	v_cndmask_b32_e32 v116, 0, v116, vcc_lo
	v_cmp_eq_u32_e32 vcc_lo, 0, v3
	v_add_nc_u32_e32 v3, 0xffffff89, v3
	v_cndmask_b32_e64 v116, v116, 0x77, vcc_lo
	v_cndmask_b32_e32 v113, v110, v113, vcc_lo
	v_cndmask_b32_e64 v3, v3, 0xffffff8a, vcc_lo
	v_lshl_add_u32 v110, 0x100000, v116, -1
	v_lshrrev_b32_e32 v111, v116, v113
	v_lshlrev_b32_e64 v121, v116, 0x80000
	v_add_nc_u32_e32 v116, v116, v3
	v_and_b32_e32 v113, v110, v113
	v_bfe_u32 v120, v111, 20, 1
	v_cmp_eq_u32_e64 s12, v113, v121
	v_add_nc_u32_e32 v110, -1, v120
	v_cndmask_b32_e64 v113, 0, v110, s12
	v_lshrrev_b32_e32 v110, 23, v111
	s_mov_b32 s12, exec_lo
	v_add_nc_u32_e32 v113, v113, v111
	v_xor_b32_e32 v110, 1, v110
	v_and_b32_e32 v3, 0xfffff, v113
	v_add_nc_u32_e32 v113, v3, v111
                                        ; implicit-def: $vgpr3
	v_cmpx_ne_u32_e64 v116, v110
	s_xor_b32 s12, exec_lo, s12
; %bb.4015:                             ;   in Loop: Header=BB6_3020 Depth=2
	v_cmp_lt_u32_e32 vcc_lo, 0xffffff, v113
	v_sub_nc_u32_e32 v3, v116, v110
	v_cndmask_b32_e64 v116, 0, 1, vcc_lo
	v_add_co_ci_u32_e64 v3, null, 0, v3, vcc_lo
	v_lshrrev_b32_e32 v113, v116, v113
; %bb.4016:                             ;   in Loop: Header=BB6_3020 Depth=2
	s_andn2_saveexec_b32 s12, s12
; %bb.4017:                             ;   in Loop: Header=BB6_3020 Depth=2
	v_bfe_u32 v3, v113, 23, 1
; %bb.4018:                             ;   in Loop: Header=BB6_3020 Depth=2
	s_or_b32 exec_lo, exec_lo, s12
	v_lshrrev_b32_e32 v113, 20, v113
	v_min_i32_e32 v116, 15, v3
	v_cmp_gt_i32_e32 vcc_lo, 16, v3
	v_and_b32_sdwa v2, v2, v119 dst_sel:DWORD dst_unused:UNUSED_PAD src0_sel:BYTE_3 src1_sel:DWORD
	v_lshlrev_b32_e32 v116, 3, v116
	v_cndmask_b32_e32 v113, 7, v113, vcc_lo
	v_and_b32_e32 v116, 0xf8, v116
	v_and_b32_e32 v110, 7, v113
	v_or_b32_e32 v3, v3, v113
	v_or3_b32 v2, v2, v116, v110
	v_cmp_ne_u32_e32 vcc_lo, 0, v3
	v_lshlrev_b32_e32 v2, 8, v2
	v_cndmask_b32_e32 v110, 0, v2, vcc_lo
.LBB6_4019:                             ;   in Loop: Header=BB6_3020 Depth=2
	s_or_b32 exec_lo, exec_lo, s27
.LBB6_4020:                             ;   in Loop: Header=BB6_3020 Depth=2
	s_or_b32 exec_lo, exec_lo, s26
	v_and_b32_sdwa v3, v14, v56 dst_sel:DWORD dst_unused:UNUSED_PAD src0_sel:WORD_1 src1_sel:DWORD
	s_mov_b32 s12, 0
	s_mov_b32 s26, exec_lo
	v_cmpx_lt_i16_e32 0x7f, v3
	s_xor_b32 s26, exec_lo, s26
	s_cbranch_execz .LBB6_4498
; %bb.4021:                             ;   in Loop: Header=BB6_3020 Depth=2
	s_mov_b32 s12, -1
	s_mov_b32 s27, exec_lo
	v_cmpx_eq_u16_e32 0x80, v3
; %bb.4022:                             ;   in Loop: Header=BB6_3020 Depth=2
	s_xor_b32 s12, exec_lo, -1
; %bb.4023:                             ;   in Loop: Header=BB6_3020 Depth=2
	s_or_b32 exec_lo, exec_lo, s27
	s_and_b32 s12, s12, exec_lo
                                        ; implicit-def: $vgpr3
	s_or_saveexec_b32 s26, s26
	v_mov_b32_e32 v2, 0x7f800001
	s_xor_b32 exec_lo, exec_lo, s26
	s_cbranch_execnz .LBB6_4499
.LBB6_4024:                             ;   in Loop: Header=BB6_3020 Depth=2
	s_or_b32 exec_lo, exec_lo, s26
	s_and_saveexec_b32 s26, s12
	s_cbranch_execz .LBB6_4026
.LBB6_4025:                             ;   in Loop: Header=BB6_3020 Depth=2
	v_bfe_u32 v2, v14, 16, 3
	v_bfe_u32 v116, v14, 19, 4
	v_lshlrev_b32_e32 v111, 8, v14
	v_ffbh_u32_e32 v3, v2
	v_cmp_eq_u32_e32 vcc_lo, 0, v116
	v_min_u32_e32 v3, 32, v3
	v_subrev_nc_u32_e32 v113, 28, v3
	v_sub_nc_u32_e32 v3, 29, v3
	v_lshlrev_b32_sdwa v113, v113, v14 dst_sel:DWORD dst_unused:UNUSED_PAD src0_sel:DWORD src1_sel:WORD_1
	v_cndmask_b32_e32 v3, v116, v3, vcc_lo
	v_and_b32_e32 v113, 7, v113
	v_lshl_add_u32 v3, v3, 23, 0x3b800000
	v_cndmask_b32_e32 v2, v2, v113, vcc_lo
	v_and_b32_e32 v113, 0x80000000, v111
	v_lshlrev_b32_e32 v2, 20, v2
	v_or3_b32 v2, v113, v3, v2
.LBB6_4026:                             ;   in Loop: Header=BB6_3020 Depth=2
	s_or_b32 exec_lo, exec_lo, s26
	v_and_b32_sdwa v113, v10, v56 dst_sel:DWORD dst_unused:UNUSED_PAD src0_sel:WORD_1 src1_sel:DWORD
	s_mov_b32 s12, 0
	s_mov_b32 s26, exec_lo
	v_cmpx_lt_i16_e32 0x7f, v113
	s_xor_b32 s26, exec_lo, s26
	s_cbranch_execz .LBB6_4500
; %bb.4027:                             ;   in Loop: Header=BB6_3020 Depth=2
	s_mov_b32 s12, -1
	s_mov_b32 s27, exec_lo
	v_cmpx_eq_u16_e32 0x80, v113
; %bb.4028:                             ;   in Loop: Header=BB6_3020 Depth=2
	s_xor_b32 s12, exec_lo, -1
; %bb.4029:                             ;   in Loop: Header=BB6_3020 Depth=2
	s_or_b32 exec_lo, exec_lo, s27
	s_and_b32 s12, s12, exec_lo
                                        ; implicit-def: $vgpr113
	s_or_saveexec_b32 s26, s26
	v_mov_b32_e32 v3, 0x7f800001
	s_xor_b32 exec_lo, exec_lo, s26
	s_cbranch_execnz .LBB6_4501
.LBB6_4030:                             ;   in Loop: Header=BB6_3020 Depth=2
	s_or_b32 exec_lo, exec_lo, s26
	s_and_saveexec_b32 s26, s12
	s_cbranch_execz .LBB6_4032
.LBB6_4031:                             ;   in Loop: Header=BB6_3020 Depth=2
	v_bfe_u32 v3, v10, 16, 3
	v_bfe_u32 v111, v10, 19, 4
	v_lshlrev_b32_e32 v120, 8, v10
	v_ffbh_u32_e32 v113, v3
	v_cmp_eq_u32_e32 vcc_lo, 0, v111
	v_min_u32_e32 v113, 32, v113
	v_subrev_nc_u32_e32 v116, 28, v113
	v_sub_nc_u32_e32 v113, 29, v113
	v_lshlrev_b32_sdwa v116, v116, v10 dst_sel:DWORD dst_unused:UNUSED_PAD src0_sel:DWORD src1_sel:WORD_1
	v_cndmask_b32_e32 v113, v111, v113, vcc_lo
	v_and_b32_e32 v116, 7, v116
	v_lshl_add_u32 v113, v113, 23, 0x3b800000
	v_cndmask_b32_e32 v3, v3, v116, vcc_lo
	v_and_b32_e32 v116, 0x80000000, v120
	v_lshlrev_b32_e32 v3, 20, v3
	v_or3_b32 v3, v116, v113, v3
.LBB6_4032:                             ;   in Loop: Header=BB6_3020 Depth=2
	s_or_b32 exec_lo, exec_lo, s26
	v_add_f32_e32 v2, v2, v3
	v_mov_b32_e32 v111, 0x80
	s_mov_b32 s26, exec_lo
	v_and_b32_e32 v3, 0x7f800000, v2
	v_cmpx_ne_u32_e32 0x7f800000, v3
	s_cbranch_execz .LBB6_4040
; %bb.4033:                             ;   in Loop: Header=BB6_3020 Depth=2
	v_mov_b32_e32 v111, 0
	s_mov_b32 s27, exec_lo
	v_cmpx_ne_u32_e32 0, v2
	s_cbranch_execz .LBB6_4039
; %bb.4034:                             ;   in Loop: Header=BB6_3020 Depth=2
	v_bfe_u32 v3, v2, 23, 8
	v_and_b32_e32 v113, 0x7fffff, v2
	v_sub_nc_u32_e32 v116, 0x78, v3
	v_cmp_gt_u32_e32 vcc_lo, 0x79, v3
	v_or_b32_e32 v111, 0x800000, v113
	v_cndmask_b32_e32 v116, 0, v116, vcc_lo
	v_cmp_eq_u32_e32 vcc_lo, 0, v3
	v_add_nc_u32_e32 v3, 0xffffff89, v3
	v_cndmask_b32_e64 v116, v116, 0x77, vcc_lo
	v_cndmask_b32_e32 v113, v111, v113, vcc_lo
	v_cndmask_b32_e64 v3, v3, 0xffffff8a, vcc_lo
	v_lshl_add_u32 v111, 0x100000, v116, -1
	v_lshrrev_b32_e32 v120, v116, v113
	v_lshlrev_b32_e64 v122, v116, 0x80000
	v_add_nc_u32_e32 v116, v116, v3
	v_and_b32_e32 v113, v111, v113
	v_bfe_u32 v121, v120, 20, 1
	v_cmp_eq_u32_e64 s12, v113, v122
	v_add_nc_u32_e32 v111, -1, v121
	v_cndmask_b32_e64 v113, 0, v111, s12
	v_lshrrev_b32_e32 v111, 23, v120
	s_mov_b32 s12, exec_lo
	v_add_nc_u32_e32 v113, v113, v120
	v_xor_b32_e32 v111, 1, v111
	v_and_b32_e32 v3, 0xfffff, v113
	v_add_nc_u32_e32 v113, v3, v120
                                        ; implicit-def: $vgpr3
	v_cmpx_ne_u32_e64 v116, v111
	s_xor_b32 s12, exec_lo, s12
; %bb.4035:                             ;   in Loop: Header=BB6_3020 Depth=2
	v_cmp_lt_u32_e32 vcc_lo, 0xffffff, v113
	v_sub_nc_u32_e32 v3, v116, v111
	v_cndmask_b32_e64 v116, 0, 1, vcc_lo
	v_add_co_ci_u32_e64 v3, null, 0, v3, vcc_lo
	v_lshrrev_b32_e32 v113, v116, v113
; %bb.4036:                             ;   in Loop: Header=BB6_3020 Depth=2
	s_andn2_saveexec_b32 s12, s12
; %bb.4037:                             ;   in Loop: Header=BB6_3020 Depth=2
	v_bfe_u32 v3, v113, 23, 1
; %bb.4038:                             ;   in Loop: Header=BB6_3020 Depth=2
	s_or_b32 exec_lo, exec_lo, s12
	v_lshrrev_b32_e32 v113, 20, v113
	v_min_i32_e32 v116, 15, v3
	v_cmp_gt_i32_e32 vcc_lo, 16, v3
	v_and_b32_sdwa v2, v2, v119 dst_sel:DWORD dst_unused:UNUSED_PAD src0_sel:BYTE_3 src1_sel:DWORD
	v_lshlrev_b32_e32 v116, 3, v116
	v_cndmask_b32_e32 v113, 7, v113, vcc_lo
	v_and_b32_e32 v116, 0xf8, v116
	v_and_b32_e32 v111, 7, v113
	v_or_b32_e32 v3, v3, v113
	v_or3_b32 v2, v116, v2, v111
	v_cmp_ne_u32_e32 vcc_lo, 0, v3
	v_cndmask_b32_e32 v111, 0, v2, vcc_lo
.LBB6_4039:                             ;   in Loop: Header=BB6_3020 Depth=2
	s_or_b32 exec_lo, exec_lo, s27
.LBB6_4040:                             ;   in Loop: Header=BB6_3020 Depth=2
	s_or_b32 exec_lo, exec_lo, s26
	v_cmp_gt_i16_sdwa s26, v14, v115 src0_sel:BYTE_3 src1_sel:DWORD
	s_mov_b32 s12, 0
	s_and_saveexec_b32 s27, s26
	s_xor_b32 s26, exec_lo, s27
	s_cbranch_execz .LBB6_4502
; %bb.4041:                             ;   in Loop: Header=BB6_3020 Depth=2
	v_cmp_eq_u16_sdwa s28, v14, v119 src0_sel:BYTE_3 src1_sel:DWORD
	s_mov_b32 s12, -1
	s_and_saveexec_b32 s27, s28
; %bb.4042:                             ;   in Loop: Header=BB6_3020 Depth=2
	s_xor_b32 s12, exec_lo, -1
; %bb.4043:                             ;   in Loop: Header=BB6_3020 Depth=2
	s_or_b32 exec_lo, exec_lo, s27
	s_and_b32 s12, s12, exec_lo
	s_or_saveexec_b32 s26, s26
	v_mov_b32_e32 v2, 0x7f800001
	s_xor_b32 exec_lo, exec_lo, s26
	s_cbranch_execnz .LBB6_4503
.LBB6_4044:                             ;   in Loop: Header=BB6_3020 Depth=2
	s_or_b32 exec_lo, exec_lo, s26
	s_and_saveexec_b32 s26, s12
	s_cbranch_execz .LBB6_4046
.LBB6_4045:                             ;   in Loop: Header=BB6_3020 Depth=2
	v_bfe_u32 v2, v14, 24, 3
	v_bfe_u32 v116, v14, 27, 4
	v_ffbh_u32_e32 v3, v2
	v_cmp_eq_u32_e32 vcc_lo, 0, v116
	v_min_u32_e32 v3, 32, v3
	v_subrev_nc_u32_e32 v113, 28, v3
	v_sub_nc_u32_e32 v3, 29, v3
	v_lshlrev_b32_sdwa v113, v113, v14 dst_sel:DWORD dst_unused:UNUSED_PAD src0_sel:DWORD src1_sel:BYTE_3
	v_cndmask_b32_e32 v3, v116, v3, vcc_lo
	v_and_b32_e32 v14, 0x80000000, v14
	v_and_b32_e32 v113, 7, v113
	v_lshl_add_u32 v3, v3, 23, 0x3b800000
	v_cndmask_b32_e32 v2, v2, v113, vcc_lo
	v_lshlrev_b32_e32 v2, 20, v2
	v_or3_b32 v2, v14, v3, v2
.LBB6_4046:                             ;   in Loop: Header=BB6_3020 Depth=2
	s_or_b32 exec_lo, exec_lo, s26
	v_cmp_gt_i16_sdwa s26, v10, v115 src0_sel:BYTE_3 src1_sel:DWORD
	s_mov_b32 s12, 0
	s_and_saveexec_b32 s27, s26
	s_xor_b32 s26, exec_lo, s27
	s_cbranch_execz .LBB6_4504
; %bb.4047:                             ;   in Loop: Header=BB6_3020 Depth=2
	v_cmp_eq_u16_sdwa s28, v10, v119 src0_sel:BYTE_3 src1_sel:DWORD
	s_mov_b32 s12, -1
	s_and_saveexec_b32 s27, s28
; %bb.4048:                             ;   in Loop: Header=BB6_3020 Depth=2
	s_xor_b32 s12, exec_lo, -1
; %bb.4049:                             ;   in Loop: Header=BB6_3020 Depth=2
	s_or_b32 exec_lo, exec_lo, s27
	s_and_b32 s12, s12, exec_lo
	s_or_saveexec_b32 s26, s26
	v_mov_b32_e32 v3, 0x7f800001
	s_xor_b32 exec_lo, exec_lo, s26
	s_cbranch_execnz .LBB6_4505
.LBB6_4050:                             ;   in Loop: Header=BB6_3020 Depth=2
	s_or_b32 exec_lo, exec_lo, s26
	s_and_saveexec_b32 s26, s12
	s_cbranch_execz .LBB6_4052
.LBB6_4051:                             ;   in Loop: Header=BB6_3020 Depth=2
	v_bfe_u32 v3, v10, 24, 3
	v_bfe_u32 v116, v10, 27, 4
	v_ffbh_u32_e32 v14, v3
	v_cmp_eq_u32_e32 vcc_lo, 0, v116
	v_min_u32_e32 v14, 32, v14
	v_subrev_nc_u32_e32 v113, 28, v14
	v_sub_nc_u32_e32 v14, 29, v14
	v_lshlrev_b32_sdwa v113, v113, v10 dst_sel:DWORD dst_unused:UNUSED_PAD src0_sel:DWORD src1_sel:BYTE_3
	v_cndmask_b32_e32 v14, v116, v14, vcc_lo
	v_and_b32_e32 v10, 0x80000000, v10
	v_and_b32_e32 v113, 7, v113
	v_lshl_add_u32 v14, v14, 23, 0x3b800000
	v_cndmask_b32_e32 v3, v3, v113, vcc_lo
	v_lshlrev_b32_e32 v3, 20, v3
	v_or3_b32 v3, v10, v14, v3
.LBB6_4052:                             ;   in Loop: Header=BB6_3020 Depth=2
	s_or_b32 exec_lo, exec_lo, s26
	v_add_f32_e32 v2, v2, v3
	v_mov_b32_e32 v10, 0x8000
	s_mov_b32 s26, exec_lo
	v_and_b32_e32 v3, 0x7f800000, v2
	v_cmpx_ne_u32_e32 0x7f800000, v3
	s_cbranch_execz .LBB6_4060
; %bb.4053:                             ;   in Loop: Header=BB6_3020 Depth=2
	v_mov_b32_e32 v10, 0
	s_mov_b32 s27, exec_lo
	v_cmpx_ne_u32_e32 0, v2
	s_cbranch_execz .LBB6_4059
; %bb.4054:                             ;   in Loop: Header=BB6_3020 Depth=2
	v_bfe_u32 v3, v2, 23, 8
	v_and_b32_e32 v10, 0x7fffff, v2
	v_sub_nc_u32_e32 v14, 0x78, v3
	v_cmp_gt_u32_e32 vcc_lo, 0x79, v3
	v_or_b32_e32 v113, 0x800000, v10
	v_cndmask_b32_e32 v14, 0, v14, vcc_lo
	v_cmp_eq_u32_e32 vcc_lo, 0, v3
	v_add_nc_u32_e32 v3, 0xffffff89, v3
	v_cndmask_b32_e64 v14, v14, 0x77, vcc_lo
	v_cndmask_b32_e32 v10, v113, v10, vcc_lo
	v_cndmask_b32_e64 v3, v3, 0xffffff8a, vcc_lo
	v_lshl_add_u32 v113, 0x100000, v14, -1
	v_lshrrev_b32_e32 v116, v14, v10
	v_lshlrev_b32_e64 v121, v14, 0x80000
	v_add_nc_u32_e32 v14, v14, v3
	v_and_b32_e32 v10, v113, v10
	v_bfe_u32 v120, v116, 20, 1
	v_cmp_eq_u32_e64 s12, v10, v121
	v_add_nc_u32_e32 v113, -1, v120
	v_cndmask_b32_e64 v10, 0, v113, s12
	v_lshrrev_b32_e32 v113, 23, v116
	s_mov_b32 s12, exec_lo
	v_add_nc_u32_e32 v10, v10, v116
	v_xor_b32_e32 v113, 1, v113
	v_and_b32_e32 v3, 0xfffff, v10
	v_add_nc_u32_e32 v10, v3, v116
                                        ; implicit-def: $vgpr3
	v_cmpx_ne_u32_e64 v14, v113
	s_xor_b32 s12, exec_lo, s12
; %bb.4055:                             ;   in Loop: Header=BB6_3020 Depth=2
	v_cmp_lt_u32_e32 vcc_lo, 0xffffff, v10
	v_sub_nc_u32_e32 v3, v14, v113
	v_cndmask_b32_e64 v14, 0, 1, vcc_lo
	v_add_co_ci_u32_e64 v3, null, 0, v3, vcc_lo
	v_lshrrev_b32_e32 v10, v14, v10
; %bb.4056:                             ;   in Loop: Header=BB6_3020 Depth=2
	s_andn2_saveexec_b32 s12, s12
; %bb.4057:                             ;   in Loop: Header=BB6_3020 Depth=2
	v_bfe_u32 v3, v10, 23, 1
; %bb.4058:                             ;   in Loop: Header=BB6_3020 Depth=2
	s_or_b32 exec_lo, exec_lo, s12
	v_lshrrev_b32_e32 v10, 20, v10
	v_min_i32_e32 v14, 15, v3
	v_cmp_gt_i32_e32 vcc_lo, 16, v3
	v_and_b32_sdwa v2, v2, v119 dst_sel:DWORD dst_unused:UNUSED_PAD src0_sel:BYTE_3 src1_sel:DWORD
	v_lshlrev_b32_e32 v14, 3, v14
	v_cndmask_b32_e32 v10, 7, v10, vcc_lo
	v_and_b32_e32 v14, 0xf8, v14
	v_and_b32_e32 v113, 7, v10
	v_or_b32_e32 v3, v3, v10
	v_or3_b32 v2, v2, v14, v113
	v_cmp_ne_u32_e32 vcc_lo, 0, v3
	v_lshlrev_b32_e32 v2, 8, v2
	v_cndmask_b32_e32 v10, 0, v2, vcc_lo
.LBB6_4059:                             ;   in Loop: Header=BB6_3020 Depth=2
	s_or_b32 exec_lo, exec_lo, s27
.LBB6_4060:                             ;   in Loop: Header=BB6_3020 Depth=2
	s_or_b32 exec_lo, exec_lo, s26
	v_cmp_gt_i16_sdwa s26, v15, v115 src0_sel:BYTE_0 src1_sel:DWORD
	s_mov_b32 s12, 0
	s_and_saveexec_b32 s27, s26
	s_xor_b32 s26, exec_lo, s27
	s_cbranch_execz .LBB6_4506
; %bb.4061:                             ;   in Loop: Header=BB6_3020 Depth=2
	v_cmp_eq_u16_sdwa s28, v15, v119 src0_sel:BYTE_0 src1_sel:DWORD
	s_mov_b32 s12, -1
	s_and_saveexec_b32 s27, s28
; %bb.4062:                             ;   in Loop: Header=BB6_3020 Depth=2
	s_xor_b32 s12, exec_lo, -1
; %bb.4063:                             ;   in Loop: Header=BB6_3020 Depth=2
	s_or_b32 exec_lo, exec_lo, s27
	s_and_b32 s12, s12, exec_lo
	s_or_saveexec_b32 s26, s26
	v_mov_b32_e32 v2, 0x7f800001
	s_xor_b32 exec_lo, exec_lo, s26
	s_cbranch_execnz .LBB6_4507
.LBB6_4064:                             ;   in Loop: Header=BB6_3020 Depth=2
	s_or_b32 exec_lo, exec_lo, s26
	s_and_saveexec_b32 s26, s12
	s_cbranch_execz .LBB6_4066
.LBB6_4065:                             ;   in Loop: Header=BB6_3020 Depth=2
	v_and_b32_e32 v2, 7, v15
	v_bfe_u32 v113, v15, 3, 4
	v_lshlrev_b32_e32 v116, 24, v15
	v_ffbh_u32_e32 v3, v2
	v_cmp_eq_u32_e32 vcc_lo, 0, v113
	v_min_u32_e32 v3, 32, v3
	v_subrev_nc_u32_e32 v14, 28, v3
	v_sub_nc_u32_e32 v3, 29, v3
	v_lshlrev_b32_e32 v14, v14, v15
	v_cndmask_b32_e32 v3, v113, v3, vcc_lo
	v_and_b32_e32 v14, 7, v14
	v_lshl_add_u32 v3, v3, 23, 0x3b800000
	v_cndmask_b32_e32 v2, v2, v14, vcc_lo
	v_and_b32_e32 v14, 0x80000000, v116
	v_lshlrev_b32_e32 v2, 20, v2
	v_or3_b32 v2, v14, v3, v2
.LBB6_4066:                             ;   in Loop: Header=BB6_3020 Depth=2
	s_or_b32 exec_lo, exec_lo, s26
	v_cmp_gt_i16_sdwa s26, v11, v115 src0_sel:BYTE_0 src1_sel:DWORD
	s_mov_b32 s12, 0
	s_and_saveexec_b32 s27, s26
	s_xor_b32 s26, exec_lo, s27
	s_cbranch_execz .LBB6_4508
; %bb.4067:                             ;   in Loop: Header=BB6_3020 Depth=2
	v_cmp_eq_u16_sdwa s28, v11, v119 src0_sel:BYTE_0 src1_sel:DWORD
	s_mov_b32 s12, -1
	s_and_saveexec_b32 s27, s28
; %bb.4068:                             ;   in Loop: Header=BB6_3020 Depth=2
	s_xor_b32 s12, exec_lo, -1
; %bb.4069:                             ;   in Loop: Header=BB6_3020 Depth=2
	s_or_b32 exec_lo, exec_lo, s27
	s_and_b32 s12, s12, exec_lo
	s_or_saveexec_b32 s26, s26
	v_mov_b32_e32 v3, 0x7f800001
	s_xor_b32 exec_lo, exec_lo, s26
	s_cbranch_execnz .LBB6_4509
.LBB6_4070:                             ;   in Loop: Header=BB6_3020 Depth=2
	s_or_b32 exec_lo, exec_lo, s26
	s_and_saveexec_b32 s26, s12
	s_cbranch_execz .LBB6_4072
.LBB6_4071:                             ;   in Loop: Header=BB6_3020 Depth=2
	v_and_b32_e32 v3, 7, v11
	v_bfe_u32 v116, v11, 3, 4
	v_lshlrev_b32_e32 v120, 24, v11
	v_ffbh_u32_e32 v14, v3
	v_cmp_eq_u32_e32 vcc_lo, 0, v116
	v_min_u32_e32 v14, 32, v14
	v_subrev_nc_u32_e32 v113, 28, v14
	v_sub_nc_u32_e32 v14, 29, v14
	v_lshlrev_b32_e32 v113, v113, v11
	v_cndmask_b32_e32 v14, v116, v14, vcc_lo
	v_and_b32_e32 v113, 7, v113
	v_lshl_add_u32 v14, v14, 23, 0x3b800000
	v_cndmask_b32_e32 v3, v3, v113, vcc_lo
	v_and_b32_e32 v113, 0x80000000, v120
	v_lshlrev_b32_e32 v3, 20, v3
	v_or3_b32 v3, v113, v14, v3
.LBB6_4072:                             ;   in Loop: Header=BB6_3020 Depth=2
	s_or_b32 exec_lo, exec_lo, s26
	v_add_f32_e32 v2, v2, v3
	v_mov_b32_e32 v14, 0x80
	s_mov_b32 s26, exec_lo
	v_and_b32_e32 v3, 0x7f800000, v2
	v_cmpx_ne_u32_e32 0x7f800000, v3
	s_cbranch_execz .LBB6_4080
; %bb.4073:                             ;   in Loop: Header=BB6_3020 Depth=2
	v_mov_b32_e32 v14, 0
	s_mov_b32 s27, exec_lo
	v_cmpx_ne_u32_e32 0, v2
	s_cbranch_execz .LBB6_4079
; %bb.4074:                             ;   in Loop: Header=BB6_3020 Depth=2
	v_bfe_u32 v3, v2, 23, 8
	v_and_b32_e32 v14, 0x7fffff, v2
	v_sub_nc_u32_e32 v113, 0x78, v3
	v_cmp_gt_u32_e32 vcc_lo, 0x79, v3
	v_or_b32_e32 v116, 0x800000, v14
	v_cndmask_b32_e32 v113, 0, v113, vcc_lo
	v_cmp_eq_u32_e32 vcc_lo, 0, v3
	v_add_nc_u32_e32 v3, 0xffffff89, v3
	v_cndmask_b32_e64 v113, v113, 0x77, vcc_lo
	v_cndmask_b32_e32 v14, v116, v14, vcc_lo
	v_cndmask_b32_e64 v3, v3, 0xffffff8a, vcc_lo
	v_lshl_add_u32 v116, 0x100000, v113, -1
	v_lshrrev_b32_e32 v120, v113, v14
	v_lshlrev_b32_e64 v122, v113, 0x80000
	v_add_nc_u32_e32 v113, v113, v3
	v_and_b32_e32 v14, v116, v14
	v_bfe_u32 v121, v120, 20, 1
	v_cmp_eq_u32_e64 s12, v14, v122
	v_add_nc_u32_e32 v116, -1, v121
	v_cndmask_b32_e64 v14, 0, v116, s12
	v_lshrrev_b32_e32 v116, 23, v120
	s_mov_b32 s12, exec_lo
	v_add_nc_u32_e32 v14, v14, v120
	v_xor_b32_e32 v116, 1, v116
	v_and_b32_e32 v3, 0xfffff, v14
	v_add_nc_u32_e32 v14, v3, v120
                                        ; implicit-def: $vgpr3
	v_cmpx_ne_u32_e64 v113, v116
	s_xor_b32 s12, exec_lo, s12
; %bb.4075:                             ;   in Loop: Header=BB6_3020 Depth=2
	v_cmp_lt_u32_e32 vcc_lo, 0xffffff, v14
	v_sub_nc_u32_e32 v3, v113, v116
	v_cndmask_b32_e64 v113, 0, 1, vcc_lo
	v_add_co_ci_u32_e64 v3, null, 0, v3, vcc_lo
	v_lshrrev_b32_e32 v14, v113, v14
; %bb.4076:                             ;   in Loop: Header=BB6_3020 Depth=2
	s_andn2_saveexec_b32 s12, s12
; %bb.4077:                             ;   in Loop: Header=BB6_3020 Depth=2
	v_bfe_u32 v3, v14, 23, 1
; %bb.4078:                             ;   in Loop: Header=BB6_3020 Depth=2
	s_or_b32 exec_lo, exec_lo, s12
	v_lshrrev_b32_e32 v14, 20, v14
	v_min_i32_e32 v113, 15, v3
	v_cmp_gt_i32_e32 vcc_lo, 16, v3
	v_and_b32_sdwa v2, v2, v119 dst_sel:DWORD dst_unused:UNUSED_PAD src0_sel:BYTE_3 src1_sel:DWORD
	v_lshlrev_b32_e32 v113, 3, v113
	v_cndmask_b32_e32 v14, 7, v14, vcc_lo
	v_and_b32_e32 v113, 0xf8, v113
	v_and_b32_e32 v116, 7, v14
	v_or_b32_e32 v3, v3, v14
	v_or3_b32 v2, v113, v2, v116
	v_cmp_ne_u32_e32 vcc_lo, 0, v3
	v_cndmask_b32_e32 v14, 0, v2, vcc_lo
.LBB6_4079:                             ;   in Loop: Header=BB6_3020 Depth=2
	s_or_b32 exec_lo, exec_lo, s27
.LBB6_4080:                             ;   in Loop: Header=BB6_3020 Depth=2
	s_or_b32 exec_lo, exec_lo, s26
	v_cmp_gt_i16_sdwa s26, v15, v115 src0_sel:BYTE_1 src1_sel:DWORD
	s_mov_b32 s12, 0
	s_and_saveexec_b32 s27, s26
	s_xor_b32 s26, exec_lo, s27
	s_cbranch_execz .LBB6_4510
; %bb.4081:                             ;   in Loop: Header=BB6_3020 Depth=2
	v_cmp_eq_u16_sdwa s28, v15, v119 src0_sel:BYTE_1 src1_sel:DWORD
	s_mov_b32 s12, -1
	s_and_saveexec_b32 s27, s28
; %bb.4082:                             ;   in Loop: Header=BB6_3020 Depth=2
	s_xor_b32 s12, exec_lo, -1
; %bb.4083:                             ;   in Loop: Header=BB6_3020 Depth=2
	s_or_b32 exec_lo, exec_lo, s27
	s_and_b32 s12, s12, exec_lo
	s_or_saveexec_b32 s26, s26
	v_mov_b32_e32 v2, 0x7f800001
	s_xor_b32 exec_lo, exec_lo, s26
	s_cbranch_execnz .LBB6_4511
.LBB6_4084:                             ;   in Loop: Header=BB6_3020 Depth=2
	s_or_b32 exec_lo, exec_lo, s26
	s_and_saveexec_b32 s26, s12
	s_cbranch_execz .LBB6_4086
.LBB6_4085:                             ;   in Loop: Header=BB6_3020 Depth=2
	v_and_b32_sdwa v2, v41, v15 dst_sel:DWORD dst_unused:UNUSED_PAD src0_sel:DWORD src1_sel:BYTE_1
	v_and_b32_e32 v3, 7, v2
	v_bfe_u32 v120, v2, 3, 4
	v_ffbh_u32_e32 v113, v3
	v_cmp_eq_u32_e32 vcc_lo, 0, v120
	v_min_u32_e32 v113, 32, v113
	v_subrev_nc_u32_e32 v116, 28, v113
	v_sub_nc_u32_e32 v113, 29, v113
	v_lshlrev_b32_e32 v2, v116, v2
	v_lshlrev_b32_sdwa v116, v47, v15 dst_sel:DWORD dst_unused:UNUSED_PAD src0_sel:DWORD src1_sel:BYTE_1
	v_cndmask_b32_e32 v113, v120, v113, vcc_lo
	v_and_b32_e32 v2, 7, v2
	v_lshl_add_u32 v113, v113, 23, 0x3b800000
	v_cndmask_b32_e32 v2, v3, v2, vcc_lo
	v_and_b32_e32 v3, 0x80000000, v116
	v_lshlrev_b32_e32 v2, 20, v2
	v_or3_b32 v2, v3, v113, v2
.LBB6_4086:                             ;   in Loop: Header=BB6_3020 Depth=2
	s_or_b32 exec_lo, exec_lo, s26
	v_cmp_gt_i16_sdwa s26, v11, v115 src0_sel:BYTE_1 src1_sel:DWORD
	s_mov_b32 s12, 0
	s_and_saveexec_b32 s27, s26
	s_xor_b32 s26, exec_lo, s27
	s_cbranch_execz .LBB6_4512
; %bb.4087:                             ;   in Loop: Header=BB6_3020 Depth=2
	v_cmp_eq_u16_sdwa s28, v11, v119 src0_sel:BYTE_1 src1_sel:DWORD
	s_mov_b32 s12, -1
	s_and_saveexec_b32 s27, s28
; %bb.4088:                             ;   in Loop: Header=BB6_3020 Depth=2
	s_xor_b32 s12, exec_lo, -1
; %bb.4089:                             ;   in Loop: Header=BB6_3020 Depth=2
	s_or_b32 exec_lo, exec_lo, s27
	s_and_b32 s12, s12, exec_lo
	s_or_saveexec_b32 s26, s26
	v_mov_b32_e32 v3, 0x7f800001
	s_xor_b32 exec_lo, exec_lo, s26
	s_cbranch_execnz .LBB6_4513
.LBB6_4090:                             ;   in Loop: Header=BB6_3020 Depth=2
	s_or_b32 exec_lo, exec_lo, s26
	s_and_saveexec_b32 s26, s12
	s_cbranch_execz .LBB6_4092
.LBB6_4091:                             ;   in Loop: Header=BB6_3020 Depth=2
	v_and_b32_sdwa v3, v41, v11 dst_sel:DWORD dst_unused:UNUSED_PAD src0_sel:DWORD src1_sel:BYTE_1
	v_and_b32_e32 v113, 7, v3
	v_bfe_u32 v121, v3, 3, 4
	v_ffbh_u32_e32 v116, v113
	v_cmp_eq_u32_e32 vcc_lo, 0, v121
	v_min_u32_e32 v116, 32, v116
	v_subrev_nc_u32_e32 v120, 28, v116
	v_sub_nc_u32_e32 v116, 29, v116
	v_lshlrev_b32_e32 v3, v120, v3
	v_lshlrev_b32_sdwa v120, v47, v11 dst_sel:DWORD dst_unused:UNUSED_PAD src0_sel:DWORD src1_sel:BYTE_1
	v_cndmask_b32_e32 v116, v121, v116, vcc_lo
	v_and_b32_e32 v3, 7, v3
	v_lshl_add_u32 v116, v116, 23, 0x3b800000
	v_cndmask_b32_e32 v3, v113, v3, vcc_lo
	v_and_b32_e32 v113, 0x80000000, v120
	v_lshlrev_b32_e32 v3, 20, v3
	v_or3_b32 v3, v113, v116, v3
.LBB6_4092:                             ;   in Loop: Header=BB6_3020 Depth=2
	s_or_b32 exec_lo, exec_lo, s26
	v_add_f32_e32 v2, v2, v3
	v_mov_b32_e32 v120, 0x8000
	s_mov_b32 s26, exec_lo
	v_and_b32_e32 v3, 0x7f800000, v2
	v_cmpx_ne_u32_e32 0x7f800000, v3
	s_cbranch_execz .LBB6_4100
; %bb.4093:                             ;   in Loop: Header=BB6_3020 Depth=2
	v_mov_b32_e32 v120, 0
	s_mov_b32 s27, exec_lo
	v_cmpx_ne_u32_e32 0, v2
	s_cbranch_execz .LBB6_4099
; %bb.4094:                             ;   in Loop: Header=BB6_3020 Depth=2
	v_bfe_u32 v113, v2, 23, 8
	v_and_b32_e32 v3, 0x7fffff, v2
	v_cmp_gt_u32_e64 s12, 0x79, v113
	v_sub_nc_u32_e32 v116, 0x78, v113
	v_cmp_eq_u32_e32 vcc_lo, 0, v113
	v_or_b32_e32 v120, 0x800000, v3
	v_cndmask_b32_e64 v116, 0, v116, s12
	v_cndmask_b32_e32 v3, v120, v3, vcc_lo
	v_cndmask_b32_e64 v116, v116, 0x77, vcc_lo
	v_lshl_add_u32 v120, 0x100000, v116, -1
	v_lshlrev_b32_e64 v121, v116, 0x80000
	v_and_b32_e32 v120, v120, v3
	v_cmp_eq_u32_e64 s12, v120, v121
	v_lshrrev_b32_e32 v121, v116, v3
	v_add_nc_u32_e32 v3, 0xffffff89, v113
	v_lshrrev_b32_e32 v113, 23, v121
	v_cndmask_b32_e64 v3, v3, 0xffffff8a, vcc_lo
	v_xor_b32_e32 v120, 1, v113
	v_bfe_u32 v113, v121, 20, 1
	v_add_nc_u32_e32 v3, v116, v3
	v_add_nc_u32_e32 v113, -1, v113
	v_cndmask_b32_e64 v113, 0, v113, s12
	s_mov_b32 s12, exec_lo
	v_add_nc_u32_e32 v113, v113, v121
	v_and_b32_e32 v113, 0xfffff, v113
	v_add_nc_u32_e32 v113, v113, v121
                                        ; implicit-def: $vgpr121
	v_cmpx_ne_u32_e64 v3, v120
	s_xor_b32 s12, exec_lo, s12
; %bb.4095:                             ;   in Loop: Header=BB6_3020 Depth=2
	v_cmp_lt_u32_e32 vcc_lo, 0xffffff, v113
	v_sub_nc_u32_e32 v3, v3, v120
	v_cndmask_b32_e64 v116, 0, 1, vcc_lo
	v_add_co_ci_u32_e64 v121, null, 0, v3, vcc_lo
	v_lshrrev_b32_e32 v113, v116, v113
; %bb.4096:                             ;   in Loop: Header=BB6_3020 Depth=2
	s_andn2_saveexec_b32 s12, s12
; %bb.4097:                             ;   in Loop: Header=BB6_3020 Depth=2
	v_bfe_u32 v121, v113, 23, 1
; %bb.4098:                             ;   in Loop: Header=BB6_3020 Depth=2
	s_or_b32 exec_lo, exec_lo, s12
	v_lshrrev_b32_e32 v3, 20, v113
	v_min_i32_e32 v113, 15, v121
	v_cmp_gt_i32_e32 vcc_lo, 16, v121
	v_and_b32_sdwa v2, v2, v119 dst_sel:DWORD dst_unused:UNUSED_PAD src0_sel:BYTE_3 src1_sel:DWORD
	v_lshlrev_b32_e32 v113, 3, v113
	v_cndmask_b32_e32 v3, 7, v3, vcc_lo
	v_and_b32_e32 v113, 0xf8, v113
	v_and_b32_e32 v116, 7, v3
	v_or_b32_e32 v3, v121, v3
	v_or3_b32 v2, v2, v113, v116
	v_cmp_ne_u32_e32 vcc_lo, 0, v3
	v_lshlrev_b32_e32 v2, 8, v2
	v_cndmask_b32_e32 v120, 0, v2, vcc_lo
.LBB6_4099:                             ;   in Loop: Header=BB6_3020 Depth=2
	s_or_b32 exec_lo, exec_lo, s27
.LBB6_4100:                             ;   in Loop: Header=BB6_3020 Depth=2
	s_or_b32 exec_lo, exec_lo, s26
	v_and_b32_sdwa v3, v15, v56 dst_sel:DWORD dst_unused:UNUSED_PAD src0_sel:WORD_1 src1_sel:DWORD
	s_mov_b32 s12, 0
	s_mov_b32 s26, exec_lo
	v_cmpx_lt_i16_e32 0x7f, v3
	s_xor_b32 s26, exec_lo, s26
	s_cbranch_execz .LBB6_4514
; %bb.4101:                             ;   in Loop: Header=BB6_3020 Depth=2
	s_mov_b32 s12, -1
	s_mov_b32 s27, exec_lo
	v_cmpx_eq_u16_e32 0x80, v3
; %bb.4102:                             ;   in Loop: Header=BB6_3020 Depth=2
	s_xor_b32 s12, exec_lo, -1
; %bb.4103:                             ;   in Loop: Header=BB6_3020 Depth=2
	s_or_b32 exec_lo, exec_lo, s27
	s_and_b32 s12, s12, exec_lo
                                        ; implicit-def: $vgpr3
	s_or_saveexec_b32 s26, s26
	v_mov_b32_e32 v2, 0x7f800001
	s_xor_b32 exec_lo, exec_lo, s26
	s_cbranch_execnz .LBB6_4515
.LBB6_4104:                             ;   in Loop: Header=BB6_3020 Depth=2
	s_or_b32 exec_lo, exec_lo, s26
	s_and_saveexec_b32 s26, s12
	s_cbranch_execz .LBB6_4106
.LBB6_4105:                             ;   in Loop: Header=BB6_3020 Depth=2
	v_bfe_u32 v2, v15, 16, 3
	v_bfe_u32 v116, v15, 19, 4
	v_lshlrev_b32_e32 v121, 8, v15
	v_ffbh_u32_e32 v3, v2
	v_cmp_eq_u32_e32 vcc_lo, 0, v116
	v_min_u32_e32 v3, 32, v3
	v_subrev_nc_u32_e32 v113, 28, v3
	v_sub_nc_u32_e32 v3, 29, v3
	v_lshlrev_b32_sdwa v113, v113, v15 dst_sel:DWORD dst_unused:UNUSED_PAD src0_sel:DWORD src1_sel:WORD_1
	v_cndmask_b32_e32 v3, v116, v3, vcc_lo
	v_and_b32_e32 v113, 7, v113
	v_lshl_add_u32 v3, v3, 23, 0x3b800000
	v_cndmask_b32_e32 v2, v2, v113, vcc_lo
	v_and_b32_e32 v113, 0x80000000, v121
	v_lshlrev_b32_e32 v2, 20, v2
	v_or3_b32 v2, v113, v3, v2
.LBB6_4106:                             ;   in Loop: Header=BB6_3020 Depth=2
	s_or_b32 exec_lo, exec_lo, s26
	v_and_b32_sdwa v113, v11, v56 dst_sel:DWORD dst_unused:UNUSED_PAD src0_sel:WORD_1 src1_sel:DWORD
	s_mov_b32 s12, 0
	s_mov_b32 s26, exec_lo
	v_cmpx_lt_i16_e32 0x7f, v113
	s_xor_b32 s26, exec_lo, s26
	s_cbranch_execz .LBB6_4516
; %bb.4107:                             ;   in Loop: Header=BB6_3020 Depth=2
	s_mov_b32 s12, -1
	s_mov_b32 s27, exec_lo
	v_cmpx_eq_u16_e32 0x80, v113
; %bb.4108:                             ;   in Loop: Header=BB6_3020 Depth=2
	s_xor_b32 s12, exec_lo, -1
; %bb.4109:                             ;   in Loop: Header=BB6_3020 Depth=2
	s_or_b32 exec_lo, exec_lo, s27
	s_and_b32 s12, s12, exec_lo
                                        ; implicit-def: $vgpr113
	s_or_saveexec_b32 s26, s26
	v_mov_b32_e32 v3, 0x7f800001
	s_xor_b32 exec_lo, exec_lo, s26
	s_cbranch_execnz .LBB6_4517
.LBB6_4110:                             ;   in Loop: Header=BB6_3020 Depth=2
	s_or_b32 exec_lo, exec_lo, s26
	s_and_saveexec_b32 s26, s12
	s_cbranch_execz .LBB6_4112
.LBB6_4111:                             ;   in Loop: Header=BB6_3020 Depth=2
	v_bfe_u32 v3, v11, 16, 3
	v_bfe_u32 v121, v11, 19, 4
	v_lshlrev_b32_e32 v122, 8, v11
	v_ffbh_u32_e32 v113, v3
	v_cmp_eq_u32_e32 vcc_lo, 0, v121
	v_min_u32_e32 v113, 32, v113
	v_subrev_nc_u32_e32 v116, 28, v113
	v_sub_nc_u32_e32 v113, 29, v113
	v_lshlrev_b32_sdwa v116, v116, v11 dst_sel:DWORD dst_unused:UNUSED_PAD src0_sel:DWORD src1_sel:WORD_1
	v_cndmask_b32_e32 v113, v121, v113, vcc_lo
	v_and_b32_e32 v116, 7, v116
	v_lshl_add_u32 v113, v113, 23, 0x3b800000
	v_cndmask_b32_e32 v3, v3, v116, vcc_lo
	v_and_b32_e32 v116, 0x80000000, v122
	v_lshlrev_b32_e32 v3, 20, v3
	v_or3_b32 v3, v116, v113, v3
.LBB6_4112:                             ;   in Loop: Header=BB6_3020 Depth=2
	s_or_b32 exec_lo, exec_lo, s26
	v_add_f32_e32 v2, v2, v3
	v_mov_b32_e32 v121, 0x80
	s_mov_b32 s26, exec_lo
	v_and_b32_e32 v3, 0x7f800000, v2
	v_cmpx_ne_u32_e32 0x7f800000, v3
	s_cbranch_execz .LBB6_4120
; %bb.4113:                             ;   in Loop: Header=BB6_3020 Depth=2
	v_mov_b32_e32 v121, 0
	s_mov_b32 s27, exec_lo
	v_cmpx_ne_u32_e32 0, v2
	s_cbranch_execz .LBB6_4119
; %bb.4114:                             ;   in Loop: Header=BB6_3020 Depth=2
	v_bfe_u32 v113, v2, 23, 8
	v_and_b32_e32 v3, 0x7fffff, v2
	v_cmp_gt_u32_e64 s12, 0x79, v113
	v_sub_nc_u32_e32 v116, 0x78, v113
	v_cmp_eq_u32_e32 vcc_lo, 0, v113
	v_or_b32_e32 v121, 0x800000, v3
	v_cndmask_b32_e64 v116, 0, v116, s12
	v_cndmask_b32_e32 v3, v121, v3, vcc_lo
	v_cndmask_b32_e64 v116, v116, 0x77, vcc_lo
	v_lshl_add_u32 v121, 0x100000, v116, -1
	v_lshlrev_b32_e64 v122, v116, 0x80000
	v_and_b32_e32 v121, v121, v3
	v_cmp_eq_u32_e64 s12, v121, v122
	v_lshrrev_b32_e32 v122, v116, v3
	v_add_nc_u32_e32 v3, 0xffffff89, v113
	v_lshrrev_b32_e32 v113, 23, v122
	v_cndmask_b32_e64 v3, v3, 0xffffff8a, vcc_lo
	v_xor_b32_e32 v121, 1, v113
	v_bfe_u32 v113, v122, 20, 1
	v_add_nc_u32_e32 v3, v116, v3
	v_add_nc_u32_e32 v113, -1, v113
	v_cndmask_b32_e64 v113, 0, v113, s12
	s_mov_b32 s12, exec_lo
	v_add_nc_u32_e32 v113, v113, v122
	v_and_b32_e32 v113, 0xfffff, v113
	v_add_nc_u32_e32 v113, v113, v122
                                        ; implicit-def: $vgpr122
	v_cmpx_ne_u32_e64 v3, v121
	s_xor_b32 s12, exec_lo, s12
; %bb.4115:                             ;   in Loop: Header=BB6_3020 Depth=2
	v_cmp_lt_u32_e32 vcc_lo, 0xffffff, v113
	v_sub_nc_u32_e32 v3, v3, v121
	v_cndmask_b32_e64 v116, 0, 1, vcc_lo
	v_add_co_ci_u32_e64 v122, null, 0, v3, vcc_lo
	v_lshrrev_b32_e32 v113, v116, v113
; %bb.4116:                             ;   in Loop: Header=BB6_3020 Depth=2
	s_andn2_saveexec_b32 s12, s12
; %bb.4117:                             ;   in Loop: Header=BB6_3020 Depth=2
	v_bfe_u32 v122, v113, 23, 1
; %bb.4118:                             ;   in Loop: Header=BB6_3020 Depth=2
	s_or_b32 exec_lo, exec_lo, s12
	v_lshrrev_b32_e32 v3, 20, v113
	v_min_i32_e32 v113, 15, v122
	v_cmp_gt_i32_e32 vcc_lo, 16, v122
	v_and_b32_sdwa v2, v2, v119 dst_sel:DWORD dst_unused:UNUSED_PAD src0_sel:BYTE_3 src1_sel:DWORD
	v_lshlrev_b32_e32 v113, 3, v113
	v_cndmask_b32_e32 v3, 7, v3, vcc_lo
	v_and_b32_e32 v113, 0xf8, v113
	v_and_b32_e32 v116, 7, v3
	v_or_b32_e32 v3, v122, v3
	v_or3_b32 v2, v113, v2, v116
	v_cmp_ne_u32_e32 vcc_lo, 0, v3
	v_cndmask_b32_e32 v121, 0, v2, vcc_lo
.LBB6_4119:                             ;   in Loop: Header=BB6_3020 Depth=2
	s_or_b32 exec_lo, exec_lo, s27
.LBB6_4120:                             ;   in Loop: Header=BB6_3020 Depth=2
	s_or_b32 exec_lo, exec_lo, s26
	v_cmp_gt_i16_sdwa s26, v15, v115 src0_sel:BYTE_3 src1_sel:DWORD
	s_mov_b32 s12, 0
	s_and_saveexec_b32 s27, s26
	s_xor_b32 s26, exec_lo, s27
	s_cbranch_execz .LBB6_4518
; %bb.4121:                             ;   in Loop: Header=BB6_3020 Depth=2
	v_cmp_eq_u16_sdwa s28, v15, v119 src0_sel:BYTE_3 src1_sel:DWORD
	s_mov_b32 s12, -1
	s_and_saveexec_b32 s27, s28
; %bb.4122:                             ;   in Loop: Header=BB6_3020 Depth=2
	s_xor_b32 s12, exec_lo, -1
; %bb.4123:                             ;   in Loop: Header=BB6_3020 Depth=2
	s_or_b32 exec_lo, exec_lo, s27
	s_and_b32 s12, s12, exec_lo
	s_or_saveexec_b32 s26, s26
	v_mov_b32_e32 v2, 0x7f800001
	s_xor_b32 exec_lo, exec_lo, s26
	s_cbranch_execnz .LBB6_4519
.LBB6_4124:                             ;   in Loop: Header=BB6_3020 Depth=2
	s_or_b32 exec_lo, exec_lo, s26
	s_and_saveexec_b32 s26, s12
	s_cbranch_execz .LBB6_4126
.LBB6_4125:                             ;   in Loop: Header=BB6_3020 Depth=2
	v_bfe_u32 v2, v15, 24, 3
	v_bfe_u32 v116, v15, 27, 4
	v_ffbh_u32_e32 v3, v2
	v_cmp_eq_u32_e32 vcc_lo, 0, v116
	v_min_u32_e32 v3, 32, v3
	v_subrev_nc_u32_e32 v113, 28, v3
	v_sub_nc_u32_e32 v3, 29, v3
	v_lshlrev_b32_sdwa v113, v113, v15 dst_sel:DWORD dst_unused:UNUSED_PAD src0_sel:DWORD src1_sel:BYTE_3
	v_cndmask_b32_e32 v3, v116, v3, vcc_lo
	v_and_b32_e32 v15, 0x80000000, v15
	v_and_b32_e32 v113, 7, v113
	v_lshl_add_u32 v3, v3, 23, 0x3b800000
	v_cndmask_b32_e32 v2, v2, v113, vcc_lo
	v_lshlrev_b32_e32 v2, 20, v2
	v_or3_b32 v2, v15, v3, v2
.LBB6_4126:                             ;   in Loop: Header=BB6_3020 Depth=2
	s_or_b32 exec_lo, exec_lo, s26
	v_cmp_gt_i16_sdwa s26, v11, v115 src0_sel:BYTE_3 src1_sel:DWORD
	s_mov_b32 s12, 0
	s_and_saveexec_b32 s27, s26
	s_xor_b32 s26, exec_lo, s27
	s_cbranch_execz .LBB6_4520
; %bb.4127:                             ;   in Loop: Header=BB6_3020 Depth=2
	v_cmp_eq_u16_sdwa s28, v11, v119 src0_sel:BYTE_3 src1_sel:DWORD
	s_mov_b32 s12, -1
	s_and_saveexec_b32 s27, s28
; %bb.4128:                             ;   in Loop: Header=BB6_3020 Depth=2
	s_xor_b32 s12, exec_lo, -1
; %bb.4129:                             ;   in Loop: Header=BB6_3020 Depth=2
	s_or_b32 exec_lo, exec_lo, s27
	s_and_b32 s12, s12, exec_lo
	s_or_saveexec_b32 s26, s26
	v_mov_b32_e32 v3, 0x7f800001
	s_xor_b32 exec_lo, exec_lo, s26
	s_cbranch_execnz .LBB6_4521
.LBB6_4130:                             ;   in Loop: Header=BB6_3020 Depth=2
	s_or_b32 exec_lo, exec_lo, s26
	s_and_saveexec_b32 s26, s12
	s_cbranch_execz .LBB6_4132
.LBB6_4131:                             ;   in Loop: Header=BB6_3020 Depth=2
	v_bfe_u32 v3, v11, 24, 3
	v_bfe_u32 v116, v11, 27, 4
	v_ffbh_u32_e32 v15, v3
	v_cmp_eq_u32_e32 vcc_lo, 0, v116
	v_min_u32_e32 v15, 32, v15
	v_subrev_nc_u32_e32 v113, 28, v15
	v_sub_nc_u32_e32 v15, 29, v15
	v_lshlrev_b32_sdwa v113, v113, v11 dst_sel:DWORD dst_unused:UNUSED_PAD src0_sel:DWORD src1_sel:BYTE_3
	v_cndmask_b32_e32 v15, v116, v15, vcc_lo
	v_and_b32_e32 v11, 0x80000000, v11
	v_and_b32_e32 v113, 7, v113
	v_lshl_add_u32 v15, v15, 23, 0x3b800000
	v_cndmask_b32_e32 v3, v3, v113, vcc_lo
	v_lshlrev_b32_e32 v3, 20, v3
	v_or3_b32 v3, v11, v15, v3
.LBB6_4132:                             ;   in Loop: Header=BB6_3020 Depth=2
	s_or_b32 exec_lo, exec_lo, s26
	v_add_f32_e32 v2, v2, v3
	v_mov_b32_e32 v11, 0x8000
	s_mov_b32 s26, exec_lo
	v_and_b32_e32 v3, 0x7f800000, v2
	v_cmpx_ne_u32_e32 0x7f800000, v3
	s_cbranch_execz .LBB6_4140
; %bb.4133:                             ;   in Loop: Header=BB6_3020 Depth=2
	v_mov_b32_e32 v11, 0
	s_mov_b32 s27, exec_lo
	v_cmpx_ne_u32_e32 0, v2
	s_cbranch_execz .LBB6_4139
; %bb.4134:                             ;   in Loop: Header=BB6_3020 Depth=2
	v_bfe_u32 v11, v2, 23, 8
	v_and_b32_e32 v3, 0x7fffff, v2
	v_cmp_gt_u32_e64 s12, 0x79, v11
	v_sub_nc_u32_e32 v15, 0x78, v11
	v_cmp_eq_u32_e32 vcc_lo, 0, v11
	v_or_b32_e32 v113, 0x800000, v3
	v_cndmask_b32_e64 v15, 0, v15, s12
	v_cndmask_b32_e32 v3, v113, v3, vcc_lo
	v_cndmask_b32_e64 v15, v15, 0x77, vcc_lo
	v_lshl_add_u32 v113, 0x100000, v15, -1
	v_lshlrev_b32_e64 v116, v15, 0x80000
	v_and_b32_e32 v113, v113, v3
	v_cmp_eq_u32_e64 s12, v113, v116
	v_lshrrev_b32_e32 v113, v15, v3
	v_add_nc_u32_e32 v3, 0xffffff89, v11
	v_lshrrev_b32_e32 v11, 23, v113
	v_cndmask_b32_e64 v3, v3, 0xffffff8a, vcc_lo
	v_xor_b32_e32 v11, 1, v11
	v_add_nc_u32_e32 v3, v15, v3
	v_bfe_u32 v15, v113, 20, 1
	v_add_nc_u32_e32 v15, -1, v15
	v_cndmask_b32_e64 v15, 0, v15, s12
	s_mov_b32 s12, exec_lo
	v_add_nc_u32_e32 v15, v15, v113
	v_and_b32_e32 v15, 0xfffff, v15
	v_add_nc_u32_e32 v113, v15, v113
                                        ; implicit-def: $vgpr15
	v_cmpx_ne_u32_e64 v3, v11
	s_xor_b32 s12, exec_lo, s12
; %bb.4135:                             ;   in Loop: Header=BB6_3020 Depth=2
	v_cmp_lt_u32_e32 vcc_lo, 0xffffff, v113
	v_sub_nc_u32_e32 v3, v3, v11
	v_cndmask_b32_e64 v11, 0, 1, vcc_lo
	v_add_co_ci_u32_e64 v15, null, 0, v3, vcc_lo
	v_lshrrev_b32_e32 v113, v11, v113
; %bb.4136:                             ;   in Loop: Header=BB6_3020 Depth=2
	s_andn2_saveexec_b32 s12, s12
; %bb.4137:                             ;   in Loop: Header=BB6_3020 Depth=2
	v_bfe_u32 v15, v113, 23, 1
; %bb.4138:                             ;   in Loop: Header=BB6_3020 Depth=2
	s_or_b32 exec_lo, exec_lo, s12
	v_lshrrev_b32_e32 v3, 20, v113
	v_min_i32_e32 v11, 15, v15
	v_cmp_gt_i32_e32 vcc_lo, 16, v15
	v_and_b32_sdwa v2, v2, v119 dst_sel:DWORD dst_unused:UNUSED_PAD src0_sel:BYTE_3 src1_sel:DWORD
	v_lshlrev_b32_e32 v11, 3, v11
	v_cndmask_b32_e32 v3, 7, v3, vcc_lo
	v_and_b32_e32 v11, 0xf8, v11
	v_and_b32_e32 v113, 7, v3
	v_or_b32_e32 v3, v15, v3
	v_or3_b32 v2, v2, v11, v113
	v_cmp_ne_u32_e32 vcc_lo, 0, v3
	v_lshlrev_b32_e32 v2, 8, v2
	v_cndmask_b32_e32 v11, 0, v2, vcc_lo
.LBB6_4139:                             ;   in Loop: Header=BB6_3020 Depth=2
	s_or_b32 exec_lo, exec_lo, s27
.LBB6_4140:                             ;   in Loop: Header=BB6_3020 Depth=2
	s_or_b32 exec_lo, exec_lo, s26
	v_cmp_gt_i16_sdwa s26, v16, v115 src0_sel:BYTE_0 src1_sel:DWORD
	s_mov_b32 s12, 0
	s_and_saveexec_b32 s27, s26
	s_xor_b32 s26, exec_lo, s27
	s_cbranch_execz .LBB6_4522
; %bb.4141:                             ;   in Loop: Header=BB6_3020 Depth=2
	v_cmp_eq_u16_sdwa s28, v16, v119 src0_sel:BYTE_0 src1_sel:DWORD
	s_mov_b32 s12, -1
	s_and_saveexec_b32 s27, s28
; %bb.4142:                             ;   in Loop: Header=BB6_3020 Depth=2
	s_xor_b32 s12, exec_lo, -1
; %bb.4143:                             ;   in Loop: Header=BB6_3020 Depth=2
	s_or_b32 exec_lo, exec_lo, s27
	s_and_b32 s12, s12, exec_lo
	s_or_saveexec_b32 s26, s26
	v_mov_b32_e32 v2, 0x7f800001
	s_xor_b32 exec_lo, exec_lo, s26
	s_cbranch_execnz .LBB6_4523
.LBB6_4144:                             ;   in Loop: Header=BB6_3020 Depth=2
	s_or_b32 exec_lo, exec_lo, s26
	s_and_saveexec_b32 s26, s12
	s_cbranch_execz .LBB6_4146
.LBB6_4145:                             ;   in Loop: Header=BB6_3020 Depth=2
	v_and_b32_e32 v2, 7, v16
	v_bfe_u32 v113, v16, 3, 4
	v_lshlrev_b32_e32 v116, 24, v16
	v_ffbh_u32_e32 v3, v2
	v_cmp_eq_u32_e32 vcc_lo, 0, v113
	v_min_u32_e32 v3, 32, v3
	v_subrev_nc_u32_e32 v15, 28, v3
	v_sub_nc_u32_e32 v3, 29, v3
	v_lshlrev_b32_e32 v15, v15, v16
	v_cndmask_b32_e32 v3, v113, v3, vcc_lo
	v_and_b32_e32 v15, 7, v15
	v_lshl_add_u32 v3, v3, 23, 0x3b800000
	v_cndmask_b32_e32 v2, v2, v15, vcc_lo
	v_and_b32_e32 v15, 0x80000000, v116
	v_lshlrev_b32_e32 v2, 20, v2
	v_or3_b32 v2, v15, v3, v2
.LBB6_4146:                             ;   in Loop: Header=BB6_3020 Depth=2
	s_or_b32 exec_lo, exec_lo, s26
	v_cmp_gt_i16_sdwa s26, v12, v115 src0_sel:BYTE_0 src1_sel:DWORD
	s_mov_b32 s12, 0
	s_and_saveexec_b32 s27, s26
	s_xor_b32 s26, exec_lo, s27
	s_cbranch_execz .LBB6_4524
; %bb.4147:                             ;   in Loop: Header=BB6_3020 Depth=2
	v_cmp_eq_u16_sdwa s28, v12, v119 src0_sel:BYTE_0 src1_sel:DWORD
	s_mov_b32 s12, -1
	s_and_saveexec_b32 s27, s28
; %bb.4148:                             ;   in Loop: Header=BB6_3020 Depth=2
	s_xor_b32 s12, exec_lo, -1
; %bb.4149:                             ;   in Loop: Header=BB6_3020 Depth=2
	s_or_b32 exec_lo, exec_lo, s27
	s_and_b32 s12, s12, exec_lo
	s_or_saveexec_b32 s26, s26
	v_mov_b32_e32 v3, 0x7f800001
	s_xor_b32 exec_lo, exec_lo, s26
	s_cbranch_execnz .LBB6_4525
.LBB6_4150:                             ;   in Loop: Header=BB6_3020 Depth=2
	s_or_b32 exec_lo, exec_lo, s26
	s_and_saveexec_b32 s26, s12
	s_cbranch_execz .LBB6_4152
.LBB6_4151:                             ;   in Loop: Header=BB6_3020 Depth=2
	v_and_b32_e32 v3, 7, v12
	v_bfe_u32 v116, v12, 3, 4
	v_lshlrev_b32_e32 v122, 24, v12
	v_ffbh_u32_e32 v15, v3
	v_cmp_eq_u32_e32 vcc_lo, 0, v116
	v_min_u32_e32 v15, 32, v15
	v_subrev_nc_u32_e32 v113, 28, v15
	v_sub_nc_u32_e32 v15, 29, v15
	v_lshlrev_b32_e32 v113, v113, v12
	v_cndmask_b32_e32 v15, v116, v15, vcc_lo
	v_and_b32_e32 v113, 7, v113
	v_lshl_add_u32 v15, v15, 23, 0x3b800000
	v_cndmask_b32_e32 v3, v3, v113, vcc_lo
	v_and_b32_e32 v113, 0x80000000, v122
	v_lshlrev_b32_e32 v3, 20, v3
	v_or3_b32 v3, v113, v15, v3
.LBB6_4152:                             ;   in Loop: Header=BB6_3020 Depth=2
	s_or_b32 exec_lo, exec_lo, s26
	v_add_f32_e32 v2, v2, v3
	v_mov_b32_e32 v15, 0x80
	s_mov_b32 s26, exec_lo
	v_and_b32_e32 v3, 0x7f800000, v2
	v_cmpx_ne_u32_e32 0x7f800000, v3
	s_cbranch_execz .LBB6_4160
; %bb.4153:                             ;   in Loop: Header=BB6_3020 Depth=2
	v_mov_b32_e32 v15, 0
	s_mov_b32 s27, exec_lo
	v_cmpx_ne_u32_e32 0, v2
	s_cbranch_execz .LBB6_4159
; %bb.4154:                             ;   in Loop: Header=BB6_3020 Depth=2
	v_bfe_u32 v15, v2, 23, 8
	v_and_b32_e32 v3, 0x7fffff, v2
	v_cmp_gt_u32_e64 s12, 0x79, v15
	v_sub_nc_u32_e32 v113, 0x78, v15
	v_cmp_eq_u32_e32 vcc_lo, 0, v15
	v_or_b32_e32 v116, 0x800000, v3
	v_cndmask_b32_e64 v113, 0, v113, s12
	v_cndmask_b32_e32 v3, v116, v3, vcc_lo
	v_cndmask_b32_e64 v113, v113, 0x77, vcc_lo
	v_lshl_add_u32 v116, 0x100000, v113, -1
	v_lshlrev_b32_e64 v122, v113, 0x80000
	v_and_b32_e32 v116, v116, v3
	v_cmp_eq_u32_e64 s12, v116, v122
	v_lshrrev_b32_e32 v116, v113, v3
	v_add_nc_u32_e32 v3, 0xffffff89, v15
                                        ; implicit-def: $vgpr122
	v_lshrrev_b32_e32 v15, 23, v116
	v_cndmask_b32_e64 v3, v3, 0xffffff8a, vcc_lo
	v_xor_b32_e32 v15, 1, v15
	v_add_nc_u32_e32 v3, v113, v3
	v_bfe_u32 v113, v116, 20, 1
	v_add_nc_u32_e32 v113, -1, v113
	v_cndmask_b32_e64 v113, 0, v113, s12
	s_mov_b32 s12, exec_lo
	v_add_nc_u32_e32 v113, v113, v116
	v_and_b32_e32 v113, 0xfffff, v113
	v_add_nc_u32_e32 v113, v113, v116
	v_cmpx_ne_u32_e64 v3, v15
	s_xor_b32 s12, exec_lo, s12
; %bb.4155:                             ;   in Loop: Header=BB6_3020 Depth=2
	v_cmp_lt_u32_e32 vcc_lo, 0xffffff, v113
	v_sub_nc_u32_e32 v3, v3, v15
	v_cndmask_b32_e64 v15, 0, 1, vcc_lo
	v_add_co_ci_u32_e64 v122, null, 0, v3, vcc_lo
	v_lshrrev_b32_e32 v113, v15, v113
; %bb.4156:                             ;   in Loop: Header=BB6_3020 Depth=2
	s_andn2_saveexec_b32 s12, s12
; %bb.4157:                             ;   in Loop: Header=BB6_3020 Depth=2
	v_bfe_u32 v122, v113, 23, 1
; %bb.4158:                             ;   in Loop: Header=BB6_3020 Depth=2
	s_or_b32 exec_lo, exec_lo, s12
	v_lshrrev_b32_e32 v3, 20, v113
	v_min_i32_e32 v15, 15, v122
	v_cmp_gt_i32_e32 vcc_lo, 16, v122
	v_and_b32_sdwa v2, v2, v119 dst_sel:DWORD dst_unused:UNUSED_PAD src0_sel:BYTE_3 src1_sel:DWORD
	v_lshlrev_b32_e32 v15, 3, v15
	v_cndmask_b32_e32 v3, 7, v3, vcc_lo
	v_and_b32_e32 v15, 0xf8, v15
	v_and_b32_e32 v113, 7, v3
	v_or_b32_e32 v3, v122, v3
	v_or3_b32 v2, v15, v2, v113
	v_cmp_ne_u32_e32 vcc_lo, 0, v3
	v_cndmask_b32_e32 v15, 0, v2, vcc_lo
.LBB6_4159:                             ;   in Loop: Header=BB6_3020 Depth=2
	s_or_b32 exec_lo, exec_lo, s27
.LBB6_4160:                             ;   in Loop: Header=BB6_3020 Depth=2
	s_or_b32 exec_lo, exec_lo, s26
	v_cmp_gt_i16_sdwa s26, v16, v115 src0_sel:BYTE_1 src1_sel:DWORD
	s_mov_b32 s12, 0
	s_and_saveexec_b32 s27, s26
	s_xor_b32 s26, exec_lo, s27
	s_cbranch_execz .LBB6_4526
; %bb.4161:                             ;   in Loop: Header=BB6_3020 Depth=2
	v_cmp_eq_u16_sdwa s28, v16, v119 src0_sel:BYTE_1 src1_sel:DWORD
	s_mov_b32 s12, -1
	s_and_saveexec_b32 s27, s28
; %bb.4162:                             ;   in Loop: Header=BB6_3020 Depth=2
	s_xor_b32 s12, exec_lo, -1
; %bb.4163:                             ;   in Loop: Header=BB6_3020 Depth=2
	s_or_b32 exec_lo, exec_lo, s27
	s_and_b32 s12, s12, exec_lo
	s_or_saveexec_b32 s26, s26
	v_mov_b32_e32 v2, 0x7f800001
	s_xor_b32 exec_lo, exec_lo, s26
	s_cbranch_execnz .LBB6_4527
.LBB6_4164:                             ;   in Loop: Header=BB6_3020 Depth=2
	s_or_b32 exec_lo, exec_lo, s26
	s_and_saveexec_b32 s26, s12
	s_cbranch_execz .LBB6_4166
.LBB6_4165:                             ;   in Loop: Header=BB6_3020 Depth=2
	v_and_b32_sdwa v2, v41, v16 dst_sel:DWORD dst_unused:UNUSED_PAD src0_sel:DWORD src1_sel:BYTE_1
	v_and_b32_e32 v3, 7, v2
	v_bfe_u32 v122, v2, 3, 4
	v_ffbh_u32_e32 v113, v3
	v_cmp_eq_u32_e32 vcc_lo, 0, v122
	v_min_u32_e32 v113, 32, v113
	v_subrev_nc_u32_e32 v116, 28, v113
	v_sub_nc_u32_e32 v113, 29, v113
	v_lshlrev_b32_e32 v2, v116, v2
	v_lshlrev_b32_sdwa v116, v47, v16 dst_sel:DWORD dst_unused:UNUSED_PAD src0_sel:DWORD src1_sel:BYTE_1
	v_cndmask_b32_e32 v113, v122, v113, vcc_lo
	v_and_b32_e32 v2, 7, v2
	v_lshl_add_u32 v113, v113, 23, 0x3b800000
	v_cndmask_b32_e32 v2, v3, v2, vcc_lo
	v_and_b32_e32 v3, 0x80000000, v116
	v_lshlrev_b32_e32 v2, 20, v2
	v_or3_b32 v2, v3, v113, v2
.LBB6_4166:                             ;   in Loop: Header=BB6_3020 Depth=2
	s_or_b32 exec_lo, exec_lo, s26
	v_cmp_gt_i16_sdwa s26, v12, v115 src0_sel:BYTE_1 src1_sel:DWORD
	s_mov_b32 s12, 0
	s_and_saveexec_b32 s27, s26
	s_xor_b32 s26, exec_lo, s27
	s_cbranch_execz .LBB6_4528
; %bb.4167:                             ;   in Loop: Header=BB6_3020 Depth=2
	v_cmp_eq_u16_sdwa s28, v12, v119 src0_sel:BYTE_1 src1_sel:DWORD
	s_mov_b32 s12, -1
	s_and_saveexec_b32 s27, s28
; %bb.4168:                             ;   in Loop: Header=BB6_3020 Depth=2
	s_xor_b32 s12, exec_lo, -1
; %bb.4169:                             ;   in Loop: Header=BB6_3020 Depth=2
	s_or_b32 exec_lo, exec_lo, s27
	s_and_b32 s12, s12, exec_lo
	s_or_saveexec_b32 s26, s26
	v_mov_b32_e32 v3, 0x7f800001
	s_xor_b32 exec_lo, exec_lo, s26
	s_cbranch_execnz .LBB6_4529
.LBB6_4170:                             ;   in Loop: Header=BB6_3020 Depth=2
	s_or_b32 exec_lo, exec_lo, s26
	s_and_saveexec_b32 s26, s12
	s_cbranch_execz .LBB6_4172
.LBB6_4171:                             ;   in Loop: Header=BB6_3020 Depth=2
	v_and_b32_sdwa v3, v41, v12 dst_sel:DWORD dst_unused:UNUSED_PAD src0_sel:DWORD src1_sel:BYTE_1
	v_and_b32_e32 v113, 7, v3
	v_bfe_u32 v123, v3, 3, 4
	v_ffbh_u32_e32 v116, v113
	v_cmp_eq_u32_e32 vcc_lo, 0, v123
	v_min_u32_e32 v116, 32, v116
	v_subrev_nc_u32_e32 v122, 28, v116
	v_sub_nc_u32_e32 v116, 29, v116
	v_lshlrev_b32_e32 v3, v122, v3
	v_lshlrev_b32_sdwa v122, v47, v12 dst_sel:DWORD dst_unused:UNUSED_PAD src0_sel:DWORD src1_sel:BYTE_1
	v_cndmask_b32_e32 v116, v123, v116, vcc_lo
	v_and_b32_e32 v3, 7, v3
	v_lshl_add_u32 v116, v116, 23, 0x3b800000
	v_cndmask_b32_e32 v3, v113, v3, vcc_lo
	v_and_b32_e32 v113, 0x80000000, v122
	v_lshlrev_b32_e32 v3, 20, v3
	v_or3_b32 v3, v113, v116, v3
.LBB6_4172:                             ;   in Loop: Header=BB6_3020 Depth=2
	s_or_b32 exec_lo, exec_lo, s26
	v_add_f32_e32 v2, v2, v3
	v_mov_b32_e32 v122, 0x8000
	s_mov_b32 s26, exec_lo
	v_and_b32_e32 v3, 0x7f800000, v2
	v_cmpx_ne_u32_e32 0x7f800000, v3
	s_cbranch_execz .LBB6_4180
; %bb.4173:                             ;   in Loop: Header=BB6_3020 Depth=2
	v_mov_b32_e32 v122, 0
	s_mov_b32 s27, exec_lo
	v_cmpx_ne_u32_e32 0, v2
	s_cbranch_execz .LBB6_4179
; %bb.4174:                             ;   in Loop: Header=BB6_3020 Depth=2
	v_bfe_u32 v113, v2, 23, 8
	v_and_b32_e32 v3, 0x7fffff, v2
	v_cmp_gt_u32_e64 s12, 0x79, v113
	v_sub_nc_u32_e32 v116, 0x78, v113
	v_cmp_eq_u32_e32 vcc_lo, 0, v113
	v_or_b32_e32 v122, 0x800000, v3
	v_cndmask_b32_e64 v116, 0, v116, s12
	v_cndmask_b32_e32 v3, v122, v3, vcc_lo
	v_cndmask_b32_e64 v116, v116, 0x77, vcc_lo
	v_lshl_add_u32 v122, 0x100000, v116, -1
	v_lshlrev_b32_e64 v123, v116, 0x80000
	v_and_b32_e32 v122, v122, v3
	v_cmp_eq_u32_e64 s12, v122, v123
	v_lshrrev_b32_e32 v123, v116, v3
	v_add_nc_u32_e32 v3, 0xffffff89, v113
	v_lshrrev_b32_e32 v113, 23, v123
	v_cndmask_b32_e64 v3, v3, 0xffffff8a, vcc_lo
	v_xor_b32_e32 v122, 1, v113
	v_bfe_u32 v113, v123, 20, 1
	v_add_nc_u32_e32 v3, v116, v3
	v_add_nc_u32_e32 v113, -1, v113
	v_cndmask_b32_e64 v113, 0, v113, s12
	s_mov_b32 s12, exec_lo
	v_add_nc_u32_e32 v113, v113, v123
	v_and_b32_e32 v113, 0xfffff, v113
	v_add_nc_u32_e32 v113, v113, v123
                                        ; implicit-def: $vgpr123
	v_cmpx_ne_u32_e64 v3, v122
	s_xor_b32 s12, exec_lo, s12
; %bb.4175:                             ;   in Loop: Header=BB6_3020 Depth=2
	v_cmp_lt_u32_e32 vcc_lo, 0xffffff, v113
	v_sub_nc_u32_e32 v3, v3, v122
	v_cndmask_b32_e64 v116, 0, 1, vcc_lo
	v_add_co_ci_u32_e64 v123, null, 0, v3, vcc_lo
	v_lshrrev_b32_e32 v113, v116, v113
; %bb.4176:                             ;   in Loop: Header=BB6_3020 Depth=2
	s_andn2_saveexec_b32 s12, s12
; %bb.4177:                             ;   in Loop: Header=BB6_3020 Depth=2
	v_bfe_u32 v123, v113, 23, 1
; %bb.4178:                             ;   in Loop: Header=BB6_3020 Depth=2
	s_or_b32 exec_lo, exec_lo, s12
	v_lshrrev_b32_e32 v3, 20, v113
	v_min_i32_e32 v113, 15, v123
	v_cmp_gt_i32_e32 vcc_lo, 16, v123
	v_and_b32_sdwa v2, v2, v119 dst_sel:DWORD dst_unused:UNUSED_PAD src0_sel:BYTE_3 src1_sel:DWORD
	v_lshlrev_b32_e32 v113, 3, v113
	v_cndmask_b32_e32 v3, 7, v3, vcc_lo
	v_and_b32_e32 v113, 0xf8, v113
	v_and_b32_e32 v116, 7, v3
	v_or_b32_e32 v3, v123, v3
	v_or3_b32 v2, v2, v113, v116
	v_cmp_ne_u32_e32 vcc_lo, 0, v3
	v_lshlrev_b32_e32 v2, 8, v2
	v_cndmask_b32_e32 v122, 0, v2, vcc_lo
.LBB6_4179:                             ;   in Loop: Header=BB6_3020 Depth=2
	s_or_b32 exec_lo, exec_lo, s27
.LBB6_4180:                             ;   in Loop: Header=BB6_3020 Depth=2
	s_or_b32 exec_lo, exec_lo, s26
	v_and_b32_sdwa v3, v16, v56 dst_sel:DWORD dst_unused:UNUSED_PAD src0_sel:WORD_1 src1_sel:DWORD
	s_mov_b32 s26, 0
	s_mov_b32 s12, exec_lo
	v_cmpx_lt_i16_e32 0x7f, v3
	s_xor_b32 s12, exec_lo, s12
	s_cbranch_execz .LBB6_4530
; %bb.4181:                             ;   in Loop: Header=BB6_3020 Depth=2
	s_mov_b32 s26, -1
	s_mov_b32 s27, exec_lo
	v_cmpx_eq_u16_e32 0x80, v3
; %bb.4182:                             ;   in Loop: Header=BB6_3020 Depth=2
	s_xor_b32 s26, exec_lo, -1
; %bb.4183:                             ;   in Loop: Header=BB6_3020 Depth=2
	s_or_b32 exec_lo, exec_lo, s27
	s_and_b32 s26, s26, exec_lo
                                        ; implicit-def: $vgpr3
	s_or_saveexec_b32 s12, s12
	v_mov_b32_e32 v2, 0x7f800001
	s_xor_b32 exec_lo, exec_lo, s12
	s_cbranch_execnz .LBB6_4531
.LBB6_4184:                             ;   in Loop: Header=BB6_3020 Depth=2
	s_or_b32 exec_lo, exec_lo, s12
	s_and_saveexec_b32 s12, s26
	s_cbranch_execz .LBB6_4186
.LBB6_4185:                             ;   in Loop: Header=BB6_3020 Depth=2
	v_bfe_u32 v2, v16, 16, 3
	v_bfe_u32 v3, v16, 19, 4
	v_ffbh_u32_e32 v113, v2
	v_cmp_eq_u32_e32 vcc_lo, 0, v3
	v_min_u32_e32 v113, 32, v113
	v_subrev_nc_u32_e32 v116, 28, v113
	v_sub_nc_u32_e32 v113, 29, v113
	v_lshlrev_b32_sdwa v116, v116, v16 dst_sel:DWORD dst_unused:UNUSED_PAD src0_sel:DWORD src1_sel:WORD_1
	v_cndmask_b32_e32 v3, v3, v113, vcc_lo
	v_lshlrev_b32_e32 v113, 8, v16
	v_and_b32_e32 v116, 7, v116
	v_lshl_add_u32 v3, v3, 23, 0x3b800000
	v_and_b32_e32 v113, 0x80000000, v113
	v_cndmask_b32_e32 v2, v2, v116, vcc_lo
	v_lshlrev_b32_e32 v2, 20, v2
	v_or3_b32 v2, v113, v3, v2
.LBB6_4186:                             ;   in Loop: Header=BB6_3020 Depth=2
	s_or_b32 exec_lo, exec_lo, s12
	v_and_b32_sdwa v113, v12, v56 dst_sel:DWORD dst_unused:UNUSED_PAD src0_sel:WORD_1 src1_sel:DWORD
	s_mov_b32 s26, 0
	s_mov_b32 s12, exec_lo
	v_cmpx_lt_i16_e32 0x7f, v113
	s_xor_b32 s12, exec_lo, s12
	s_cbranch_execz .LBB6_4532
; %bb.4187:                             ;   in Loop: Header=BB6_3020 Depth=2
	s_mov_b32 s26, -1
	s_mov_b32 s27, exec_lo
	v_cmpx_eq_u16_e32 0x80, v113
; %bb.4188:                             ;   in Loop: Header=BB6_3020 Depth=2
	s_xor_b32 s26, exec_lo, -1
; %bb.4189:                             ;   in Loop: Header=BB6_3020 Depth=2
	s_or_b32 exec_lo, exec_lo, s27
	s_and_b32 s26, s26, exec_lo
                                        ; implicit-def: $vgpr113
	s_or_saveexec_b32 s12, s12
	v_mov_b32_e32 v3, 0x7f800001
	s_xor_b32 exec_lo, exec_lo, s12
	s_cbranch_execnz .LBB6_4533
.LBB6_4190:                             ;   in Loop: Header=BB6_3020 Depth=2
	s_or_b32 exec_lo, exec_lo, s12
	s_and_saveexec_b32 s12, s26
	s_cbranch_execz .LBB6_4192
.LBB6_4191:                             ;   in Loop: Header=BB6_3020 Depth=2
	v_bfe_u32 v3, v12, 16, 3
	v_bfe_u32 v113, v12, 19, 4
	v_ffbh_u32_e32 v116, v3
	v_cmp_eq_u32_e32 vcc_lo, 0, v113
	v_min_u32_e32 v116, 32, v116
	v_subrev_nc_u32_e32 v123, 28, v116
	v_sub_nc_u32_e32 v116, 29, v116
	v_lshlrev_b32_sdwa v123, v123, v12 dst_sel:DWORD dst_unused:UNUSED_PAD src0_sel:DWORD src1_sel:WORD_1
	v_cndmask_b32_e32 v113, v113, v116, vcc_lo
	v_lshlrev_b32_e32 v116, 8, v12
	v_and_b32_e32 v123, 7, v123
	v_lshl_add_u32 v113, v113, 23, 0x3b800000
	v_and_b32_e32 v116, 0x80000000, v116
	v_cndmask_b32_e32 v3, v3, v123, vcc_lo
	v_lshlrev_b32_e32 v3, 20, v3
	v_or3_b32 v3, v116, v113, v3
.LBB6_4192:                             ;   in Loop: Header=BB6_3020 Depth=2
	s_or_b32 exec_lo, exec_lo, s12
	v_add_f32_e32 v2, v2, v3
	v_mov_b32_e32 v123, 0x80
	s_mov_b32 s26, exec_lo
	v_and_b32_e32 v3, 0x7f800000, v2
	v_cmpx_ne_u32_e32 0x7f800000, v3
	s_cbranch_execz .LBB6_4200
; %bb.4193:                             ;   in Loop: Header=BB6_3020 Depth=2
	v_mov_b32_e32 v123, 0
	s_mov_b32 s27, exec_lo
	v_cmpx_ne_u32_e32 0, v2
	s_cbranch_execz .LBB6_4199
; %bb.4194:                             ;   in Loop: Header=BB6_3020 Depth=2
	v_bfe_u32 v113, v2, 23, 8
	v_and_b32_e32 v3, 0x7fffff, v2
                                        ; implicit-def: $vgpr125
	v_cmp_gt_u32_e64 s12, 0x79, v113
	v_sub_nc_u32_e32 v116, 0x78, v113
	v_cmp_eq_u32_e32 vcc_lo, 0, v113
	v_or_b32_e32 v123, 0x800000, v3
	v_cndmask_b32_e64 v116, 0, v116, s12
	v_cndmask_b32_e32 v3, v123, v3, vcc_lo
	v_cndmask_b32_e64 v116, v116, 0x77, vcc_lo
	v_lshl_add_u32 v123, 0x100000, v116, -1
	v_lshlrev_b32_e64 v124, v116, 0x80000
	v_and_b32_e32 v123, v123, v3
	v_cmp_eq_u32_e64 s12, v123, v124
	v_lshrrev_b32_e32 v124, v116, v3
	v_add_nc_u32_e32 v3, 0xffffff89, v113
	v_lshrrev_b32_e32 v113, 23, v124
	v_cndmask_b32_e64 v3, v3, 0xffffff8a, vcc_lo
	v_xor_b32_e32 v123, 1, v113
	v_bfe_u32 v113, v124, 20, 1
	v_add_nc_u32_e32 v3, v116, v3
	v_add_nc_u32_e32 v113, -1, v113
	v_cndmask_b32_e64 v113, 0, v113, s12
	s_mov_b32 s12, exec_lo
	v_add_nc_u32_e32 v113, v113, v124
	v_and_b32_e32 v113, 0xfffff, v113
	v_add_nc_u32_e32 v124, v113, v124
	v_cmpx_ne_u32_e64 v3, v123
	s_xor_b32 s12, exec_lo, s12
; %bb.4195:                             ;   in Loop: Header=BB6_3020 Depth=2
	v_cmp_lt_u32_e32 vcc_lo, 0xffffff, v124
	v_sub_nc_u32_e32 v3, v3, v123
	v_cndmask_b32_e64 v113, 0, 1, vcc_lo
	v_add_co_ci_u32_e64 v125, null, 0, v3, vcc_lo
	v_lshrrev_b32_e32 v124, v113, v124
; %bb.4196:                             ;   in Loop: Header=BB6_3020 Depth=2
	s_andn2_saveexec_b32 s12, s12
; %bb.4197:                             ;   in Loop: Header=BB6_3020 Depth=2
	v_bfe_u32 v125, v124, 23, 1
; %bb.4198:                             ;   in Loop: Header=BB6_3020 Depth=2
	s_or_b32 exec_lo, exec_lo, s12
	v_lshrrev_b32_e32 v3, 20, v124
	v_min_i32_e32 v113, 15, v125
	v_cmp_gt_i32_e32 vcc_lo, 16, v125
	v_and_b32_sdwa v2, v2, v119 dst_sel:DWORD dst_unused:UNUSED_PAD src0_sel:BYTE_3 src1_sel:DWORD
	v_lshlrev_b32_e32 v113, 3, v113
	v_cndmask_b32_e32 v3, 7, v3, vcc_lo
	v_and_b32_e32 v113, 0xf8, v113
	v_or_b32_e32 v116, v125, v3
	v_and_b32_e32 v3, 7, v3
	v_cmp_ne_u32_e32 vcc_lo, 0, v116
	v_or3_b32 v2, v113, v2, v3
	v_cndmask_b32_e32 v123, 0, v2, vcc_lo
.LBB6_4199:                             ;   in Loop: Header=BB6_3020 Depth=2
	s_or_b32 exec_lo, exec_lo, s27
.LBB6_4200:                             ;   in Loop: Header=BB6_3020 Depth=2
	s_or_b32 exec_lo, exec_lo, s26
	v_cmp_gt_i16_sdwa s26, v16, v115 src0_sel:BYTE_3 src1_sel:DWORD
	s_mov_b32 s12, 0
	s_and_saveexec_b32 s27, s26
	s_xor_b32 s26, exec_lo, s27
	s_cbranch_execz .LBB6_4534
; %bb.4201:                             ;   in Loop: Header=BB6_3020 Depth=2
	v_cmp_eq_u16_sdwa s28, v16, v119 src0_sel:BYTE_3 src1_sel:DWORD
	s_mov_b32 s12, -1
	s_and_saveexec_b32 s27, s28
; %bb.4202:                             ;   in Loop: Header=BB6_3020 Depth=2
	s_xor_b32 s12, exec_lo, -1
; %bb.4203:                             ;   in Loop: Header=BB6_3020 Depth=2
	s_or_b32 exec_lo, exec_lo, s27
	s_and_b32 s12, s12, exec_lo
	s_or_saveexec_b32 s26, s26
	v_mov_b32_e32 v2, 0x7f800001
	s_xor_b32 exec_lo, exec_lo, s26
	s_cbranch_execnz .LBB6_4535
.LBB6_4204:                             ;   in Loop: Header=BB6_3020 Depth=2
	s_or_b32 exec_lo, exec_lo, s26
	s_and_saveexec_b32 s26, s12
	s_cbranch_execz .LBB6_4206
.LBB6_4205:                             ;   in Loop: Header=BB6_3020 Depth=2
	v_bfe_u32 v2, v16, 24, 3
	v_bfe_u32 v116, v16, 27, 4
	v_ffbh_u32_e32 v3, v2
	v_cmp_eq_u32_e32 vcc_lo, 0, v116
	v_min_u32_e32 v3, 32, v3
	v_subrev_nc_u32_e32 v113, 28, v3
	v_sub_nc_u32_e32 v3, 29, v3
	v_lshlrev_b32_sdwa v113, v113, v16 dst_sel:DWORD dst_unused:UNUSED_PAD src0_sel:DWORD src1_sel:BYTE_3
	v_cndmask_b32_e32 v3, v116, v3, vcc_lo
	v_and_b32_e32 v16, 0x80000000, v16
	v_and_b32_e32 v113, 7, v113
	v_lshl_add_u32 v3, v3, 23, 0x3b800000
	v_cndmask_b32_e32 v2, v2, v113, vcc_lo
	v_lshlrev_b32_e32 v2, 20, v2
	v_or3_b32 v2, v16, v3, v2
.LBB6_4206:                             ;   in Loop: Header=BB6_3020 Depth=2
	s_or_b32 exec_lo, exec_lo, s26
	v_cmp_gt_i16_sdwa s26, v12, v115 src0_sel:BYTE_3 src1_sel:DWORD
	s_mov_b32 s12, 0
	s_and_saveexec_b32 s27, s26
	s_xor_b32 s26, exec_lo, s27
	s_cbranch_execz .LBB6_4536
; %bb.4207:                             ;   in Loop: Header=BB6_3020 Depth=2
	v_cmp_eq_u16_sdwa s28, v12, v119 src0_sel:BYTE_3 src1_sel:DWORD
	s_mov_b32 s12, -1
	s_and_saveexec_b32 s27, s28
; %bb.4208:                             ;   in Loop: Header=BB6_3020 Depth=2
	s_xor_b32 s12, exec_lo, -1
; %bb.4209:                             ;   in Loop: Header=BB6_3020 Depth=2
	s_or_b32 exec_lo, exec_lo, s27
	s_and_b32 s12, s12, exec_lo
	s_or_saveexec_b32 s26, s26
	v_mov_b32_e32 v3, 0x7f800001
	s_xor_b32 exec_lo, exec_lo, s26
	s_cbranch_execnz .LBB6_4537
.LBB6_4210:                             ;   in Loop: Header=BB6_3020 Depth=2
	s_or_b32 exec_lo, exec_lo, s26
	s_and_saveexec_b32 s26, s12
	s_cbranch_execz .LBB6_4212
.LBB6_4211:                             ;   in Loop: Header=BB6_3020 Depth=2
	v_bfe_u32 v3, v12, 24, 3
	v_bfe_u32 v116, v12, 27, 4
	v_ffbh_u32_e32 v16, v3
	v_cmp_eq_u32_e32 vcc_lo, 0, v116
	v_min_u32_e32 v16, 32, v16
	v_subrev_nc_u32_e32 v113, 28, v16
	v_sub_nc_u32_e32 v16, 29, v16
	v_lshlrev_b32_sdwa v113, v113, v12 dst_sel:DWORD dst_unused:UNUSED_PAD src0_sel:DWORD src1_sel:BYTE_3
	v_cndmask_b32_e32 v16, v116, v16, vcc_lo
	v_and_b32_e32 v12, 0x80000000, v12
	v_and_b32_e32 v113, 7, v113
	v_lshl_add_u32 v16, v16, 23, 0x3b800000
	v_cndmask_b32_e32 v3, v3, v113, vcc_lo
	v_lshlrev_b32_e32 v3, 20, v3
	v_or3_b32 v3, v12, v16, v3
.LBB6_4212:                             ;   in Loop: Header=BB6_3020 Depth=2
	s_or_b32 exec_lo, exec_lo, s26
	v_add_f32_e32 v2, v2, v3
	v_mov_b32_e32 v12, 0x8000
	s_mov_b32 s26, exec_lo
	v_and_b32_e32 v3, 0x7f800000, v2
	v_cmpx_ne_u32_e32 0x7f800000, v3
	s_cbranch_execz .LBB6_4220
; %bb.4213:                             ;   in Loop: Header=BB6_3020 Depth=2
	v_mov_b32_e32 v12, 0
	s_mov_b32 s27, exec_lo
	v_cmpx_ne_u32_e32 0, v2
	s_cbranch_execz .LBB6_4219
; %bb.4214:                             ;   in Loop: Header=BB6_3020 Depth=2
	v_bfe_u32 v12, v2, 23, 8
	v_and_b32_e32 v3, 0x7fffff, v2
	v_cmp_gt_u32_e64 s12, 0x79, v12
	v_sub_nc_u32_e32 v16, 0x78, v12
	v_cmp_eq_u32_e32 vcc_lo, 0, v12
	v_or_b32_e32 v113, 0x800000, v3
	v_cndmask_b32_e64 v16, 0, v16, s12
	v_cndmask_b32_e32 v3, v113, v3, vcc_lo
	v_cndmask_b32_e64 v16, v16, 0x77, vcc_lo
	v_lshl_add_u32 v113, 0x100000, v16, -1
	v_lshlrev_b32_e64 v116, v16, 0x80000
	v_and_b32_e32 v113, v113, v3
	v_cmp_eq_u32_e64 s12, v113, v116
	v_lshrrev_b32_e32 v113, v16, v3
	v_add_nc_u32_e32 v3, 0xffffff89, v12
	v_lshrrev_b32_e32 v12, 23, v113
	v_cndmask_b32_e64 v3, v3, 0xffffff8a, vcc_lo
	v_xor_b32_e32 v12, 1, v12
	v_add_nc_u32_e32 v3, v16, v3
	v_bfe_u32 v16, v113, 20, 1
	v_add_nc_u32_e32 v16, -1, v16
	v_cndmask_b32_e64 v16, 0, v16, s12
	s_mov_b32 s12, exec_lo
	v_add_nc_u32_e32 v16, v16, v113
	v_and_b32_e32 v16, 0xfffff, v16
	v_add_nc_u32_e32 v113, v16, v113
                                        ; implicit-def: $vgpr16
	v_cmpx_ne_u32_e64 v3, v12
	s_xor_b32 s12, exec_lo, s12
; %bb.4215:                             ;   in Loop: Header=BB6_3020 Depth=2
	v_cmp_lt_u32_e32 vcc_lo, 0xffffff, v113
	v_sub_nc_u32_e32 v3, v3, v12
	v_cndmask_b32_e64 v12, 0, 1, vcc_lo
	v_add_co_ci_u32_e64 v16, null, 0, v3, vcc_lo
	v_lshrrev_b32_e32 v113, v12, v113
; %bb.4216:                             ;   in Loop: Header=BB6_3020 Depth=2
	s_andn2_saveexec_b32 s12, s12
; %bb.4217:                             ;   in Loop: Header=BB6_3020 Depth=2
	v_bfe_u32 v16, v113, 23, 1
; %bb.4218:                             ;   in Loop: Header=BB6_3020 Depth=2
	s_or_b32 exec_lo, exec_lo, s12
	v_lshrrev_b32_e32 v3, 20, v113
	v_min_i32_e32 v12, 15, v16
	v_cmp_gt_i32_e32 vcc_lo, 16, v16
	v_and_b32_sdwa v2, v2, v119 dst_sel:DWORD dst_unused:UNUSED_PAD src0_sel:BYTE_3 src1_sel:DWORD
	v_lshlrev_b32_e32 v12, 3, v12
	v_cndmask_b32_e32 v3, 7, v3, vcc_lo
	v_and_b32_e32 v12, 0xf8, v12
	v_and_b32_e32 v113, 7, v3
	v_or_b32_e32 v3, v16, v3
	v_or3_b32 v2, v2, v12, v113
	v_cmp_ne_u32_e32 vcc_lo, 0, v3
	v_lshlrev_b32_e32 v2, 8, v2
	v_cndmask_b32_e32 v12, 0, v2, vcc_lo
.LBB6_4219:                             ;   in Loop: Header=BB6_3020 Depth=2
	s_or_b32 exec_lo, exec_lo, s27
.LBB6_4220:                             ;   in Loop: Header=BB6_3020 Depth=2
	s_or_b32 exec_lo, exec_lo, s26
	v_cmp_gt_i16_sdwa s12, v17, v115 src0_sel:BYTE_0 src1_sel:DWORD
	s_mov_b32 s26, 0
	s_and_saveexec_b32 s27, s12
	s_xor_b32 s12, exec_lo, s27
	s_cbranch_execz .LBB6_4538
; %bb.4221:                             ;   in Loop: Header=BB6_3020 Depth=2
	v_cmp_eq_u16_sdwa s28, v17, v119 src0_sel:BYTE_0 src1_sel:DWORD
	s_mov_b32 s26, -1
	s_and_saveexec_b32 s27, s28
; %bb.4222:                             ;   in Loop: Header=BB6_3020 Depth=2
	s_xor_b32 s26, exec_lo, -1
; %bb.4223:                             ;   in Loop: Header=BB6_3020 Depth=2
	s_or_b32 exec_lo, exec_lo, s27
	s_and_b32 s26, s26, exec_lo
	s_or_saveexec_b32 s12, s12
	v_mov_b32_e32 v2, 0x7f800001
	s_xor_b32 exec_lo, exec_lo, s12
	s_cbranch_execnz .LBB6_4539
.LBB6_4224:                             ;   in Loop: Header=BB6_3020 Depth=2
	s_or_b32 exec_lo, exec_lo, s12
	s_and_saveexec_b32 s12, s26
	s_cbranch_execz .LBB6_4226
.LBB6_4225:                             ;   in Loop: Header=BB6_3020 Depth=2
	v_and_b32_e32 v2, 7, v17
	v_bfe_u32 v3, v17, 3, 4
	v_ffbh_u32_e32 v16, v2
	v_cmp_eq_u32_e32 vcc_lo, 0, v3
	v_min_u32_e32 v16, 32, v16
	v_subrev_nc_u32_e32 v113, 28, v16
	v_sub_nc_u32_e32 v16, 29, v16
	v_lshlrev_b32_e32 v113, v113, v17
	v_cndmask_b32_e32 v3, v3, v16, vcc_lo
	v_lshlrev_b32_e32 v16, 24, v17
	v_and_b32_e32 v113, 7, v113
	v_lshl_add_u32 v3, v3, 23, 0x3b800000
	v_and_b32_e32 v16, 0x80000000, v16
	v_cndmask_b32_e32 v2, v2, v113, vcc_lo
	v_lshlrev_b32_e32 v2, 20, v2
	v_or3_b32 v2, v16, v3, v2
.LBB6_4226:                             ;   in Loop: Header=BB6_3020 Depth=2
	s_or_b32 exec_lo, exec_lo, s12
	v_cmp_gt_i16_sdwa s12, v13, v115 src0_sel:BYTE_0 src1_sel:DWORD
	s_mov_b32 s26, 0
	s_and_saveexec_b32 s27, s12
	s_xor_b32 s12, exec_lo, s27
	s_cbranch_execz .LBB6_4540
; %bb.4227:                             ;   in Loop: Header=BB6_3020 Depth=2
	v_cmp_eq_u16_sdwa s28, v13, v119 src0_sel:BYTE_0 src1_sel:DWORD
	s_mov_b32 s26, -1
	s_and_saveexec_b32 s27, s28
; %bb.4228:                             ;   in Loop: Header=BB6_3020 Depth=2
	s_xor_b32 s26, exec_lo, -1
; %bb.4229:                             ;   in Loop: Header=BB6_3020 Depth=2
	s_or_b32 exec_lo, exec_lo, s27
	s_and_b32 s26, s26, exec_lo
	s_or_saveexec_b32 s12, s12
	v_mov_b32_e32 v3, 0x7f800001
	s_xor_b32 exec_lo, exec_lo, s12
	s_cbranch_execnz .LBB6_4541
.LBB6_4230:                             ;   in Loop: Header=BB6_3020 Depth=2
	s_or_b32 exec_lo, exec_lo, s12
	s_and_saveexec_b32 s12, s26
	s_cbranch_execz .LBB6_4232
.LBB6_4231:                             ;   in Loop: Header=BB6_3020 Depth=2
	v_and_b32_e32 v3, 7, v13
	v_bfe_u32 v16, v13, 3, 4
	v_ffbh_u32_e32 v113, v3
	v_cmp_eq_u32_e32 vcc_lo, 0, v16
	v_min_u32_e32 v113, 32, v113
	v_subrev_nc_u32_e32 v116, 28, v113
	v_sub_nc_u32_e32 v113, 29, v113
	v_lshlrev_b32_e32 v116, v116, v13
	v_cndmask_b32_e32 v16, v16, v113, vcc_lo
	v_lshlrev_b32_e32 v113, 24, v13
	v_and_b32_e32 v116, 7, v116
	v_lshl_add_u32 v16, v16, 23, 0x3b800000
	v_and_b32_e32 v113, 0x80000000, v113
	v_cndmask_b32_e32 v3, v3, v116, vcc_lo
	v_lshlrev_b32_e32 v3, 20, v3
	v_or3_b32 v3, v113, v16, v3
.LBB6_4232:                             ;   in Loop: Header=BB6_3020 Depth=2
	s_or_b32 exec_lo, exec_lo, s12
	v_add_f32_e32 v2, v2, v3
	v_mov_b32_e32 v16, 0x80
	s_mov_b32 s26, exec_lo
	v_and_b32_e32 v3, 0x7f800000, v2
	v_cmpx_ne_u32_e32 0x7f800000, v3
	s_cbranch_execz .LBB6_4240
; %bb.4233:                             ;   in Loop: Header=BB6_3020 Depth=2
	v_mov_b32_e32 v16, 0
	s_mov_b32 s27, exec_lo
	v_cmpx_ne_u32_e32 0, v2
	s_cbranch_execz .LBB6_4239
; %bb.4234:                             ;   in Loop: Header=BB6_3020 Depth=2
	v_bfe_u32 v16, v2, 23, 8
	v_and_b32_e32 v3, 0x7fffff, v2
                                        ; implicit-def: $vgpr125
	v_cmp_gt_u32_e64 s12, 0x79, v16
	v_sub_nc_u32_e32 v113, 0x78, v16
	v_cmp_eq_u32_e32 vcc_lo, 0, v16
	v_or_b32_e32 v116, 0x800000, v3
	v_cndmask_b32_e64 v113, 0, v113, s12
	v_cndmask_b32_e32 v3, v116, v3, vcc_lo
	v_cndmask_b32_e64 v113, v113, 0x77, vcc_lo
	v_lshl_add_u32 v116, 0x100000, v113, -1
	v_lshlrev_b32_e64 v124, v113, 0x80000
	v_and_b32_e32 v116, v116, v3
	v_cmp_eq_u32_e64 s12, v116, v124
	v_lshrrev_b32_e32 v116, v113, v3
	v_add_nc_u32_e32 v3, 0xffffff89, v16
	v_lshrrev_b32_e32 v16, 23, v116
	v_cndmask_b32_e64 v3, v3, 0xffffff8a, vcc_lo
	v_xor_b32_e32 v16, 1, v16
	v_add_nc_u32_e32 v3, v113, v3
	v_bfe_u32 v113, v116, 20, 1
	v_add_nc_u32_e32 v113, -1, v113
	v_cndmask_b32_e64 v113, 0, v113, s12
	s_mov_b32 s12, exec_lo
	v_add_nc_u32_e32 v113, v113, v116
	v_and_b32_e32 v113, 0xfffff, v113
	v_add_nc_u32_e32 v124, v113, v116
	v_cmpx_ne_u32_e64 v3, v16
	s_xor_b32 s12, exec_lo, s12
; %bb.4235:                             ;   in Loop: Header=BB6_3020 Depth=2
	v_cmp_lt_u32_e32 vcc_lo, 0xffffff, v124
	v_sub_nc_u32_e32 v3, v3, v16
	v_cndmask_b32_e64 v16, 0, 1, vcc_lo
	v_add_co_ci_u32_e64 v125, null, 0, v3, vcc_lo
	v_lshrrev_b32_e32 v124, v16, v124
; %bb.4236:                             ;   in Loop: Header=BB6_3020 Depth=2
	s_andn2_saveexec_b32 s12, s12
; %bb.4237:                             ;   in Loop: Header=BB6_3020 Depth=2
	v_bfe_u32 v125, v124, 23, 1
; %bb.4238:                             ;   in Loop: Header=BB6_3020 Depth=2
	s_or_b32 exec_lo, exec_lo, s12
	v_lshrrev_b32_e32 v3, 20, v124
	v_min_i32_e32 v16, 15, v125
	v_cmp_gt_i32_e32 vcc_lo, 16, v125
	v_and_b32_sdwa v2, v2, v119 dst_sel:DWORD dst_unused:UNUSED_PAD src0_sel:BYTE_3 src1_sel:DWORD
	v_lshlrev_b32_e32 v16, 3, v16
	v_cndmask_b32_e32 v3, 7, v3, vcc_lo
	v_and_b32_e32 v16, 0xf8, v16
	v_or_b32_e32 v113, v125, v3
	v_and_b32_e32 v3, 7, v3
	v_cmp_ne_u32_e32 vcc_lo, 0, v113
	v_or3_b32 v2, v16, v2, v3
	v_cndmask_b32_e32 v16, 0, v2, vcc_lo
.LBB6_4239:                             ;   in Loop: Header=BB6_3020 Depth=2
	s_or_b32 exec_lo, exec_lo, s27
.LBB6_4240:                             ;   in Loop: Header=BB6_3020 Depth=2
	s_or_b32 exec_lo, exec_lo, s26
	v_cmp_gt_i16_sdwa s26, v17, v115 src0_sel:BYTE_1 src1_sel:DWORD
	s_mov_b32 s12, 0
	s_and_saveexec_b32 s27, s26
	s_xor_b32 s26, exec_lo, s27
	s_cbranch_execz .LBB6_4542
; %bb.4241:                             ;   in Loop: Header=BB6_3020 Depth=2
	v_cmp_eq_u16_sdwa s28, v17, v119 src0_sel:BYTE_1 src1_sel:DWORD
	s_mov_b32 s12, -1
	s_and_saveexec_b32 s27, s28
; %bb.4242:                             ;   in Loop: Header=BB6_3020 Depth=2
	s_xor_b32 s12, exec_lo, -1
; %bb.4243:                             ;   in Loop: Header=BB6_3020 Depth=2
	s_or_b32 exec_lo, exec_lo, s27
	s_and_b32 s12, s12, exec_lo
	s_or_saveexec_b32 s26, s26
	v_mov_b32_e32 v2, 0x7f800001
	s_xor_b32 exec_lo, exec_lo, s26
	s_cbranch_execnz .LBB6_4543
.LBB6_4244:                             ;   in Loop: Header=BB6_3020 Depth=2
	s_or_b32 exec_lo, exec_lo, s26
	s_and_saveexec_b32 s26, s12
	s_cbranch_execz .LBB6_4246
.LBB6_4245:                             ;   in Loop: Header=BB6_3020 Depth=2
	v_and_b32_sdwa v2, v41, v17 dst_sel:DWORD dst_unused:UNUSED_PAD src0_sel:DWORD src1_sel:BYTE_1
	v_and_b32_e32 v3, 7, v2
	v_bfe_u32 v124, v2, 3, 4
	v_ffbh_u32_e32 v113, v3
	v_cmp_eq_u32_e32 vcc_lo, 0, v124
	v_min_u32_e32 v113, 32, v113
	v_subrev_nc_u32_e32 v116, 28, v113
	v_sub_nc_u32_e32 v113, 29, v113
	v_lshlrev_b32_e32 v2, v116, v2
	v_lshlrev_b32_sdwa v116, v47, v17 dst_sel:DWORD dst_unused:UNUSED_PAD src0_sel:DWORD src1_sel:BYTE_1
	v_cndmask_b32_e32 v113, v124, v113, vcc_lo
	v_and_b32_e32 v2, 7, v2
	v_lshl_add_u32 v113, v113, 23, 0x3b800000
	v_cndmask_b32_e32 v2, v3, v2, vcc_lo
	v_and_b32_e32 v3, 0x80000000, v116
	v_lshlrev_b32_e32 v2, 20, v2
	v_or3_b32 v2, v3, v113, v2
.LBB6_4246:                             ;   in Loop: Header=BB6_3020 Depth=2
	s_or_b32 exec_lo, exec_lo, s26
	v_cmp_gt_i16_sdwa s26, v13, v115 src0_sel:BYTE_1 src1_sel:DWORD
	s_mov_b32 s12, 0
	s_and_saveexec_b32 s27, s26
	s_xor_b32 s26, exec_lo, s27
	s_cbranch_execz .LBB6_4544
; %bb.4247:                             ;   in Loop: Header=BB6_3020 Depth=2
	v_cmp_eq_u16_sdwa s28, v13, v119 src0_sel:BYTE_1 src1_sel:DWORD
	s_mov_b32 s12, -1
	s_and_saveexec_b32 s27, s28
; %bb.4248:                             ;   in Loop: Header=BB6_3020 Depth=2
	s_xor_b32 s12, exec_lo, -1
; %bb.4249:                             ;   in Loop: Header=BB6_3020 Depth=2
	s_or_b32 exec_lo, exec_lo, s27
	s_and_b32 s12, s12, exec_lo
	s_or_saveexec_b32 s26, s26
	v_mov_b32_e32 v3, 0x7f800001
	s_xor_b32 exec_lo, exec_lo, s26
	s_cbranch_execnz .LBB6_4545
.LBB6_4250:                             ;   in Loop: Header=BB6_3020 Depth=2
	s_or_b32 exec_lo, exec_lo, s26
	s_and_saveexec_b32 s26, s12
	s_cbranch_execz .LBB6_4252
.LBB6_4251:                             ;   in Loop: Header=BB6_3020 Depth=2
	v_and_b32_sdwa v3, v41, v13 dst_sel:DWORD dst_unused:UNUSED_PAD src0_sel:DWORD src1_sel:BYTE_1
	v_and_b32_e32 v113, 7, v3
	v_bfe_u32 v125, v3, 3, 4
	v_ffbh_u32_e32 v116, v113
	v_cmp_eq_u32_e32 vcc_lo, 0, v125
	v_min_u32_e32 v116, 32, v116
	v_subrev_nc_u32_e32 v124, 28, v116
	v_sub_nc_u32_e32 v116, 29, v116
	v_lshlrev_b32_e32 v3, v124, v3
	v_lshlrev_b32_sdwa v124, v47, v13 dst_sel:DWORD dst_unused:UNUSED_PAD src0_sel:DWORD src1_sel:BYTE_1
	v_cndmask_b32_e32 v116, v125, v116, vcc_lo
	v_and_b32_e32 v3, 7, v3
	v_lshl_add_u32 v116, v116, 23, 0x3b800000
	v_cndmask_b32_e32 v3, v113, v3, vcc_lo
	v_and_b32_e32 v113, 0x80000000, v124
	v_lshlrev_b32_e32 v3, 20, v3
	v_or3_b32 v3, v113, v116, v3
.LBB6_4252:                             ;   in Loop: Header=BB6_3020 Depth=2
	s_or_b32 exec_lo, exec_lo, s26
	v_add_f32_e32 v2, v2, v3
	v_mov_b32_e32 v124, 0x8000
	s_mov_b32 s26, exec_lo
	v_and_b32_e32 v3, 0x7f800000, v2
	v_cmpx_ne_u32_e32 0x7f800000, v3
	s_cbranch_execz .LBB6_4260
; %bb.4253:                             ;   in Loop: Header=BB6_3020 Depth=2
	v_mov_b32_e32 v124, 0
	s_mov_b32 s27, exec_lo
	v_cmpx_ne_u32_e32 0, v2
	s_cbranch_execz .LBB6_4259
; %bb.4254:                             ;   in Loop: Header=BB6_3020 Depth=2
	v_bfe_u32 v113, v2, 23, 8
	v_and_b32_e32 v3, 0x7fffff, v2
                                        ; implicit-def: $vgpr126
	v_cmp_gt_u32_e64 s12, 0x79, v113
	v_sub_nc_u32_e32 v116, 0x78, v113
	v_cmp_eq_u32_e32 vcc_lo, 0, v113
	v_or_b32_e32 v124, 0x800000, v3
	v_cndmask_b32_e64 v116, 0, v116, s12
	v_cndmask_b32_e32 v3, v124, v3, vcc_lo
	v_cndmask_b32_e64 v116, v116, 0x77, vcc_lo
	v_lshl_add_u32 v124, 0x100000, v116, -1
	v_lshlrev_b32_e64 v125, v116, 0x80000
	v_and_b32_e32 v124, v124, v3
	v_cmp_eq_u32_e64 s12, v124, v125
	v_lshrrev_b32_e32 v125, v116, v3
	v_add_nc_u32_e32 v3, 0xffffff89, v113
	v_lshrrev_b32_e32 v113, 23, v125
	v_cndmask_b32_e64 v3, v3, 0xffffff8a, vcc_lo
	v_xor_b32_e32 v124, 1, v113
	v_bfe_u32 v113, v125, 20, 1
	v_add_nc_u32_e32 v3, v116, v3
	v_add_nc_u32_e32 v113, -1, v113
	v_cndmask_b32_e64 v113, 0, v113, s12
	s_mov_b32 s12, exec_lo
	v_add_nc_u32_e32 v113, v113, v125
	v_and_b32_e32 v113, 0xfffff, v113
	v_add_nc_u32_e32 v125, v113, v125
	v_cmpx_ne_u32_e64 v3, v124
	s_xor_b32 s12, exec_lo, s12
; %bb.4255:                             ;   in Loop: Header=BB6_3020 Depth=2
	v_cmp_lt_u32_e32 vcc_lo, 0xffffff, v125
	v_sub_nc_u32_e32 v3, v3, v124
	v_cndmask_b32_e64 v113, 0, 1, vcc_lo
	v_add_co_ci_u32_e64 v126, null, 0, v3, vcc_lo
	v_lshrrev_b32_e32 v125, v113, v125
; %bb.4256:                             ;   in Loop: Header=BB6_3020 Depth=2
	s_andn2_saveexec_b32 s12, s12
; %bb.4257:                             ;   in Loop: Header=BB6_3020 Depth=2
	v_bfe_u32 v126, v125, 23, 1
; %bb.4258:                             ;   in Loop: Header=BB6_3020 Depth=2
	s_or_b32 exec_lo, exec_lo, s12
	v_lshrrev_b32_e32 v3, 20, v125
	v_min_i32_e32 v113, 15, v126
	v_cmp_gt_i32_e32 vcc_lo, 16, v126
	v_and_b32_sdwa v2, v2, v119 dst_sel:DWORD dst_unused:UNUSED_PAD src0_sel:BYTE_3 src1_sel:DWORD
	v_lshlrev_b32_e32 v113, 3, v113
	v_cndmask_b32_e32 v3, 7, v3, vcc_lo
	v_and_b32_e32 v113, 0xf8, v113
	v_or_b32_e32 v116, v126, v3
	v_and_b32_e32 v3, 7, v3
	v_cmp_ne_u32_e32 vcc_lo, 0, v116
	v_or3_b32 v2, v2, v113, v3
	v_lshlrev_b32_e32 v2, 8, v2
	v_cndmask_b32_e32 v124, 0, v2, vcc_lo
.LBB6_4259:                             ;   in Loop: Header=BB6_3020 Depth=2
	s_or_b32 exec_lo, exec_lo, s27
.LBB6_4260:                             ;   in Loop: Header=BB6_3020 Depth=2
	s_or_b32 exec_lo, exec_lo, s26
	v_and_b32_sdwa v3, v17, v56 dst_sel:DWORD dst_unused:UNUSED_PAD src0_sel:WORD_1 src1_sel:DWORD
	s_mov_b32 s26, 0
	s_mov_b32 s12, exec_lo
	v_cmpx_lt_i16_e32 0x7f, v3
	s_xor_b32 s12, exec_lo, s12
	s_cbranch_execz .LBB6_4546
; %bb.4261:                             ;   in Loop: Header=BB6_3020 Depth=2
	s_mov_b32 s26, -1
	s_mov_b32 s27, exec_lo
	v_cmpx_eq_u16_e32 0x80, v3
; %bb.4262:                             ;   in Loop: Header=BB6_3020 Depth=2
	s_xor_b32 s26, exec_lo, -1
; %bb.4263:                             ;   in Loop: Header=BB6_3020 Depth=2
	s_or_b32 exec_lo, exec_lo, s27
	s_and_b32 s26, s26, exec_lo
                                        ; implicit-def: $vgpr3
	s_or_saveexec_b32 s12, s12
	v_mov_b32_e32 v2, 0x7f800001
	s_xor_b32 exec_lo, exec_lo, s12
	s_cbranch_execnz .LBB6_4547
.LBB6_4264:                             ;   in Loop: Header=BB6_3020 Depth=2
	s_or_b32 exec_lo, exec_lo, s12
	s_and_saveexec_b32 s12, s26
	s_cbranch_execz .LBB6_4266
.LBB6_4265:                             ;   in Loop: Header=BB6_3020 Depth=2
	v_bfe_u32 v2, v17, 16, 3
	v_bfe_u32 v3, v17, 19, 4
	v_ffbh_u32_e32 v113, v2
	v_cmp_eq_u32_e32 vcc_lo, 0, v3
	v_min_u32_e32 v113, 32, v113
	v_subrev_nc_u32_e32 v116, 28, v113
	v_sub_nc_u32_e32 v113, 29, v113
	v_lshlrev_b32_sdwa v116, v116, v17 dst_sel:DWORD dst_unused:UNUSED_PAD src0_sel:DWORD src1_sel:WORD_1
	v_cndmask_b32_e32 v3, v3, v113, vcc_lo
	v_lshlrev_b32_e32 v113, 8, v17
	v_and_b32_e32 v116, 7, v116
	v_lshl_add_u32 v3, v3, 23, 0x3b800000
	v_and_b32_e32 v113, 0x80000000, v113
	v_cndmask_b32_e32 v2, v2, v116, vcc_lo
	v_lshlrev_b32_e32 v2, 20, v2
	v_or3_b32 v2, v113, v3, v2
.LBB6_4266:                             ;   in Loop: Header=BB6_3020 Depth=2
	s_or_b32 exec_lo, exec_lo, s12
	v_and_b32_sdwa v113, v13, v56 dst_sel:DWORD dst_unused:UNUSED_PAD src0_sel:WORD_1 src1_sel:DWORD
	s_mov_b32 s26, 0
	s_mov_b32 s12, exec_lo
	v_cmpx_lt_i16_e32 0x7f, v113
	s_xor_b32 s12, exec_lo, s12
	s_cbranch_execz .LBB6_4548
; %bb.4267:                             ;   in Loop: Header=BB6_3020 Depth=2
	s_mov_b32 s26, -1
	s_mov_b32 s27, exec_lo
	v_cmpx_eq_u16_e32 0x80, v113
; %bb.4268:                             ;   in Loop: Header=BB6_3020 Depth=2
	s_xor_b32 s26, exec_lo, -1
; %bb.4269:                             ;   in Loop: Header=BB6_3020 Depth=2
	s_or_b32 exec_lo, exec_lo, s27
	s_and_b32 s26, s26, exec_lo
                                        ; implicit-def: $vgpr113
	s_or_saveexec_b32 s12, s12
	v_mov_b32_e32 v3, 0x7f800001
	s_xor_b32 exec_lo, exec_lo, s12
	s_cbranch_execnz .LBB6_4549
.LBB6_4270:                             ;   in Loop: Header=BB6_3020 Depth=2
	s_or_b32 exec_lo, exec_lo, s12
	s_and_saveexec_b32 s12, s26
	s_cbranch_execz .LBB6_4272
.LBB6_4271:                             ;   in Loop: Header=BB6_3020 Depth=2
	v_bfe_u32 v3, v13, 16, 3
	v_bfe_u32 v113, v13, 19, 4
	v_ffbh_u32_e32 v116, v3
	v_cmp_eq_u32_e32 vcc_lo, 0, v113
	v_min_u32_e32 v116, 32, v116
	v_subrev_nc_u32_e32 v125, 28, v116
	v_sub_nc_u32_e32 v116, 29, v116
	v_lshlrev_b32_sdwa v125, v125, v13 dst_sel:DWORD dst_unused:UNUSED_PAD src0_sel:DWORD src1_sel:WORD_1
	v_cndmask_b32_e32 v113, v113, v116, vcc_lo
	v_lshlrev_b32_e32 v116, 8, v13
	v_and_b32_e32 v125, 7, v125
	v_lshl_add_u32 v113, v113, 23, 0x3b800000
	v_and_b32_e32 v116, 0x80000000, v116
	v_cndmask_b32_e32 v3, v3, v125, vcc_lo
	v_lshlrev_b32_e32 v3, 20, v3
	v_or3_b32 v3, v116, v113, v3
.LBB6_4272:                             ;   in Loop: Header=BB6_3020 Depth=2
	s_or_b32 exec_lo, exec_lo, s12
	v_add_f32_e32 v3, v2, v3
	v_and_b32_e32 v2, 0x7f800000, v3
	v_cmp_ne_u32_e32 vcc_lo, 0x7f800000, v2
	v_mov_b32_e32 v2, 0x80
	s_and_saveexec_b32 s26, vcc_lo
	s_cbranch_execz .LBB6_4280
; %bb.4273:                             ;   in Loop: Header=BB6_3020 Depth=2
	v_mov_b32_e32 v2, 0
	s_mov_b32 s27, exec_lo
	v_cmpx_ne_u32_e32 0, v3
	s_cbranch_execz .LBB6_4279
; %bb.4274:                             ;   in Loop: Header=BB6_3020 Depth=2
	v_bfe_u32 v113, v3, 23, 8
	v_and_b32_e32 v2, 0x7fffff, v3
	v_cmp_gt_u32_e64 s12, 0x79, v113
	v_sub_nc_u32_e32 v116, 0x78, v113
	v_cmp_eq_u32_e32 vcc_lo, 0, v113
	v_or_b32_e32 v125, 0x800000, v2
	v_cndmask_b32_e64 v116, 0, v116, s12
	v_cndmask_b32_e32 v2, v125, v2, vcc_lo
	v_cndmask_b32_e64 v116, v116, 0x77, vcc_lo
	v_lshl_add_u32 v125, 0x100000, v116, -1
	v_lshlrev_b32_e64 v126, v116, 0x80000
	v_and_b32_e32 v125, v125, v2
	v_cmp_eq_u32_e64 s12, v125, v126
	v_lshrrev_b32_e32 v126, v116, v2
	v_add_nc_u32_e32 v2, 0xffffff89, v113
	v_lshrrev_b32_e32 v113, 23, v126
	v_cndmask_b32_e64 v2, v2, 0xffffff8a, vcc_lo
	v_xor_b32_e32 v125, 1, v113
	v_bfe_u32 v113, v126, 20, 1
	v_add_nc_u32_e32 v2, v116, v2
	v_add_nc_u32_e32 v113, -1, v113
	v_cndmask_b32_e64 v113, 0, v113, s12
	s_mov_b32 s12, exec_lo
	v_add_nc_u32_e32 v113, v113, v126
	v_and_b32_e32 v113, 0xfffff, v113
	v_add_nc_u32_e32 v126, v113, v126
                                        ; implicit-def: $vgpr113
	v_cmpx_ne_u32_e64 v2, v125
	s_xor_b32 s12, exec_lo, s12
; %bb.4275:                             ;   in Loop: Header=BB6_3020 Depth=2
	v_cmp_lt_u32_e32 vcc_lo, 0xffffff, v126
	v_sub_nc_u32_e32 v2, v2, v125
	v_cndmask_b32_e64 v116, 0, 1, vcc_lo
	v_add_co_ci_u32_e64 v113, null, 0, v2, vcc_lo
	v_lshrrev_b32_e32 v126, v116, v126
; %bb.4276:                             ;   in Loop: Header=BB6_3020 Depth=2
	s_andn2_saveexec_b32 s12, s12
; %bb.4277:                             ;   in Loop: Header=BB6_3020 Depth=2
	v_bfe_u32 v113, v126, 23, 1
; %bb.4278:                             ;   in Loop: Header=BB6_3020 Depth=2
	s_or_b32 exec_lo, exec_lo, s12
	v_and_b32_sdwa v2, v3, v119 dst_sel:DWORD dst_unused:UNUSED_PAD src0_sel:BYTE_3 src1_sel:DWORD
	v_lshrrev_b32_e32 v3, 20, v126
	v_min_i32_e32 v116, 15, v113
	v_cmp_gt_i32_e32 vcc_lo, 16, v113
	v_lshlrev_b32_e32 v116, 3, v116
	v_cndmask_b32_e32 v3, 7, v3, vcc_lo
	v_and_b32_e32 v116, 0xf8, v116
	v_or_b32_e32 v113, v113, v3
	v_and_b32_e32 v3, 7, v3
	v_cmp_ne_u32_e32 vcc_lo, 0, v113
	v_or3_b32 v2, v116, v2, v3
	v_cndmask_b32_e32 v2, 0, v2, vcc_lo
.LBB6_4279:                             ;   in Loop: Header=BB6_3020 Depth=2
	s_or_b32 exec_lo, exec_lo, s27
.LBB6_4280:                             ;   in Loop: Header=BB6_3020 Depth=2
	s_or_b32 exec_lo, exec_lo, s26
	v_cmp_gt_i16_sdwa s26, v17, v115 src0_sel:BYTE_3 src1_sel:DWORD
	s_mov_b32 s12, 0
	s_and_saveexec_b32 s27, s26
	s_xor_b32 s26, exec_lo, s27
	s_cbranch_execz .LBB6_4550
; %bb.4281:                             ;   in Loop: Header=BB6_3020 Depth=2
	v_cmp_eq_u16_sdwa s28, v17, v119 src0_sel:BYTE_3 src1_sel:DWORD
	s_mov_b32 s12, -1
	s_and_saveexec_b32 s27, s28
; %bb.4282:                             ;   in Loop: Header=BB6_3020 Depth=2
	s_xor_b32 s12, exec_lo, -1
; %bb.4283:                             ;   in Loop: Header=BB6_3020 Depth=2
	s_or_b32 exec_lo, exec_lo, s27
	s_and_b32 s12, s12, exec_lo
	s_or_saveexec_b32 s26, s26
	v_mov_b32_e32 v3, 0x7f800001
	s_xor_b32 exec_lo, exec_lo, s26
	s_cbranch_execnz .LBB6_4551
.LBB6_4284:                             ;   in Loop: Header=BB6_3020 Depth=2
	s_or_b32 exec_lo, exec_lo, s26
	s_and_saveexec_b32 s26, s12
	s_cbranch_execz .LBB6_4286
.LBB6_4285:                             ;   in Loop: Header=BB6_3020 Depth=2
	v_bfe_u32 v3, v17, 24, 3
	v_bfe_u32 v125, v17, 27, 4
	v_ffbh_u32_e32 v113, v3
	v_cmp_eq_u32_e32 vcc_lo, 0, v125
	v_min_u32_e32 v113, 32, v113
	v_subrev_nc_u32_e32 v116, 28, v113
	v_sub_nc_u32_e32 v113, 29, v113
	v_lshlrev_b32_sdwa v116, v116, v17 dst_sel:DWORD dst_unused:UNUSED_PAD src0_sel:DWORD src1_sel:BYTE_3
	v_cndmask_b32_e32 v113, v125, v113, vcc_lo
	v_and_b32_e32 v17, 0x80000000, v17
	v_and_b32_e32 v116, 7, v116
	v_lshl_add_u32 v113, v113, 23, 0x3b800000
	v_cndmask_b32_e32 v3, v3, v116, vcc_lo
	v_lshlrev_b32_e32 v3, 20, v3
	v_or3_b32 v3, v17, v113, v3
.LBB6_4286:                             ;   in Loop: Header=BB6_3020 Depth=2
	s_or_b32 exec_lo, exec_lo, s26
	v_cmp_gt_i16_sdwa s26, v13, v115 src0_sel:BYTE_3 src1_sel:DWORD
	s_mov_b32 s12, 0
	s_and_saveexec_b32 s27, s26
	s_xor_b32 s26, exec_lo, s27
	s_cbranch_execz .LBB6_4552
; %bb.4287:                             ;   in Loop: Header=BB6_3020 Depth=2
	v_cmp_eq_u16_sdwa s28, v13, v119 src0_sel:BYTE_3 src1_sel:DWORD
	s_mov_b32 s12, -1
	s_and_saveexec_b32 s27, s28
; %bb.4288:                             ;   in Loop: Header=BB6_3020 Depth=2
	s_xor_b32 s12, exec_lo, -1
; %bb.4289:                             ;   in Loop: Header=BB6_3020 Depth=2
	s_or_b32 exec_lo, exec_lo, s27
	s_and_b32 s12, s12, exec_lo
	s_or_saveexec_b32 s26, s26
	v_mov_b32_e32 v17, 0x7f800001
	s_xor_b32 exec_lo, exec_lo, s26
	s_cbranch_execnz .LBB6_4553
.LBB6_4290:                             ;   in Loop: Header=BB6_3020 Depth=2
	s_or_b32 exec_lo, exec_lo, s26
	s_and_saveexec_b32 s26, s12
	s_cbranch_execz .LBB6_4292
.LBB6_4291:                             ;   in Loop: Header=BB6_3020 Depth=2
	v_bfe_u32 v17, v13, 24, 3
	v_bfe_u32 v125, v13, 27, 4
	v_ffbh_u32_e32 v113, v17
	v_cmp_eq_u32_e32 vcc_lo, 0, v125
	v_min_u32_e32 v113, 32, v113
	v_subrev_nc_u32_e32 v116, 28, v113
	v_sub_nc_u32_e32 v113, 29, v113
	v_lshlrev_b32_sdwa v116, v116, v13 dst_sel:DWORD dst_unused:UNUSED_PAD src0_sel:DWORD src1_sel:BYTE_3
	v_cndmask_b32_e32 v113, v125, v113, vcc_lo
	v_and_b32_e32 v13, 0x80000000, v13
	v_and_b32_e32 v116, 7, v116
	v_lshl_add_u32 v113, v113, 23, 0x3b800000
	v_cndmask_b32_e32 v17, v17, v116, vcc_lo
	v_lshlrev_b32_e32 v17, 20, v17
	v_or3_b32 v17, v13, v113, v17
.LBB6_4292:                             ;   in Loop: Header=BB6_3020 Depth=2
	s_or_b32 exec_lo, exec_lo, s26
	v_add_f32_e32 v3, v3, v17
	v_and_b32_e32 v13, 0x7f800000, v3
	v_cmp_ne_u32_e32 vcc_lo, 0x7f800000, v13
	v_mov_b32_e32 v13, 0x8000
	s_and_saveexec_b32 s26, vcc_lo
	s_cbranch_execz .LBB6_3019
; %bb.4293:                             ;   in Loop: Header=BB6_3020 Depth=2
	v_mov_b32_e32 v13, 0
	s_mov_b32 s27, exec_lo
	v_cmpx_ne_u32_e32 0, v3
	s_cbranch_execz .LBB6_3018
; %bb.4294:                             ;   in Loop: Header=BB6_3020 Depth=2
	v_bfe_u32 v17, v3, 23, 8
	v_and_b32_e32 v13, 0x7fffff, v3
	v_cmp_gt_u32_e64 s12, 0x79, v17
	v_sub_nc_u32_e32 v113, 0x78, v17
	v_cmp_eq_u32_e32 vcc_lo, 0, v17
	v_or_b32_e32 v116, 0x800000, v13
	v_cndmask_b32_e64 v113, 0, v113, s12
	v_cndmask_b32_e32 v13, v116, v13, vcc_lo
	v_cndmask_b32_e64 v113, v113, 0x77, vcc_lo
	v_lshl_add_u32 v116, 0x100000, v113, -1
	v_lshlrev_b32_e64 v125, v113, 0x80000
	v_and_b32_e32 v116, v116, v13
	v_cmp_eq_u32_e64 s12, v116, v125
	v_lshrrev_b32_e32 v116, v113, v13
	v_add_nc_u32_e32 v13, 0xffffff89, v17
	v_lshrrev_b32_e32 v17, 23, v116
	v_cndmask_b32_e64 v13, v13, 0xffffff8a, vcc_lo
	v_xor_b32_e32 v17, 1, v17
	v_add_nc_u32_e32 v13, v113, v13
	v_bfe_u32 v113, v116, 20, 1
	v_add_nc_u32_e32 v113, -1, v113
	v_cndmask_b32_e64 v113, 0, v113, s12
	s_mov_b32 s12, exec_lo
	v_add_nc_u32_e32 v113, v113, v116
	v_and_b32_e32 v113, 0xfffff, v113
	v_add_nc_u32_e32 v125, v113, v116
                                        ; implicit-def: $vgpr113
	v_cmpx_ne_u32_e64 v13, v17
	s_xor_b32 s12, exec_lo, s12
; %bb.4295:                             ;   in Loop: Header=BB6_3020 Depth=2
	v_cmp_lt_u32_e32 vcc_lo, 0xffffff, v125
	v_sub_nc_u32_e32 v13, v13, v17
	v_cndmask_b32_e64 v17, 0, 1, vcc_lo
	v_add_co_ci_u32_e64 v113, null, 0, v13, vcc_lo
	v_lshrrev_b32_e32 v125, v17, v125
; %bb.4296:                             ;   in Loop: Header=BB6_3020 Depth=2
	s_andn2_saveexec_b32 s12, s12
	s_cbranch_execz .LBB6_3017
; %bb.4297:                             ;   in Loop: Header=BB6_3020 Depth=2
	v_bfe_u32 v113, v125, 23, 1
	s_branch .LBB6_3017
.LBB6_4298:                             ;   in Loop: Header=BB6_3020 Depth=2
	s_or_saveexec_b32 s26, s26
	v_mov_b32_e32 v2, 0x7f800001
	s_xor_b32 exec_lo, exec_lo, s26
	s_cbranch_execz .LBB6_3024
.LBB6_4299:                             ;   in Loop: Header=BB6_3020 Depth=2
	v_cmp_ne_u16_sdwa s27, v48, v30 src0_sel:BYTE_0 src1_sel:DWORD
	v_mov_b32_e32 v2, 0
	s_andn2_b32 s12, s12, exec_lo
	s_and_b32 s27, s27, exec_lo
	s_or_b32 s12, s12, s27
	s_or_b32 exec_lo, exec_lo, s26
	s_and_saveexec_b32 s26, s12
	s_cbranch_execnz .LBB6_3025
	s_branch .LBB6_3026
.LBB6_4300:                             ;   in Loop: Header=BB6_3020 Depth=2
	s_or_saveexec_b32 s26, s26
	v_mov_b32_e32 v3, 0x7f800001
	s_xor_b32 exec_lo, exec_lo, s26
	s_cbranch_execz .LBB6_3030
.LBB6_4301:                             ;   in Loop: Header=BB6_3020 Depth=2
	v_cmp_ne_u16_sdwa s27, v36, v30 src0_sel:BYTE_0 src1_sel:DWORD
	v_mov_b32_e32 v3, 0
	s_andn2_b32 s12, s12, exec_lo
	s_and_b32 s27, s27, exec_lo
	s_or_b32 s12, s12, s27
	s_or_b32 exec_lo, exec_lo, s26
	s_and_saveexec_b32 s26, s12
	s_cbranch_execnz .LBB6_3031
	s_branch .LBB6_3032
.LBB6_4302:                             ;   in Loop: Header=BB6_3020 Depth=2
	s_or_saveexec_b32 s26, s26
	v_mov_b32_e32 v2, 0x7f800001
	s_xor_b32 exec_lo, exec_lo, s26
	s_cbranch_execz .LBB6_3044
.LBB6_4303:                             ;   in Loop: Header=BB6_3020 Depth=2
	v_cmp_ne_u16_sdwa s27, v48, v30 src0_sel:BYTE_1 src1_sel:DWORD
	v_mov_b32_e32 v2, 0
	s_andn2_b32 s12, s12, exec_lo
	s_and_b32 s27, s27, exec_lo
	s_or_b32 s12, s12, s27
	s_or_b32 exec_lo, exec_lo, s26
	s_and_saveexec_b32 s26, s12
	s_cbranch_execnz .LBB6_3045
	s_branch .LBB6_3046
.LBB6_4304:                             ;   in Loop: Header=BB6_3020 Depth=2
	s_or_saveexec_b32 s26, s26
	v_mov_b32_e32 v3, 0x7f800001
	s_xor_b32 exec_lo, exec_lo, s26
	s_cbranch_execz .LBB6_3050
.LBB6_4305:                             ;   in Loop: Header=BB6_3020 Depth=2
	v_cmp_ne_u16_sdwa s27, v36, v30 src0_sel:BYTE_1 src1_sel:DWORD
	v_mov_b32_e32 v3, 0
	s_andn2_b32 s12, s12, exec_lo
	s_and_b32 s27, s27, exec_lo
	s_or_b32 s12, s12, s27
	s_or_b32 exec_lo, exec_lo, s26
	s_and_saveexec_b32 s26, s12
	s_cbranch_execnz .LBB6_3051
	s_branch .LBB6_3052
.LBB6_4306:                             ;   in Loop: Header=BB6_3020 Depth=2
	s_or_saveexec_b32 s26, s26
	v_mov_b32_e32 v2, 0x7f800001
	s_xor_b32 exec_lo, exec_lo, s26
	s_cbranch_execz .LBB6_3064
.LBB6_4307:                             ;   in Loop: Header=BB6_3020 Depth=2
	v_cmp_ne_u16_e32 vcc_lo, 0, v3
	v_mov_b32_e32 v2, 0
	s_andn2_b32 s12, s12, exec_lo
	s_and_b32 s27, vcc_lo, exec_lo
	s_or_b32 s12, s12, s27
	s_or_b32 exec_lo, exec_lo, s26
	s_and_saveexec_b32 s26, s12
	s_cbranch_execnz .LBB6_3065
	s_branch .LBB6_3066
.LBB6_4308:                             ;   in Loop: Header=BB6_3020 Depth=2
	s_or_saveexec_b32 s26, s26
	v_mov_b32_e32 v3, 0x7f800001
	s_xor_b32 exec_lo, exec_lo, s26
	s_cbranch_execz .LBB6_3070
.LBB6_4309:                             ;   in Loop: Header=BB6_3020 Depth=2
	v_cmp_ne_u16_e32 vcc_lo, 0, v113
	v_mov_b32_e32 v3, 0
	s_andn2_b32 s12, s12, exec_lo
	s_and_b32 s27, vcc_lo, exec_lo
	s_or_b32 s12, s12, s27
	s_or_b32 exec_lo, exec_lo, s26
	s_and_saveexec_b32 s26, s12
	s_cbranch_execnz .LBB6_3071
	s_branch .LBB6_3072
.LBB6_4310:                             ;   in Loop: Header=BB6_3020 Depth=2
	s_or_saveexec_b32 s26, s26
	v_mov_b32_e32 v2, 0x7f800001
	s_xor_b32 exec_lo, exec_lo, s26
	s_cbranch_execz .LBB6_3084
.LBB6_4311:                             ;   in Loop: Header=BB6_3020 Depth=2
	v_cmp_ne_u16_sdwa s27, v48, v30 src0_sel:BYTE_3 src1_sel:DWORD
	v_mov_b32_e32 v2, 0
	s_andn2_b32 s12, s12, exec_lo
	s_and_b32 s27, s27, exec_lo
	s_or_b32 s12, s12, s27
	s_or_b32 exec_lo, exec_lo, s26
	s_and_saveexec_b32 s26, s12
	s_cbranch_execnz .LBB6_3085
	s_branch .LBB6_3086
.LBB6_4312:                             ;   in Loop: Header=BB6_3020 Depth=2
	s_or_saveexec_b32 s26, s26
	v_mov_b32_e32 v3, 0x7f800001
	s_xor_b32 exec_lo, exec_lo, s26
	s_cbranch_execz .LBB6_3090
.LBB6_4313:                             ;   in Loop: Header=BB6_3020 Depth=2
	v_cmp_ne_u16_sdwa s27, v36, v30 src0_sel:BYTE_3 src1_sel:DWORD
	v_mov_b32_e32 v3, 0
	s_andn2_b32 s12, s12, exec_lo
	s_and_b32 s27, s27, exec_lo
	s_or_b32 s12, s12, s27
	s_or_b32 exec_lo, exec_lo, s26
	s_and_saveexec_b32 s26, s12
	s_cbranch_execnz .LBB6_3091
	s_branch .LBB6_3092
.LBB6_4314:                             ;   in Loop: Header=BB6_3020 Depth=2
	s_or_saveexec_b32 s26, s26
	v_mov_b32_e32 v2, 0x7f800001
	s_xor_b32 exec_lo, exec_lo, s26
	s_cbranch_execz .LBB6_3104
.LBB6_4315:                             ;   in Loop: Header=BB6_3020 Depth=2
	v_cmp_ne_u16_sdwa s27, v49, v30 src0_sel:BYTE_0 src1_sel:DWORD
	v_mov_b32_e32 v2, 0
	s_andn2_b32 s12, s12, exec_lo
	s_and_b32 s27, s27, exec_lo
	s_or_b32 s12, s12, s27
	s_or_b32 exec_lo, exec_lo, s26
	s_and_saveexec_b32 s26, s12
	s_cbranch_execnz .LBB6_3105
	s_branch .LBB6_3106
.LBB6_4316:                             ;   in Loop: Header=BB6_3020 Depth=2
	s_or_saveexec_b32 s26, s26
	v_mov_b32_e32 v3, 0x7f800001
	s_xor_b32 exec_lo, exec_lo, s26
	s_cbranch_execz .LBB6_3110
.LBB6_4317:                             ;   in Loop: Header=BB6_3020 Depth=2
	v_cmp_ne_u16_sdwa s27, v37, v30 src0_sel:BYTE_0 src1_sel:DWORD
	v_mov_b32_e32 v3, 0
	s_andn2_b32 s12, s12, exec_lo
	s_and_b32 s27, s27, exec_lo
	s_or_b32 s12, s12, s27
	s_or_b32 exec_lo, exec_lo, s26
	s_and_saveexec_b32 s26, s12
	s_cbranch_execnz .LBB6_3111
	s_branch .LBB6_3112
.LBB6_4318:                             ;   in Loop: Header=BB6_3020 Depth=2
	s_or_saveexec_b32 s26, s26
	v_mov_b32_e32 v2, 0x7f800001
	s_xor_b32 exec_lo, exec_lo, s26
	s_cbranch_execz .LBB6_3124
.LBB6_4319:                             ;   in Loop: Header=BB6_3020 Depth=2
	v_cmp_ne_u16_sdwa s27, v49, v30 src0_sel:BYTE_1 src1_sel:DWORD
	v_mov_b32_e32 v2, 0
	s_andn2_b32 s12, s12, exec_lo
	s_and_b32 s27, s27, exec_lo
	s_or_b32 s12, s12, s27
	s_or_b32 exec_lo, exec_lo, s26
	s_and_saveexec_b32 s26, s12
	s_cbranch_execnz .LBB6_3125
	s_branch .LBB6_3126
.LBB6_4320:                             ;   in Loop: Header=BB6_3020 Depth=2
	s_or_saveexec_b32 s26, s26
	v_mov_b32_e32 v3, 0x7f800001
	s_xor_b32 exec_lo, exec_lo, s26
	s_cbranch_execz .LBB6_3130
.LBB6_4321:                             ;   in Loop: Header=BB6_3020 Depth=2
	v_cmp_ne_u16_sdwa s27, v37, v30 src0_sel:BYTE_1 src1_sel:DWORD
	v_mov_b32_e32 v3, 0
	s_andn2_b32 s12, s12, exec_lo
	s_and_b32 s27, s27, exec_lo
	s_or_b32 s12, s12, s27
	s_or_b32 exec_lo, exec_lo, s26
	s_and_saveexec_b32 s26, s12
	s_cbranch_execnz .LBB6_3131
	s_branch .LBB6_3132
.LBB6_4322:                             ;   in Loop: Header=BB6_3020 Depth=2
	s_or_saveexec_b32 s26, s26
	v_mov_b32_e32 v2, 0x7f800001
	s_xor_b32 exec_lo, exec_lo, s26
	s_cbranch_execz .LBB6_3144
.LBB6_4323:                             ;   in Loop: Header=BB6_3020 Depth=2
	v_cmp_ne_u16_e32 vcc_lo, 0, v3
	v_mov_b32_e32 v2, 0
	s_andn2_b32 s12, s12, exec_lo
	s_and_b32 s27, vcc_lo, exec_lo
	s_or_b32 s12, s12, s27
	s_or_b32 exec_lo, exec_lo, s26
	s_and_saveexec_b32 s26, s12
	s_cbranch_execnz .LBB6_3145
	s_branch .LBB6_3146
.LBB6_4324:                             ;   in Loop: Header=BB6_3020 Depth=2
	s_or_saveexec_b32 s26, s26
	v_mov_b32_e32 v3, 0x7f800001
	s_xor_b32 exec_lo, exec_lo, s26
	s_cbranch_execz .LBB6_3150
.LBB6_4325:                             ;   in Loop: Header=BB6_3020 Depth=2
	v_cmp_ne_u16_e32 vcc_lo, 0, v113
	v_mov_b32_e32 v3, 0
	s_andn2_b32 s12, s12, exec_lo
	s_and_b32 s27, vcc_lo, exec_lo
	s_or_b32 s12, s12, s27
	s_or_b32 exec_lo, exec_lo, s26
	s_and_saveexec_b32 s26, s12
	s_cbranch_execnz .LBB6_3151
	s_branch .LBB6_3152
.LBB6_4326:                             ;   in Loop: Header=BB6_3020 Depth=2
	s_or_saveexec_b32 s26, s26
	v_mov_b32_e32 v2, 0x7f800001
	s_xor_b32 exec_lo, exec_lo, s26
	s_cbranch_execz .LBB6_3164
.LBB6_4327:                             ;   in Loop: Header=BB6_3020 Depth=2
	v_cmp_ne_u16_sdwa s27, v49, v30 src0_sel:BYTE_3 src1_sel:DWORD
	v_mov_b32_e32 v2, 0
	s_andn2_b32 s12, s12, exec_lo
	s_and_b32 s27, s27, exec_lo
	s_or_b32 s12, s12, s27
	s_or_b32 exec_lo, exec_lo, s26
	s_and_saveexec_b32 s26, s12
	s_cbranch_execnz .LBB6_3165
	s_branch .LBB6_3166
.LBB6_4328:                             ;   in Loop: Header=BB6_3020 Depth=2
	s_or_saveexec_b32 s26, s26
	v_mov_b32_e32 v3, 0x7f800001
	s_xor_b32 exec_lo, exec_lo, s26
	s_cbranch_execz .LBB6_3170
.LBB6_4329:                             ;   in Loop: Header=BB6_3020 Depth=2
	v_cmp_ne_u16_sdwa s27, v37, v30 src0_sel:BYTE_3 src1_sel:DWORD
	v_mov_b32_e32 v3, 0
	s_andn2_b32 s12, s12, exec_lo
	s_and_b32 s27, s27, exec_lo
	s_or_b32 s12, s12, s27
	s_or_b32 exec_lo, exec_lo, s26
	s_and_saveexec_b32 s26, s12
	s_cbranch_execnz .LBB6_3171
	s_branch .LBB6_3172
.LBB6_4330:                             ;   in Loop: Header=BB6_3020 Depth=2
	s_or_saveexec_b32 s26, s26
	v_mov_b32_e32 v2, 0x7f800001
	s_xor_b32 exec_lo, exec_lo, s26
	s_cbranch_execz .LBB6_3184
.LBB6_4331:                             ;   in Loop: Header=BB6_3020 Depth=2
	v_cmp_ne_u16_sdwa s27, v50, v30 src0_sel:BYTE_0 src1_sel:DWORD
	v_mov_b32_e32 v2, 0
	s_andn2_b32 s12, s12, exec_lo
	s_and_b32 s27, s27, exec_lo
	s_or_b32 s12, s12, s27
	s_or_b32 exec_lo, exec_lo, s26
	s_and_saveexec_b32 s26, s12
	s_cbranch_execnz .LBB6_3185
	s_branch .LBB6_3186
.LBB6_4332:                             ;   in Loop: Header=BB6_3020 Depth=2
	s_or_saveexec_b32 s26, s26
	v_mov_b32_e32 v3, 0x7f800001
	s_xor_b32 exec_lo, exec_lo, s26
	s_cbranch_execz .LBB6_3190
.LBB6_4333:                             ;   in Loop: Header=BB6_3020 Depth=2
	v_cmp_ne_u16_sdwa s27, v38, v30 src0_sel:BYTE_0 src1_sel:DWORD
	v_mov_b32_e32 v3, 0
	s_andn2_b32 s12, s12, exec_lo
	s_and_b32 s27, s27, exec_lo
	s_or_b32 s12, s12, s27
	s_or_b32 exec_lo, exec_lo, s26
	s_and_saveexec_b32 s26, s12
	s_cbranch_execnz .LBB6_3191
	s_branch .LBB6_3192
.LBB6_4334:                             ;   in Loop: Header=BB6_3020 Depth=2
	s_or_saveexec_b32 s26, s26
	v_mov_b32_e32 v2, 0x7f800001
	s_xor_b32 exec_lo, exec_lo, s26
	s_cbranch_execz .LBB6_3204
.LBB6_4335:                             ;   in Loop: Header=BB6_3020 Depth=2
	v_cmp_ne_u16_sdwa s27, v50, v30 src0_sel:BYTE_1 src1_sel:DWORD
	v_mov_b32_e32 v2, 0
	s_andn2_b32 s12, s12, exec_lo
	s_and_b32 s27, s27, exec_lo
	s_or_b32 s12, s12, s27
	s_or_b32 exec_lo, exec_lo, s26
	s_and_saveexec_b32 s26, s12
	s_cbranch_execnz .LBB6_3205
	s_branch .LBB6_3206
.LBB6_4336:                             ;   in Loop: Header=BB6_3020 Depth=2
	s_or_saveexec_b32 s26, s26
	v_mov_b32_e32 v3, 0x7f800001
	s_xor_b32 exec_lo, exec_lo, s26
	s_cbranch_execz .LBB6_3210
.LBB6_4337:                             ;   in Loop: Header=BB6_3020 Depth=2
	v_cmp_ne_u16_sdwa s27, v38, v30 src0_sel:BYTE_1 src1_sel:DWORD
	v_mov_b32_e32 v3, 0
	s_andn2_b32 s12, s12, exec_lo
	s_and_b32 s27, s27, exec_lo
	s_or_b32 s12, s12, s27
	s_or_b32 exec_lo, exec_lo, s26
	s_and_saveexec_b32 s26, s12
	s_cbranch_execnz .LBB6_3211
	s_branch .LBB6_3212
.LBB6_4338:                             ;   in Loop: Header=BB6_3020 Depth=2
	s_or_saveexec_b32 s26, s26
	v_mov_b32_e32 v2, 0x7f800001
	s_xor_b32 exec_lo, exec_lo, s26
	s_cbranch_execz .LBB6_3224
.LBB6_4339:                             ;   in Loop: Header=BB6_3020 Depth=2
	v_cmp_ne_u16_e32 vcc_lo, 0, v3
	v_mov_b32_e32 v2, 0
	s_andn2_b32 s12, s12, exec_lo
	s_and_b32 s27, vcc_lo, exec_lo
	s_or_b32 s12, s12, s27
	s_or_b32 exec_lo, exec_lo, s26
	s_and_saveexec_b32 s26, s12
	s_cbranch_execnz .LBB6_3225
	s_branch .LBB6_3226
.LBB6_4340:                             ;   in Loop: Header=BB6_3020 Depth=2
	s_or_saveexec_b32 s26, s26
	v_mov_b32_e32 v3, 0x7f800001
	s_xor_b32 exec_lo, exec_lo, s26
	s_cbranch_execz .LBB6_3230
.LBB6_4341:                             ;   in Loop: Header=BB6_3020 Depth=2
	v_cmp_ne_u16_e32 vcc_lo, 0, v113
	v_mov_b32_e32 v3, 0
	s_andn2_b32 s12, s12, exec_lo
	s_and_b32 s27, vcc_lo, exec_lo
	s_or_b32 s12, s12, s27
	s_or_b32 exec_lo, exec_lo, s26
	s_and_saveexec_b32 s26, s12
	s_cbranch_execnz .LBB6_3231
	s_branch .LBB6_3232
.LBB6_4342:                             ;   in Loop: Header=BB6_3020 Depth=2
	s_or_saveexec_b32 s26, s26
	v_mov_b32_e32 v2, 0x7f800001
	s_xor_b32 exec_lo, exec_lo, s26
	s_cbranch_execz .LBB6_3244
.LBB6_4343:                             ;   in Loop: Header=BB6_3020 Depth=2
	v_cmp_ne_u16_sdwa s27, v50, v30 src0_sel:BYTE_3 src1_sel:DWORD
	v_mov_b32_e32 v2, 0
	s_andn2_b32 s12, s12, exec_lo
	s_and_b32 s27, s27, exec_lo
	s_or_b32 s12, s12, s27
	s_or_b32 exec_lo, exec_lo, s26
	s_and_saveexec_b32 s26, s12
	s_cbranch_execnz .LBB6_3245
	s_branch .LBB6_3246
.LBB6_4344:                             ;   in Loop: Header=BB6_3020 Depth=2
	s_or_saveexec_b32 s26, s26
	v_mov_b32_e32 v3, 0x7f800001
	s_xor_b32 exec_lo, exec_lo, s26
	s_cbranch_execz .LBB6_3250
.LBB6_4345:                             ;   in Loop: Header=BB6_3020 Depth=2
	v_cmp_ne_u16_sdwa s27, v38, v30 src0_sel:BYTE_3 src1_sel:DWORD
	v_mov_b32_e32 v3, 0
	s_andn2_b32 s12, s12, exec_lo
	s_and_b32 s27, s27, exec_lo
	s_or_b32 s12, s12, s27
	s_or_b32 exec_lo, exec_lo, s26
	s_and_saveexec_b32 s26, s12
	s_cbranch_execnz .LBB6_3251
	s_branch .LBB6_3252
.LBB6_4346:                             ;   in Loop: Header=BB6_3020 Depth=2
	s_or_saveexec_b32 s26, s26
	v_mov_b32_e32 v2, 0x7f800001
	s_xor_b32 exec_lo, exec_lo, s26
	s_cbranch_execz .LBB6_3264
.LBB6_4347:                             ;   in Loop: Header=BB6_3020 Depth=2
	v_cmp_ne_u16_sdwa s27, v51, v30 src0_sel:BYTE_0 src1_sel:DWORD
	v_mov_b32_e32 v2, 0
	s_andn2_b32 s12, s12, exec_lo
	s_and_b32 s27, s27, exec_lo
	s_or_b32 s12, s12, s27
	s_or_b32 exec_lo, exec_lo, s26
	s_and_saveexec_b32 s26, s12
	s_cbranch_execnz .LBB6_3265
	s_branch .LBB6_3266
.LBB6_4348:                             ;   in Loop: Header=BB6_3020 Depth=2
	s_or_saveexec_b32 s26, s26
	v_mov_b32_e32 v3, 0x7f800001
	s_xor_b32 exec_lo, exec_lo, s26
	s_cbranch_execz .LBB6_3270
.LBB6_4349:                             ;   in Loop: Header=BB6_3020 Depth=2
	v_cmp_ne_u16_sdwa s27, v39, v30 src0_sel:BYTE_0 src1_sel:DWORD
	v_mov_b32_e32 v3, 0
	s_andn2_b32 s12, s12, exec_lo
	s_and_b32 s27, s27, exec_lo
	s_or_b32 s12, s12, s27
	s_or_b32 exec_lo, exec_lo, s26
	s_and_saveexec_b32 s26, s12
	s_cbranch_execnz .LBB6_3271
	s_branch .LBB6_3272
.LBB6_4350:                             ;   in Loop: Header=BB6_3020 Depth=2
	s_or_saveexec_b32 s26, s26
	v_mov_b32_e32 v2, 0x7f800001
	s_xor_b32 exec_lo, exec_lo, s26
	s_cbranch_execz .LBB6_3284
.LBB6_4351:                             ;   in Loop: Header=BB6_3020 Depth=2
	v_cmp_ne_u16_sdwa s27, v51, v30 src0_sel:BYTE_1 src1_sel:DWORD
	v_mov_b32_e32 v2, 0
	s_andn2_b32 s12, s12, exec_lo
	s_and_b32 s27, s27, exec_lo
	s_or_b32 s12, s12, s27
	s_or_b32 exec_lo, exec_lo, s26
	s_and_saveexec_b32 s26, s12
	s_cbranch_execnz .LBB6_3285
	s_branch .LBB6_3286
.LBB6_4352:                             ;   in Loop: Header=BB6_3020 Depth=2
	s_or_saveexec_b32 s26, s26
	v_mov_b32_e32 v3, 0x7f800001
	s_xor_b32 exec_lo, exec_lo, s26
	s_cbranch_execz .LBB6_3290
.LBB6_4353:                             ;   in Loop: Header=BB6_3020 Depth=2
	v_cmp_ne_u16_sdwa s27, v39, v30 src0_sel:BYTE_1 src1_sel:DWORD
	v_mov_b32_e32 v3, 0
	s_andn2_b32 s12, s12, exec_lo
	s_and_b32 s27, s27, exec_lo
	s_or_b32 s12, s12, s27
	s_or_b32 exec_lo, exec_lo, s26
	s_and_saveexec_b32 s26, s12
	s_cbranch_execnz .LBB6_3291
	s_branch .LBB6_3292
.LBB6_4354:                             ;   in Loop: Header=BB6_3020 Depth=2
	s_or_saveexec_b32 s26, s26
	v_mov_b32_e32 v2, 0x7f800001
	s_xor_b32 exec_lo, exec_lo, s26
	s_cbranch_execz .LBB6_3304
.LBB6_4355:                             ;   in Loop: Header=BB6_3020 Depth=2
	v_cmp_ne_u16_e32 vcc_lo, 0, v3
	v_mov_b32_e32 v2, 0
	s_andn2_b32 s12, s12, exec_lo
	s_and_b32 s27, vcc_lo, exec_lo
	s_or_b32 s12, s12, s27
	s_or_b32 exec_lo, exec_lo, s26
	s_and_saveexec_b32 s26, s12
	s_cbranch_execnz .LBB6_3305
	s_branch .LBB6_3306
.LBB6_4356:                             ;   in Loop: Header=BB6_3020 Depth=2
	s_or_saveexec_b32 s26, s26
	v_mov_b32_e32 v3, 0x7f800001
	s_xor_b32 exec_lo, exec_lo, s26
	s_cbranch_execz .LBB6_3310
.LBB6_4357:                             ;   in Loop: Header=BB6_3020 Depth=2
	v_cmp_ne_u16_e32 vcc_lo, 0, v113
	v_mov_b32_e32 v3, 0
	s_andn2_b32 s12, s12, exec_lo
	s_and_b32 s27, vcc_lo, exec_lo
	s_or_b32 s12, s12, s27
	s_or_b32 exec_lo, exec_lo, s26
	s_and_saveexec_b32 s26, s12
	s_cbranch_execnz .LBB6_3311
	s_branch .LBB6_3312
.LBB6_4358:                             ;   in Loop: Header=BB6_3020 Depth=2
	s_or_saveexec_b32 s26, s26
	v_mov_b32_e32 v2, 0x7f800001
	s_xor_b32 exec_lo, exec_lo, s26
	s_cbranch_execz .LBB6_3324
.LBB6_4359:                             ;   in Loop: Header=BB6_3020 Depth=2
	v_cmp_ne_u16_sdwa s27, v51, v30 src0_sel:BYTE_3 src1_sel:DWORD
	v_mov_b32_e32 v2, 0
	s_andn2_b32 s12, s12, exec_lo
	s_and_b32 s27, s27, exec_lo
	s_or_b32 s12, s12, s27
	s_or_b32 exec_lo, exec_lo, s26
	s_and_saveexec_b32 s26, s12
	s_cbranch_execnz .LBB6_3325
	s_branch .LBB6_3326
.LBB6_4360:                             ;   in Loop: Header=BB6_3020 Depth=2
	s_or_saveexec_b32 s26, s26
	v_mov_b32_e32 v3, 0x7f800001
	s_xor_b32 exec_lo, exec_lo, s26
	s_cbranch_execz .LBB6_3330
.LBB6_4361:                             ;   in Loop: Header=BB6_3020 Depth=2
	v_cmp_ne_u16_sdwa s27, v39, v30 src0_sel:BYTE_3 src1_sel:DWORD
	v_mov_b32_e32 v3, 0
	s_andn2_b32 s12, s12, exec_lo
	s_and_b32 s27, s27, exec_lo
	s_or_b32 s12, s12, s27
	s_or_b32 exec_lo, exec_lo, s26
	s_and_saveexec_b32 s26, s12
	s_cbranch_execnz .LBB6_3331
	s_branch .LBB6_3332
.LBB6_4362:                             ;   in Loop: Header=BB6_3020 Depth=2
	s_or_saveexec_b32 s26, s26
	v_mov_b32_e32 v2, 0x7f800001
	s_xor_b32 exec_lo, exec_lo, s26
	s_cbranch_execz .LBB6_3344
.LBB6_4363:                             ;   in Loop: Header=BB6_3020 Depth=2
	v_cmp_ne_u16_sdwa s27, v32, v30 src0_sel:BYTE_0 src1_sel:DWORD
	v_mov_b32_e32 v2, 0
	s_andn2_b32 s12, s12, exec_lo
	s_and_b32 s27, s27, exec_lo
	s_or_b32 s12, s12, s27
	s_or_b32 exec_lo, exec_lo, s26
	s_and_saveexec_b32 s26, s12
	s_cbranch_execnz .LBB6_3345
	s_branch .LBB6_3346
.LBB6_4364:                             ;   in Loop: Header=BB6_3020 Depth=2
	s_or_saveexec_b32 s26, s26
	v_mov_b32_e32 v3, 0x7f800001
	s_xor_b32 exec_lo, exec_lo, s26
	s_cbranch_execz .LBB6_3350
.LBB6_4365:                             ;   in Loop: Header=BB6_3020 Depth=2
	v_cmp_ne_u16_sdwa s27, v26, v30 src0_sel:BYTE_0 src1_sel:DWORD
	v_mov_b32_e32 v3, 0
	s_andn2_b32 s12, s12, exec_lo
	s_and_b32 s27, s27, exec_lo
	s_or_b32 s12, s12, s27
	s_or_b32 exec_lo, exec_lo, s26
	s_and_saveexec_b32 s26, s12
	s_cbranch_execnz .LBB6_3351
	s_branch .LBB6_3352
.LBB6_4366:                             ;   in Loop: Header=BB6_3020 Depth=2
	s_or_saveexec_b32 s26, s26
	v_mov_b32_e32 v2, 0x7f800001
	s_xor_b32 exec_lo, exec_lo, s26
	s_cbranch_execz .LBB6_3364
.LBB6_4367:                             ;   in Loop: Header=BB6_3020 Depth=2
	v_cmp_ne_u16_sdwa s27, v32, v30 src0_sel:BYTE_1 src1_sel:DWORD
	v_mov_b32_e32 v2, 0
	s_andn2_b32 s12, s12, exec_lo
	s_and_b32 s27, s27, exec_lo
	s_or_b32 s12, s12, s27
	s_or_b32 exec_lo, exec_lo, s26
	s_and_saveexec_b32 s26, s12
	s_cbranch_execnz .LBB6_3365
	s_branch .LBB6_3366
.LBB6_4368:                             ;   in Loop: Header=BB6_3020 Depth=2
	s_or_saveexec_b32 s26, s26
	v_mov_b32_e32 v3, 0x7f800001
	s_xor_b32 exec_lo, exec_lo, s26
	s_cbranch_execz .LBB6_3370
.LBB6_4369:                             ;   in Loop: Header=BB6_3020 Depth=2
	v_cmp_ne_u16_sdwa s27, v26, v30 src0_sel:BYTE_1 src1_sel:DWORD
	v_mov_b32_e32 v3, 0
	s_andn2_b32 s12, s12, exec_lo
	s_and_b32 s27, s27, exec_lo
	s_or_b32 s12, s12, s27
	s_or_b32 exec_lo, exec_lo, s26
	s_and_saveexec_b32 s26, s12
	s_cbranch_execnz .LBB6_3371
	s_branch .LBB6_3372
.LBB6_4370:                             ;   in Loop: Header=BB6_3020 Depth=2
	s_or_saveexec_b32 s26, s26
	v_mov_b32_e32 v2, 0x7f800001
	s_xor_b32 exec_lo, exec_lo, s26
	s_cbranch_execz .LBB6_3384
.LBB6_4371:                             ;   in Loop: Header=BB6_3020 Depth=2
	v_cmp_ne_u16_e32 vcc_lo, 0, v3
	v_mov_b32_e32 v2, 0
	s_andn2_b32 s12, s12, exec_lo
	s_and_b32 s27, vcc_lo, exec_lo
	s_or_b32 s12, s12, s27
	s_or_b32 exec_lo, exec_lo, s26
	s_and_saveexec_b32 s26, s12
	s_cbranch_execnz .LBB6_3385
	s_branch .LBB6_3386
.LBB6_4372:                             ;   in Loop: Header=BB6_3020 Depth=2
	s_or_saveexec_b32 s26, s26
	v_mov_b32_e32 v3, 0x7f800001
	s_xor_b32 exec_lo, exec_lo, s26
	s_cbranch_execz .LBB6_3390
.LBB6_4373:                             ;   in Loop: Header=BB6_3020 Depth=2
	v_cmp_ne_u16_e32 vcc_lo, 0, v113
	v_mov_b32_e32 v3, 0
	s_andn2_b32 s12, s12, exec_lo
	s_and_b32 s27, vcc_lo, exec_lo
	s_or_b32 s12, s12, s27
	s_or_b32 exec_lo, exec_lo, s26
	s_and_saveexec_b32 s26, s12
	s_cbranch_execnz .LBB6_3391
	s_branch .LBB6_3392
.LBB6_4374:                             ;   in Loop: Header=BB6_3020 Depth=2
	s_or_saveexec_b32 s26, s26
	v_mov_b32_e32 v2, 0x7f800001
	s_xor_b32 exec_lo, exec_lo, s26
	s_cbranch_execz .LBB6_3404
.LBB6_4375:                             ;   in Loop: Header=BB6_3020 Depth=2
	v_cmp_ne_u16_sdwa s27, v32, v30 src0_sel:BYTE_3 src1_sel:DWORD
	v_mov_b32_e32 v2, 0
	s_andn2_b32 s12, s12, exec_lo
	s_and_b32 s27, s27, exec_lo
	s_or_b32 s12, s12, s27
	s_or_b32 exec_lo, exec_lo, s26
	s_and_saveexec_b32 s26, s12
	s_cbranch_execnz .LBB6_3405
	s_branch .LBB6_3406
.LBB6_4376:                             ;   in Loop: Header=BB6_3020 Depth=2
	s_or_saveexec_b32 s26, s26
	v_mov_b32_e32 v3, 0x7f800001
	s_xor_b32 exec_lo, exec_lo, s26
	s_cbranch_execz .LBB6_3410
.LBB6_4377:                             ;   in Loop: Header=BB6_3020 Depth=2
	v_cmp_ne_u16_sdwa s27, v26, v30 src0_sel:BYTE_3 src1_sel:DWORD
	v_mov_b32_e32 v3, 0
	s_andn2_b32 s12, s12, exec_lo
	s_and_b32 s27, s27, exec_lo
	s_or_b32 s12, s12, s27
	s_or_b32 exec_lo, exec_lo, s26
	s_and_saveexec_b32 s26, s12
	s_cbranch_execnz .LBB6_3411
	s_branch .LBB6_3412
.LBB6_4378:                             ;   in Loop: Header=BB6_3020 Depth=2
	s_or_saveexec_b32 s26, s26
	v_mov_b32_e32 v2, 0x7f800001
	s_xor_b32 exec_lo, exec_lo, s26
	s_cbranch_execz .LBB6_3424
.LBB6_4379:                             ;   in Loop: Header=BB6_3020 Depth=2
	v_cmp_ne_u16_sdwa s27, v33, v30 src0_sel:BYTE_0 src1_sel:DWORD
	v_mov_b32_e32 v2, 0
	s_andn2_b32 s12, s12, exec_lo
	s_and_b32 s27, s27, exec_lo
	s_or_b32 s12, s12, s27
	s_or_b32 exec_lo, exec_lo, s26
	s_and_saveexec_b32 s26, s12
	s_cbranch_execnz .LBB6_3425
	s_branch .LBB6_3426
.LBB6_4380:                             ;   in Loop: Header=BB6_3020 Depth=2
	s_or_saveexec_b32 s26, s26
	v_mov_b32_e32 v3, 0x7f800001
	s_xor_b32 exec_lo, exec_lo, s26
	s_cbranch_execz .LBB6_3430
.LBB6_4381:                             ;   in Loop: Header=BB6_3020 Depth=2
	v_cmp_ne_u16_sdwa s27, v27, v30 src0_sel:BYTE_0 src1_sel:DWORD
	v_mov_b32_e32 v3, 0
	s_andn2_b32 s12, s12, exec_lo
	s_and_b32 s27, s27, exec_lo
	s_or_b32 s12, s12, s27
	s_or_b32 exec_lo, exec_lo, s26
	s_and_saveexec_b32 s26, s12
	s_cbranch_execnz .LBB6_3431
	s_branch .LBB6_3432
.LBB6_4382:                             ;   in Loop: Header=BB6_3020 Depth=2
	s_or_saveexec_b32 s26, s26
	v_mov_b32_e32 v2, 0x7f800001
	s_xor_b32 exec_lo, exec_lo, s26
	s_cbranch_execz .LBB6_3444
.LBB6_4383:                             ;   in Loop: Header=BB6_3020 Depth=2
	v_cmp_ne_u16_sdwa s27, v33, v30 src0_sel:BYTE_1 src1_sel:DWORD
	v_mov_b32_e32 v2, 0
	s_andn2_b32 s12, s12, exec_lo
	s_and_b32 s27, s27, exec_lo
	s_or_b32 s12, s12, s27
	s_or_b32 exec_lo, exec_lo, s26
	s_and_saveexec_b32 s26, s12
	s_cbranch_execnz .LBB6_3445
	s_branch .LBB6_3446
.LBB6_4384:                             ;   in Loop: Header=BB6_3020 Depth=2
	s_or_saveexec_b32 s26, s26
	v_mov_b32_e32 v3, 0x7f800001
	s_xor_b32 exec_lo, exec_lo, s26
	s_cbranch_execz .LBB6_3450
.LBB6_4385:                             ;   in Loop: Header=BB6_3020 Depth=2
	v_cmp_ne_u16_sdwa s27, v27, v30 src0_sel:BYTE_1 src1_sel:DWORD
	v_mov_b32_e32 v3, 0
	s_andn2_b32 s12, s12, exec_lo
	s_and_b32 s27, s27, exec_lo
	s_or_b32 s12, s12, s27
	s_or_b32 exec_lo, exec_lo, s26
	s_and_saveexec_b32 s26, s12
	s_cbranch_execnz .LBB6_3451
	s_branch .LBB6_3452
.LBB6_4386:                             ;   in Loop: Header=BB6_3020 Depth=2
	s_or_saveexec_b32 s26, s26
	v_mov_b32_e32 v2, 0x7f800001
	s_xor_b32 exec_lo, exec_lo, s26
	s_cbranch_execz .LBB6_3464
.LBB6_4387:                             ;   in Loop: Header=BB6_3020 Depth=2
	v_cmp_ne_u16_e32 vcc_lo, 0, v3
	v_mov_b32_e32 v2, 0
	s_andn2_b32 s12, s12, exec_lo
	s_and_b32 s27, vcc_lo, exec_lo
	s_or_b32 s12, s12, s27
	s_or_b32 exec_lo, exec_lo, s26
	s_and_saveexec_b32 s26, s12
	s_cbranch_execnz .LBB6_3465
	s_branch .LBB6_3466
.LBB6_4388:                             ;   in Loop: Header=BB6_3020 Depth=2
	s_or_saveexec_b32 s26, s26
	v_mov_b32_e32 v3, 0x7f800001
	s_xor_b32 exec_lo, exec_lo, s26
	s_cbranch_execz .LBB6_3470
.LBB6_4389:                             ;   in Loop: Header=BB6_3020 Depth=2
	v_cmp_ne_u16_e32 vcc_lo, 0, v113
	v_mov_b32_e32 v3, 0
	s_andn2_b32 s12, s12, exec_lo
	s_and_b32 s27, vcc_lo, exec_lo
	s_or_b32 s12, s12, s27
	s_or_b32 exec_lo, exec_lo, s26
	s_and_saveexec_b32 s26, s12
	s_cbranch_execnz .LBB6_3471
	s_branch .LBB6_3472
.LBB6_4390:                             ;   in Loop: Header=BB6_3020 Depth=2
	s_or_saveexec_b32 s26, s26
	v_mov_b32_e32 v2, 0x7f800001
	s_xor_b32 exec_lo, exec_lo, s26
	s_cbranch_execz .LBB6_3484
.LBB6_4391:                             ;   in Loop: Header=BB6_3020 Depth=2
	v_cmp_ne_u16_sdwa s27, v33, v30 src0_sel:BYTE_3 src1_sel:DWORD
	v_mov_b32_e32 v2, 0
	s_andn2_b32 s12, s12, exec_lo
	s_and_b32 s27, s27, exec_lo
	s_or_b32 s12, s12, s27
	s_or_b32 exec_lo, exec_lo, s26
	s_and_saveexec_b32 s26, s12
	s_cbranch_execnz .LBB6_3485
	s_branch .LBB6_3486
.LBB6_4392:                             ;   in Loop: Header=BB6_3020 Depth=2
	s_or_saveexec_b32 s26, s26
	v_mov_b32_e32 v3, 0x7f800001
	s_xor_b32 exec_lo, exec_lo, s26
	s_cbranch_execz .LBB6_3490
.LBB6_4393:                             ;   in Loop: Header=BB6_3020 Depth=2
	v_cmp_ne_u16_sdwa s27, v27, v30 src0_sel:BYTE_3 src1_sel:DWORD
	v_mov_b32_e32 v3, 0
	s_andn2_b32 s12, s12, exec_lo
	s_and_b32 s27, s27, exec_lo
	s_or_b32 s12, s12, s27
	s_or_b32 exec_lo, exec_lo, s26
	s_and_saveexec_b32 s26, s12
	s_cbranch_execnz .LBB6_3491
	s_branch .LBB6_3492
.LBB6_4394:                             ;   in Loop: Header=BB6_3020 Depth=2
	s_or_saveexec_b32 s26, s26
	v_mov_b32_e32 v2, 0x7f800001
	s_xor_b32 exec_lo, exec_lo, s26
	s_cbranch_execz .LBB6_3504
.LBB6_4395:                             ;   in Loop: Header=BB6_3020 Depth=2
	v_cmp_ne_u16_sdwa s27, v34, v30 src0_sel:BYTE_0 src1_sel:DWORD
	v_mov_b32_e32 v2, 0
	s_andn2_b32 s12, s12, exec_lo
	s_and_b32 s27, s27, exec_lo
	s_or_b32 s12, s12, s27
	s_or_b32 exec_lo, exec_lo, s26
	s_and_saveexec_b32 s26, s12
	s_cbranch_execnz .LBB6_3505
	s_branch .LBB6_3506
.LBB6_4396:                             ;   in Loop: Header=BB6_3020 Depth=2
	s_or_saveexec_b32 s26, s26
	v_mov_b32_e32 v3, 0x7f800001
	s_xor_b32 exec_lo, exec_lo, s26
	s_cbranch_execz .LBB6_3510
.LBB6_4397:                             ;   in Loop: Header=BB6_3020 Depth=2
	v_cmp_ne_u16_sdwa s27, v28, v30 src0_sel:BYTE_0 src1_sel:DWORD
	v_mov_b32_e32 v3, 0
	s_andn2_b32 s12, s12, exec_lo
	s_and_b32 s27, s27, exec_lo
	s_or_b32 s12, s12, s27
	s_or_b32 exec_lo, exec_lo, s26
	s_and_saveexec_b32 s26, s12
	s_cbranch_execnz .LBB6_3511
	s_branch .LBB6_3512
.LBB6_4398:                             ;   in Loop: Header=BB6_3020 Depth=2
	s_or_saveexec_b32 s26, s26
	v_mov_b32_e32 v2, 0x7f800001
	s_xor_b32 exec_lo, exec_lo, s26
	s_cbranch_execz .LBB6_3524
.LBB6_4399:                             ;   in Loop: Header=BB6_3020 Depth=2
	v_cmp_ne_u16_sdwa s27, v34, v30 src0_sel:BYTE_1 src1_sel:DWORD
	v_mov_b32_e32 v2, 0
	s_andn2_b32 s12, s12, exec_lo
	s_and_b32 s27, s27, exec_lo
	s_or_b32 s12, s12, s27
	s_or_b32 exec_lo, exec_lo, s26
	s_and_saveexec_b32 s26, s12
	s_cbranch_execnz .LBB6_3525
	s_branch .LBB6_3526
.LBB6_4400:                             ;   in Loop: Header=BB6_3020 Depth=2
	s_or_saveexec_b32 s26, s26
	v_mov_b32_e32 v3, 0x7f800001
	s_xor_b32 exec_lo, exec_lo, s26
	s_cbranch_execz .LBB6_3530
.LBB6_4401:                             ;   in Loop: Header=BB6_3020 Depth=2
	v_cmp_ne_u16_sdwa s27, v28, v30 src0_sel:BYTE_1 src1_sel:DWORD
	v_mov_b32_e32 v3, 0
	s_andn2_b32 s12, s12, exec_lo
	s_and_b32 s27, s27, exec_lo
	s_or_b32 s12, s12, s27
	s_or_b32 exec_lo, exec_lo, s26
	s_and_saveexec_b32 s26, s12
	s_cbranch_execnz .LBB6_3531
	s_branch .LBB6_3532
.LBB6_4402:                             ;   in Loop: Header=BB6_3020 Depth=2
	s_or_saveexec_b32 s26, s26
	v_mov_b32_e32 v2, 0x7f800001
	s_xor_b32 exec_lo, exec_lo, s26
	s_cbranch_execz .LBB6_3544
.LBB6_4403:                             ;   in Loop: Header=BB6_3020 Depth=2
	v_cmp_ne_u16_e32 vcc_lo, 0, v3
	v_mov_b32_e32 v2, 0
	s_andn2_b32 s12, s12, exec_lo
	s_and_b32 s27, vcc_lo, exec_lo
	s_or_b32 s12, s12, s27
	s_or_b32 exec_lo, exec_lo, s26
	s_and_saveexec_b32 s26, s12
	s_cbranch_execnz .LBB6_3545
	s_branch .LBB6_3546
.LBB6_4404:                             ;   in Loop: Header=BB6_3020 Depth=2
	s_or_saveexec_b32 s26, s26
	v_mov_b32_e32 v3, 0x7f800001
	s_xor_b32 exec_lo, exec_lo, s26
	s_cbranch_execz .LBB6_3550
.LBB6_4405:                             ;   in Loop: Header=BB6_3020 Depth=2
	v_cmp_ne_u16_e32 vcc_lo, 0, v113
	v_mov_b32_e32 v3, 0
	s_andn2_b32 s12, s12, exec_lo
	s_and_b32 s27, vcc_lo, exec_lo
	s_or_b32 s12, s12, s27
	s_or_b32 exec_lo, exec_lo, s26
	s_and_saveexec_b32 s26, s12
	s_cbranch_execnz .LBB6_3551
	s_branch .LBB6_3552
.LBB6_4406:                             ;   in Loop: Header=BB6_3020 Depth=2
	s_or_saveexec_b32 s26, s26
	v_mov_b32_e32 v2, 0x7f800001
	s_xor_b32 exec_lo, exec_lo, s26
	s_cbranch_execz .LBB6_3564
.LBB6_4407:                             ;   in Loop: Header=BB6_3020 Depth=2
	v_cmp_ne_u16_sdwa s27, v34, v30 src0_sel:BYTE_3 src1_sel:DWORD
	v_mov_b32_e32 v2, 0
	s_andn2_b32 s12, s12, exec_lo
	s_and_b32 s27, s27, exec_lo
	s_or_b32 s12, s12, s27
	s_or_b32 exec_lo, exec_lo, s26
	s_and_saveexec_b32 s26, s12
	s_cbranch_execnz .LBB6_3565
	s_branch .LBB6_3566
.LBB6_4408:                             ;   in Loop: Header=BB6_3020 Depth=2
	s_or_saveexec_b32 s26, s26
	v_mov_b32_e32 v3, 0x7f800001
	s_xor_b32 exec_lo, exec_lo, s26
	s_cbranch_execz .LBB6_3570
.LBB6_4409:                             ;   in Loop: Header=BB6_3020 Depth=2
	v_cmp_ne_u16_sdwa s27, v28, v30 src0_sel:BYTE_3 src1_sel:DWORD
	v_mov_b32_e32 v3, 0
	s_andn2_b32 s12, s12, exec_lo
	s_and_b32 s27, s27, exec_lo
	s_or_b32 s12, s12, s27
	s_or_b32 exec_lo, exec_lo, s26
	s_and_saveexec_b32 s26, s12
	s_cbranch_execnz .LBB6_3571
	s_branch .LBB6_3572
.LBB6_4410:                             ;   in Loop: Header=BB6_3020 Depth=2
	s_or_saveexec_b32 s26, s26
	v_mov_b32_e32 v2, 0x7f800001
	s_xor_b32 exec_lo, exec_lo, s26
	s_cbranch_execz .LBB6_3584
.LBB6_4411:                             ;   in Loop: Header=BB6_3020 Depth=2
	v_cmp_ne_u16_sdwa s27, v35, v30 src0_sel:BYTE_0 src1_sel:DWORD
	v_mov_b32_e32 v2, 0
	s_andn2_b32 s12, s12, exec_lo
	s_and_b32 s27, s27, exec_lo
	s_or_b32 s12, s12, s27
	s_or_b32 exec_lo, exec_lo, s26
	s_and_saveexec_b32 s26, s12
	s_cbranch_execnz .LBB6_3585
	s_branch .LBB6_3586
.LBB6_4412:                             ;   in Loop: Header=BB6_3020 Depth=2
	s_or_saveexec_b32 s26, s26
	v_mov_b32_e32 v3, 0x7f800001
	s_xor_b32 exec_lo, exec_lo, s26
	s_cbranch_execz .LBB6_3590
.LBB6_4413:                             ;   in Loop: Header=BB6_3020 Depth=2
	v_cmp_ne_u16_sdwa s27, v29, v30 src0_sel:BYTE_0 src1_sel:DWORD
	v_mov_b32_e32 v3, 0
	s_andn2_b32 s12, s12, exec_lo
	s_and_b32 s27, s27, exec_lo
	s_or_b32 s12, s12, s27
	s_or_b32 exec_lo, exec_lo, s26
	s_and_saveexec_b32 s26, s12
	s_cbranch_execnz .LBB6_3591
	s_branch .LBB6_3592
.LBB6_4414:                             ;   in Loop: Header=BB6_3020 Depth=2
	s_or_saveexec_b32 s26, s26
	v_mov_b32_e32 v2, 0x7f800001
	s_xor_b32 exec_lo, exec_lo, s26
	s_cbranch_execz .LBB6_3604
.LBB6_4415:                             ;   in Loop: Header=BB6_3020 Depth=2
	v_cmp_ne_u16_sdwa s27, v35, v30 src0_sel:BYTE_1 src1_sel:DWORD
	v_mov_b32_e32 v2, 0
	s_andn2_b32 s12, s12, exec_lo
	s_and_b32 s27, s27, exec_lo
	s_or_b32 s12, s12, s27
	s_or_b32 exec_lo, exec_lo, s26
	s_and_saveexec_b32 s26, s12
	s_cbranch_execnz .LBB6_3605
	s_branch .LBB6_3606
.LBB6_4416:                             ;   in Loop: Header=BB6_3020 Depth=2
	s_or_saveexec_b32 s26, s26
	v_mov_b32_e32 v3, 0x7f800001
	s_xor_b32 exec_lo, exec_lo, s26
	s_cbranch_execz .LBB6_3610
.LBB6_4417:                             ;   in Loop: Header=BB6_3020 Depth=2
	v_cmp_ne_u16_sdwa s27, v29, v30 src0_sel:BYTE_1 src1_sel:DWORD
	v_mov_b32_e32 v3, 0
	s_andn2_b32 s12, s12, exec_lo
	s_and_b32 s27, s27, exec_lo
	s_or_b32 s12, s12, s27
	s_or_b32 exec_lo, exec_lo, s26
	s_and_saveexec_b32 s26, s12
	s_cbranch_execnz .LBB6_3611
	s_branch .LBB6_3612
.LBB6_4418:                             ;   in Loop: Header=BB6_3020 Depth=2
	s_or_saveexec_b32 s26, s26
	v_mov_b32_e32 v2, 0x7f800001
	s_xor_b32 exec_lo, exec_lo, s26
	s_cbranch_execz .LBB6_3624
.LBB6_4419:                             ;   in Loop: Header=BB6_3020 Depth=2
	v_cmp_ne_u16_e32 vcc_lo, 0, v3
	v_mov_b32_e32 v2, 0
	s_andn2_b32 s12, s12, exec_lo
	s_and_b32 s27, vcc_lo, exec_lo
	s_or_b32 s12, s12, s27
	s_or_b32 exec_lo, exec_lo, s26
	s_and_saveexec_b32 s26, s12
	s_cbranch_execnz .LBB6_3625
	s_branch .LBB6_3626
.LBB6_4420:                             ;   in Loop: Header=BB6_3020 Depth=2
	s_or_saveexec_b32 s26, s26
	v_mov_b32_e32 v3, 0x7f800001
	s_xor_b32 exec_lo, exec_lo, s26
	s_cbranch_execz .LBB6_3630
.LBB6_4421:                             ;   in Loop: Header=BB6_3020 Depth=2
	v_cmp_ne_u16_e32 vcc_lo, 0, v113
	v_mov_b32_e32 v3, 0
	s_andn2_b32 s12, s12, exec_lo
	s_and_b32 s27, vcc_lo, exec_lo
	s_or_b32 s12, s12, s27
	s_or_b32 exec_lo, exec_lo, s26
	s_and_saveexec_b32 s26, s12
	s_cbranch_execnz .LBB6_3631
	s_branch .LBB6_3632
.LBB6_4422:                             ;   in Loop: Header=BB6_3020 Depth=2
	s_or_saveexec_b32 s26, s26
	v_mov_b32_e32 v2, 0x7f800001
	s_xor_b32 exec_lo, exec_lo, s26
	s_cbranch_execz .LBB6_3644
.LBB6_4423:                             ;   in Loop: Header=BB6_3020 Depth=2
	v_cmp_ne_u16_sdwa s27, v35, v30 src0_sel:BYTE_3 src1_sel:DWORD
	v_mov_b32_e32 v2, 0
	s_andn2_b32 s12, s12, exec_lo
	s_and_b32 s27, s27, exec_lo
	s_or_b32 s12, s12, s27
	s_or_b32 exec_lo, exec_lo, s26
	s_and_saveexec_b32 s26, s12
	s_cbranch_execnz .LBB6_3645
	s_branch .LBB6_3646
.LBB6_4424:                             ;   in Loop: Header=BB6_3020 Depth=2
	s_or_saveexec_b32 s26, s26
	v_mov_b32_e32 v3, 0x7f800001
	s_xor_b32 exec_lo, exec_lo, s26
	s_cbranch_execz .LBB6_3650
.LBB6_4425:                             ;   in Loop: Header=BB6_3020 Depth=2
	v_cmp_ne_u16_sdwa s27, v29, v30 src0_sel:BYTE_3 src1_sel:DWORD
	v_mov_b32_e32 v3, 0
	s_andn2_b32 s12, s12, exec_lo
	s_and_b32 s27, s27, exec_lo
	s_or_b32 s12, s12, s27
	s_or_b32 exec_lo, exec_lo, s26
	s_and_saveexec_b32 s26, s12
	s_cbranch_execnz .LBB6_3651
	s_branch .LBB6_3652
.LBB6_4426:                             ;   in Loop: Header=BB6_3020 Depth=2
	s_or_saveexec_b32 s26, s26
	v_mov_b32_e32 v2, 0x7f800001
	s_xor_b32 exec_lo, exec_lo, s26
	s_cbranch_execz .LBB6_3664
.LBB6_4427:                             ;   in Loop: Header=BB6_3020 Depth=2
	v_cmp_ne_u16_sdwa s27, v22, v30 src0_sel:BYTE_0 src1_sel:DWORD
	v_mov_b32_e32 v2, 0
	s_andn2_b32 s12, s12, exec_lo
	s_and_b32 s27, s27, exec_lo
	s_or_b32 s12, s12, s27
	s_or_b32 exec_lo, exec_lo, s26
	s_and_saveexec_b32 s26, s12
	s_cbranch_execnz .LBB6_3665
	s_branch .LBB6_3666
.LBB6_4428:                             ;   in Loop: Header=BB6_3020 Depth=2
	s_or_saveexec_b32 s26, s26
	v_mov_b32_e32 v3, 0x7f800001
	s_xor_b32 exec_lo, exec_lo, s26
	s_cbranch_execz .LBB6_3670
.LBB6_4429:                             ;   in Loop: Header=BB6_3020 Depth=2
	v_cmp_ne_u16_sdwa s27, v18, v30 src0_sel:BYTE_0 src1_sel:DWORD
	v_mov_b32_e32 v3, 0
	s_andn2_b32 s12, s12, exec_lo
	s_and_b32 s27, s27, exec_lo
	s_or_b32 s12, s12, s27
	s_or_b32 exec_lo, exec_lo, s26
	s_and_saveexec_b32 s26, s12
	s_cbranch_execnz .LBB6_3671
	s_branch .LBB6_3672
.LBB6_4430:                             ;   in Loop: Header=BB6_3020 Depth=2
	s_or_saveexec_b32 s26, s26
	v_mov_b32_e32 v2, 0x7f800001
	s_xor_b32 exec_lo, exec_lo, s26
	s_cbranch_execz .LBB6_3684
.LBB6_4431:                             ;   in Loop: Header=BB6_3020 Depth=2
	v_cmp_ne_u16_sdwa s27, v22, v30 src0_sel:BYTE_1 src1_sel:DWORD
	v_mov_b32_e32 v2, 0
	s_andn2_b32 s12, s12, exec_lo
	s_and_b32 s27, s27, exec_lo
	s_or_b32 s12, s12, s27
	s_or_b32 exec_lo, exec_lo, s26
	s_and_saveexec_b32 s26, s12
	s_cbranch_execnz .LBB6_3685
	s_branch .LBB6_3686
.LBB6_4432:                             ;   in Loop: Header=BB6_3020 Depth=2
	s_or_saveexec_b32 s26, s26
	v_mov_b32_e32 v3, 0x7f800001
	s_xor_b32 exec_lo, exec_lo, s26
	s_cbranch_execz .LBB6_3690
.LBB6_4433:                             ;   in Loop: Header=BB6_3020 Depth=2
	v_cmp_ne_u16_sdwa s27, v18, v30 src0_sel:BYTE_1 src1_sel:DWORD
	v_mov_b32_e32 v3, 0
	s_andn2_b32 s12, s12, exec_lo
	s_and_b32 s27, s27, exec_lo
	s_or_b32 s12, s12, s27
	s_or_b32 exec_lo, exec_lo, s26
	s_and_saveexec_b32 s26, s12
	s_cbranch_execnz .LBB6_3691
	s_branch .LBB6_3692
.LBB6_4434:                             ;   in Loop: Header=BB6_3020 Depth=2
	s_or_saveexec_b32 s26, s26
	v_mov_b32_e32 v2, 0x7f800001
	s_xor_b32 exec_lo, exec_lo, s26
	s_cbranch_execz .LBB6_3704
.LBB6_4435:                             ;   in Loop: Header=BB6_3020 Depth=2
	v_cmp_ne_u16_e32 vcc_lo, 0, v3
	v_mov_b32_e32 v2, 0
	s_andn2_b32 s12, s12, exec_lo
	s_and_b32 s27, vcc_lo, exec_lo
	s_or_b32 s12, s12, s27
	s_or_b32 exec_lo, exec_lo, s26
	s_and_saveexec_b32 s26, s12
	s_cbranch_execnz .LBB6_3705
	s_branch .LBB6_3706
.LBB6_4436:                             ;   in Loop: Header=BB6_3020 Depth=2
	s_or_saveexec_b32 s26, s26
	v_mov_b32_e32 v3, 0x7f800001
	s_xor_b32 exec_lo, exec_lo, s26
	s_cbranch_execz .LBB6_3710
.LBB6_4437:                             ;   in Loop: Header=BB6_3020 Depth=2
	v_cmp_ne_u16_e32 vcc_lo, 0, v113
	v_mov_b32_e32 v3, 0
	s_andn2_b32 s12, s12, exec_lo
	s_and_b32 s27, vcc_lo, exec_lo
	s_or_b32 s12, s12, s27
	s_or_b32 exec_lo, exec_lo, s26
	s_and_saveexec_b32 s26, s12
	s_cbranch_execnz .LBB6_3711
	s_branch .LBB6_3712
.LBB6_4438:                             ;   in Loop: Header=BB6_3020 Depth=2
	s_or_saveexec_b32 s26, s26
	v_mov_b32_e32 v2, 0x7f800001
	s_xor_b32 exec_lo, exec_lo, s26
	s_cbranch_execz .LBB6_3724
.LBB6_4439:                             ;   in Loop: Header=BB6_3020 Depth=2
	v_cmp_ne_u16_sdwa s27, v22, v30 src0_sel:BYTE_3 src1_sel:DWORD
	v_mov_b32_e32 v2, 0
	s_andn2_b32 s12, s12, exec_lo
	s_and_b32 s27, s27, exec_lo
	s_or_b32 s12, s12, s27
	s_or_b32 exec_lo, exec_lo, s26
	s_and_saveexec_b32 s26, s12
	s_cbranch_execnz .LBB6_3725
	s_branch .LBB6_3726
.LBB6_4440:                             ;   in Loop: Header=BB6_3020 Depth=2
	s_or_saveexec_b32 s26, s26
	v_mov_b32_e32 v3, 0x7f800001
	s_xor_b32 exec_lo, exec_lo, s26
	s_cbranch_execz .LBB6_3730
.LBB6_4441:                             ;   in Loop: Header=BB6_3020 Depth=2
	v_cmp_ne_u16_sdwa s27, v18, v30 src0_sel:BYTE_3 src1_sel:DWORD
	v_mov_b32_e32 v3, 0
	s_andn2_b32 s12, s12, exec_lo
	s_and_b32 s27, s27, exec_lo
	s_or_b32 s12, s12, s27
	s_or_b32 exec_lo, exec_lo, s26
	s_and_saveexec_b32 s26, s12
	s_cbranch_execnz .LBB6_3731
	s_branch .LBB6_3732
.LBB6_4442:                             ;   in Loop: Header=BB6_3020 Depth=2
	s_or_saveexec_b32 s26, s26
	v_mov_b32_e32 v2, 0x7f800001
	s_xor_b32 exec_lo, exec_lo, s26
	s_cbranch_execz .LBB6_3744
.LBB6_4443:                             ;   in Loop: Header=BB6_3020 Depth=2
	v_cmp_ne_u16_sdwa s27, v23, v30 src0_sel:BYTE_0 src1_sel:DWORD
	v_mov_b32_e32 v2, 0
	s_andn2_b32 s12, s12, exec_lo
	s_and_b32 s27, s27, exec_lo
	s_or_b32 s12, s12, s27
	s_or_b32 exec_lo, exec_lo, s26
	s_and_saveexec_b32 s26, s12
	s_cbranch_execnz .LBB6_3745
	s_branch .LBB6_3746
.LBB6_4444:                             ;   in Loop: Header=BB6_3020 Depth=2
	s_or_saveexec_b32 s26, s26
	v_mov_b32_e32 v3, 0x7f800001
	s_xor_b32 exec_lo, exec_lo, s26
	s_cbranch_execz .LBB6_3750
.LBB6_4445:                             ;   in Loop: Header=BB6_3020 Depth=2
	v_cmp_ne_u16_sdwa s27, v19, v30 src0_sel:BYTE_0 src1_sel:DWORD
	v_mov_b32_e32 v3, 0
	s_andn2_b32 s12, s12, exec_lo
	s_and_b32 s27, s27, exec_lo
	s_or_b32 s12, s12, s27
	s_or_b32 exec_lo, exec_lo, s26
	s_and_saveexec_b32 s26, s12
	s_cbranch_execnz .LBB6_3751
	s_branch .LBB6_3752
.LBB6_4446:                             ;   in Loop: Header=BB6_3020 Depth=2
	s_or_saveexec_b32 s26, s26
	v_mov_b32_e32 v2, 0x7f800001
	s_xor_b32 exec_lo, exec_lo, s26
	s_cbranch_execz .LBB6_3764
.LBB6_4447:                             ;   in Loop: Header=BB6_3020 Depth=2
	v_cmp_ne_u16_sdwa s27, v23, v30 src0_sel:BYTE_1 src1_sel:DWORD
	v_mov_b32_e32 v2, 0
	s_andn2_b32 s12, s12, exec_lo
	s_and_b32 s27, s27, exec_lo
	s_or_b32 s12, s12, s27
	s_or_b32 exec_lo, exec_lo, s26
	s_and_saveexec_b32 s26, s12
	s_cbranch_execnz .LBB6_3765
	s_branch .LBB6_3766
.LBB6_4448:                             ;   in Loop: Header=BB6_3020 Depth=2
	s_or_saveexec_b32 s26, s26
	v_mov_b32_e32 v3, 0x7f800001
	s_xor_b32 exec_lo, exec_lo, s26
	s_cbranch_execz .LBB6_3770
.LBB6_4449:                             ;   in Loop: Header=BB6_3020 Depth=2
	v_cmp_ne_u16_sdwa s27, v19, v30 src0_sel:BYTE_1 src1_sel:DWORD
	v_mov_b32_e32 v3, 0
	s_andn2_b32 s12, s12, exec_lo
	s_and_b32 s27, s27, exec_lo
	s_or_b32 s12, s12, s27
	s_or_b32 exec_lo, exec_lo, s26
	s_and_saveexec_b32 s26, s12
	s_cbranch_execnz .LBB6_3771
	s_branch .LBB6_3772
.LBB6_4450:                             ;   in Loop: Header=BB6_3020 Depth=2
	s_or_saveexec_b32 s26, s26
	v_mov_b32_e32 v2, 0x7f800001
	s_xor_b32 exec_lo, exec_lo, s26
	s_cbranch_execz .LBB6_3784
.LBB6_4451:                             ;   in Loop: Header=BB6_3020 Depth=2
	v_cmp_ne_u16_e32 vcc_lo, 0, v3
	v_mov_b32_e32 v2, 0
	s_andn2_b32 s12, s12, exec_lo
	s_and_b32 s27, vcc_lo, exec_lo
	s_or_b32 s12, s12, s27
	s_or_b32 exec_lo, exec_lo, s26
	s_and_saveexec_b32 s26, s12
	s_cbranch_execnz .LBB6_3785
	s_branch .LBB6_3786
.LBB6_4452:                             ;   in Loop: Header=BB6_3020 Depth=2
	s_or_saveexec_b32 s26, s26
	v_mov_b32_e32 v3, 0x7f800001
	s_xor_b32 exec_lo, exec_lo, s26
	s_cbranch_execz .LBB6_3790
.LBB6_4453:                             ;   in Loop: Header=BB6_3020 Depth=2
	v_cmp_ne_u16_e32 vcc_lo, 0, v113
	v_mov_b32_e32 v3, 0
	s_andn2_b32 s12, s12, exec_lo
	s_and_b32 s27, vcc_lo, exec_lo
	s_or_b32 s12, s12, s27
	s_or_b32 exec_lo, exec_lo, s26
	s_and_saveexec_b32 s26, s12
	s_cbranch_execnz .LBB6_3791
	s_branch .LBB6_3792
.LBB6_4454:                             ;   in Loop: Header=BB6_3020 Depth=2
	s_or_saveexec_b32 s26, s26
	v_mov_b32_e32 v2, 0x7f800001
	s_xor_b32 exec_lo, exec_lo, s26
	s_cbranch_execz .LBB6_3804
.LBB6_4455:                             ;   in Loop: Header=BB6_3020 Depth=2
	v_cmp_ne_u16_sdwa s27, v23, v30 src0_sel:BYTE_3 src1_sel:DWORD
	v_mov_b32_e32 v2, 0
	s_andn2_b32 s12, s12, exec_lo
	s_and_b32 s27, s27, exec_lo
	s_or_b32 s12, s12, s27
	s_or_b32 exec_lo, exec_lo, s26
	s_and_saveexec_b32 s26, s12
	s_cbranch_execnz .LBB6_3805
	s_branch .LBB6_3806
.LBB6_4456:                             ;   in Loop: Header=BB6_3020 Depth=2
	s_or_saveexec_b32 s26, s26
	v_mov_b32_e32 v3, 0x7f800001
	s_xor_b32 exec_lo, exec_lo, s26
	s_cbranch_execz .LBB6_3810
.LBB6_4457:                             ;   in Loop: Header=BB6_3020 Depth=2
	v_cmp_ne_u16_sdwa s27, v19, v30 src0_sel:BYTE_3 src1_sel:DWORD
	v_mov_b32_e32 v3, 0
	s_andn2_b32 s12, s12, exec_lo
	s_and_b32 s27, s27, exec_lo
	s_or_b32 s12, s12, s27
	s_or_b32 exec_lo, exec_lo, s26
	s_and_saveexec_b32 s26, s12
	s_cbranch_execnz .LBB6_3811
	s_branch .LBB6_3812
.LBB6_4458:                             ;   in Loop: Header=BB6_3020 Depth=2
	s_or_saveexec_b32 s26, s26
	v_mov_b32_e32 v2, 0x7f800001
	s_xor_b32 exec_lo, exec_lo, s26
	s_cbranch_execz .LBB6_3824
.LBB6_4459:                             ;   in Loop: Header=BB6_3020 Depth=2
	v_cmp_ne_u16_sdwa s27, v24, v30 src0_sel:BYTE_0 src1_sel:DWORD
	v_mov_b32_e32 v2, 0
	s_andn2_b32 s12, s12, exec_lo
	s_and_b32 s27, s27, exec_lo
	s_or_b32 s12, s12, s27
	s_or_b32 exec_lo, exec_lo, s26
	s_and_saveexec_b32 s26, s12
	s_cbranch_execnz .LBB6_3825
	s_branch .LBB6_3826
.LBB6_4460:                             ;   in Loop: Header=BB6_3020 Depth=2
	s_or_saveexec_b32 s26, s26
	v_mov_b32_e32 v3, 0x7f800001
	s_xor_b32 exec_lo, exec_lo, s26
	s_cbranch_execz .LBB6_3830
.LBB6_4461:                             ;   in Loop: Header=BB6_3020 Depth=2
	v_cmp_ne_u16_sdwa s27, v20, v30 src0_sel:BYTE_0 src1_sel:DWORD
	v_mov_b32_e32 v3, 0
	s_andn2_b32 s12, s12, exec_lo
	s_and_b32 s27, s27, exec_lo
	s_or_b32 s12, s12, s27
	s_or_b32 exec_lo, exec_lo, s26
	s_and_saveexec_b32 s26, s12
	s_cbranch_execnz .LBB6_3831
	s_branch .LBB6_3832
.LBB6_4462:                             ;   in Loop: Header=BB6_3020 Depth=2
	s_or_saveexec_b32 s26, s26
	v_mov_b32_e32 v2, 0x7f800001
	s_xor_b32 exec_lo, exec_lo, s26
	s_cbranch_execz .LBB6_3844
.LBB6_4463:                             ;   in Loop: Header=BB6_3020 Depth=2
	v_cmp_ne_u16_sdwa s27, v24, v30 src0_sel:BYTE_1 src1_sel:DWORD
	v_mov_b32_e32 v2, 0
	s_andn2_b32 s12, s12, exec_lo
	s_and_b32 s27, s27, exec_lo
	s_or_b32 s12, s12, s27
	s_or_b32 exec_lo, exec_lo, s26
	s_and_saveexec_b32 s26, s12
	s_cbranch_execnz .LBB6_3845
	s_branch .LBB6_3846
.LBB6_4464:                             ;   in Loop: Header=BB6_3020 Depth=2
	s_or_saveexec_b32 s26, s26
	v_mov_b32_e32 v3, 0x7f800001
	s_xor_b32 exec_lo, exec_lo, s26
	s_cbranch_execz .LBB6_3850
.LBB6_4465:                             ;   in Loop: Header=BB6_3020 Depth=2
	v_cmp_ne_u16_sdwa s27, v20, v30 src0_sel:BYTE_1 src1_sel:DWORD
	v_mov_b32_e32 v3, 0
	s_andn2_b32 s12, s12, exec_lo
	s_and_b32 s27, s27, exec_lo
	s_or_b32 s12, s12, s27
	s_or_b32 exec_lo, exec_lo, s26
	s_and_saveexec_b32 s26, s12
	s_cbranch_execnz .LBB6_3851
	s_branch .LBB6_3852
.LBB6_4466:                             ;   in Loop: Header=BB6_3020 Depth=2
	s_or_saveexec_b32 s26, s26
	v_mov_b32_e32 v2, 0x7f800001
	s_xor_b32 exec_lo, exec_lo, s26
	s_cbranch_execz .LBB6_3864
.LBB6_4467:                             ;   in Loop: Header=BB6_3020 Depth=2
	v_cmp_ne_u16_e32 vcc_lo, 0, v3
	v_mov_b32_e32 v2, 0
	s_andn2_b32 s12, s12, exec_lo
	s_and_b32 s27, vcc_lo, exec_lo
	s_or_b32 s12, s12, s27
	s_or_b32 exec_lo, exec_lo, s26
	s_and_saveexec_b32 s26, s12
	s_cbranch_execnz .LBB6_3865
	s_branch .LBB6_3866
.LBB6_4468:                             ;   in Loop: Header=BB6_3020 Depth=2
	s_or_saveexec_b32 s26, s26
	v_mov_b32_e32 v3, 0x7f800001
	s_xor_b32 exec_lo, exec_lo, s26
	s_cbranch_execz .LBB6_3870
.LBB6_4469:                             ;   in Loop: Header=BB6_3020 Depth=2
	v_cmp_ne_u16_e32 vcc_lo, 0, v113
	v_mov_b32_e32 v3, 0
	s_andn2_b32 s12, s12, exec_lo
	s_and_b32 s27, vcc_lo, exec_lo
	s_or_b32 s12, s12, s27
	s_or_b32 exec_lo, exec_lo, s26
	s_and_saveexec_b32 s26, s12
	s_cbranch_execnz .LBB6_3871
	s_branch .LBB6_3872
.LBB6_4470:                             ;   in Loop: Header=BB6_3020 Depth=2
	s_or_saveexec_b32 s26, s26
	v_mov_b32_e32 v2, 0x7f800001
	s_xor_b32 exec_lo, exec_lo, s26
	s_cbranch_execz .LBB6_3884
.LBB6_4471:                             ;   in Loop: Header=BB6_3020 Depth=2
	v_cmp_ne_u16_sdwa s27, v24, v30 src0_sel:BYTE_3 src1_sel:DWORD
	v_mov_b32_e32 v2, 0
	s_andn2_b32 s12, s12, exec_lo
	s_and_b32 s27, s27, exec_lo
	s_or_b32 s12, s12, s27
	s_or_b32 exec_lo, exec_lo, s26
	s_and_saveexec_b32 s26, s12
	s_cbranch_execnz .LBB6_3885
	s_branch .LBB6_3886
.LBB6_4472:                             ;   in Loop: Header=BB6_3020 Depth=2
	s_or_saveexec_b32 s26, s26
	v_mov_b32_e32 v3, 0x7f800001
	s_xor_b32 exec_lo, exec_lo, s26
	s_cbranch_execz .LBB6_3890
.LBB6_4473:                             ;   in Loop: Header=BB6_3020 Depth=2
	v_cmp_ne_u16_sdwa s27, v20, v30 src0_sel:BYTE_3 src1_sel:DWORD
	v_mov_b32_e32 v3, 0
	s_andn2_b32 s12, s12, exec_lo
	s_and_b32 s27, s27, exec_lo
	s_or_b32 s12, s12, s27
	s_or_b32 exec_lo, exec_lo, s26
	s_and_saveexec_b32 s26, s12
	s_cbranch_execnz .LBB6_3891
	s_branch .LBB6_3892
.LBB6_4474:                             ;   in Loop: Header=BB6_3020 Depth=2
	s_or_saveexec_b32 s26, s26
	v_mov_b32_e32 v2, 0x7f800001
	s_xor_b32 exec_lo, exec_lo, s26
	s_cbranch_execz .LBB6_3904
.LBB6_4475:                             ;   in Loop: Header=BB6_3020 Depth=2
	v_cmp_ne_u16_sdwa s27, v25, v30 src0_sel:BYTE_0 src1_sel:DWORD
	v_mov_b32_e32 v2, 0
	s_andn2_b32 s12, s12, exec_lo
	s_and_b32 s27, s27, exec_lo
	s_or_b32 s12, s12, s27
	s_or_b32 exec_lo, exec_lo, s26
	s_and_saveexec_b32 s26, s12
	s_cbranch_execnz .LBB6_3905
	s_branch .LBB6_3906
.LBB6_4476:                             ;   in Loop: Header=BB6_3020 Depth=2
	s_or_saveexec_b32 s26, s26
	v_mov_b32_e32 v3, 0x7f800001
	s_xor_b32 exec_lo, exec_lo, s26
	s_cbranch_execz .LBB6_3910
.LBB6_4477:                             ;   in Loop: Header=BB6_3020 Depth=2
	v_cmp_ne_u16_sdwa s27, v21, v30 src0_sel:BYTE_0 src1_sel:DWORD
	v_mov_b32_e32 v3, 0
	s_andn2_b32 s12, s12, exec_lo
	s_and_b32 s27, s27, exec_lo
	s_or_b32 s12, s12, s27
	s_or_b32 exec_lo, exec_lo, s26
	s_and_saveexec_b32 s26, s12
	s_cbranch_execnz .LBB6_3911
	s_branch .LBB6_3912
.LBB6_4478:                             ;   in Loop: Header=BB6_3020 Depth=2
	s_or_saveexec_b32 s26, s26
	v_mov_b32_e32 v2, 0x7f800001
	s_xor_b32 exec_lo, exec_lo, s26
	s_cbranch_execz .LBB6_3924
.LBB6_4479:                             ;   in Loop: Header=BB6_3020 Depth=2
	v_cmp_ne_u16_sdwa s27, v25, v30 src0_sel:BYTE_1 src1_sel:DWORD
	v_mov_b32_e32 v2, 0
	s_andn2_b32 s12, s12, exec_lo
	s_and_b32 s27, s27, exec_lo
	s_or_b32 s12, s12, s27
	s_or_b32 exec_lo, exec_lo, s26
	s_and_saveexec_b32 s26, s12
	s_cbranch_execnz .LBB6_3925
	s_branch .LBB6_3926
.LBB6_4480:                             ;   in Loop: Header=BB6_3020 Depth=2
	s_or_saveexec_b32 s26, s26
	v_mov_b32_e32 v3, 0x7f800001
	s_xor_b32 exec_lo, exec_lo, s26
	s_cbranch_execz .LBB6_3930
.LBB6_4481:                             ;   in Loop: Header=BB6_3020 Depth=2
	v_cmp_ne_u16_sdwa s27, v21, v30 src0_sel:BYTE_1 src1_sel:DWORD
	v_mov_b32_e32 v3, 0
	s_andn2_b32 s12, s12, exec_lo
	s_and_b32 s27, s27, exec_lo
	s_or_b32 s12, s12, s27
	s_or_b32 exec_lo, exec_lo, s26
	s_and_saveexec_b32 s26, s12
	s_cbranch_execnz .LBB6_3931
	s_branch .LBB6_3932
.LBB6_4482:                             ;   in Loop: Header=BB6_3020 Depth=2
	s_or_saveexec_b32 s26, s26
	v_mov_b32_e32 v2, 0x7f800001
	s_xor_b32 exec_lo, exec_lo, s26
	s_cbranch_execz .LBB6_3944
.LBB6_4483:                             ;   in Loop: Header=BB6_3020 Depth=2
	v_cmp_ne_u16_e32 vcc_lo, 0, v3
	v_mov_b32_e32 v2, 0
	s_andn2_b32 s12, s12, exec_lo
	s_and_b32 s27, vcc_lo, exec_lo
	s_or_b32 s12, s12, s27
	s_or_b32 exec_lo, exec_lo, s26
	s_and_saveexec_b32 s26, s12
	s_cbranch_execnz .LBB6_3945
	s_branch .LBB6_3946
.LBB6_4484:                             ;   in Loop: Header=BB6_3020 Depth=2
	s_or_saveexec_b32 s26, s26
	v_mov_b32_e32 v3, 0x7f800001
	s_xor_b32 exec_lo, exec_lo, s26
	s_cbranch_execz .LBB6_3950
.LBB6_4485:                             ;   in Loop: Header=BB6_3020 Depth=2
	v_cmp_ne_u16_e32 vcc_lo, 0, v113
	v_mov_b32_e32 v3, 0
	s_andn2_b32 s12, s12, exec_lo
	s_and_b32 s27, vcc_lo, exec_lo
	s_or_b32 s12, s12, s27
	s_or_b32 exec_lo, exec_lo, s26
	s_and_saveexec_b32 s26, s12
	s_cbranch_execnz .LBB6_3951
	s_branch .LBB6_3952
.LBB6_4486:                             ;   in Loop: Header=BB6_3020 Depth=2
	s_or_saveexec_b32 s26, s26
	v_mov_b32_e32 v2, 0x7f800001
	s_xor_b32 exec_lo, exec_lo, s26
	s_cbranch_execz .LBB6_3964
.LBB6_4487:                             ;   in Loop: Header=BB6_3020 Depth=2
	v_cmp_ne_u16_sdwa s27, v25, v30 src0_sel:BYTE_3 src1_sel:DWORD
	v_mov_b32_e32 v2, 0
	s_andn2_b32 s12, s12, exec_lo
	s_and_b32 s27, s27, exec_lo
	s_or_b32 s12, s12, s27
	s_or_b32 exec_lo, exec_lo, s26
	s_and_saveexec_b32 s26, s12
	s_cbranch_execnz .LBB6_3965
	s_branch .LBB6_3966
.LBB6_4488:                             ;   in Loop: Header=BB6_3020 Depth=2
	s_or_saveexec_b32 s26, s26
	v_mov_b32_e32 v3, 0x7f800001
	s_xor_b32 exec_lo, exec_lo, s26
	s_cbranch_execz .LBB6_3970
.LBB6_4489:                             ;   in Loop: Header=BB6_3020 Depth=2
	v_cmp_ne_u16_sdwa s27, v21, v30 src0_sel:BYTE_3 src1_sel:DWORD
	v_mov_b32_e32 v3, 0
	s_andn2_b32 s12, s12, exec_lo
	s_and_b32 s27, s27, exec_lo
	s_or_b32 s12, s12, s27
	s_or_b32 exec_lo, exec_lo, s26
	s_and_saveexec_b32 s26, s12
	s_cbranch_execnz .LBB6_3971
	s_branch .LBB6_3972
.LBB6_4490:                             ;   in Loop: Header=BB6_3020 Depth=2
	s_or_saveexec_b32 s26, s26
	v_mov_b32_e32 v2, 0x7f800001
	s_xor_b32 exec_lo, exec_lo, s26
	s_cbranch_execz .LBB6_3984
.LBB6_4491:                             ;   in Loop: Header=BB6_3020 Depth=2
	v_cmp_ne_u16_sdwa s27, v14, v30 src0_sel:BYTE_0 src1_sel:DWORD
	v_mov_b32_e32 v2, 0
	s_andn2_b32 s12, s12, exec_lo
	s_and_b32 s27, s27, exec_lo
	s_or_b32 s12, s12, s27
	s_or_b32 exec_lo, exec_lo, s26
	s_and_saveexec_b32 s26, s12
	s_cbranch_execnz .LBB6_3985
	s_branch .LBB6_3986
.LBB6_4492:                             ;   in Loop: Header=BB6_3020 Depth=2
	s_or_saveexec_b32 s26, s26
	v_mov_b32_e32 v3, 0x7f800001
	s_xor_b32 exec_lo, exec_lo, s26
	s_cbranch_execz .LBB6_3990
.LBB6_4493:                             ;   in Loop: Header=BB6_3020 Depth=2
	v_cmp_ne_u16_sdwa s27, v10, v30 src0_sel:BYTE_0 src1_sel:DWORD
	v_mov_b32_e32 v3, 0
	s_andn2_b32 s12, s12, exec_lo
	s_and_b32 s27, s27, exec_lo
	s_or_b32 s12, s12, s27
	s_or_b32 exec_lo, exec_lo, s26
	s_and_saveexec_b32 s26, s12
	s_cbranch_execnz .LBB6_3991
	s_branch .LBB6_3992
.LBB6_4494:                             ;   in Loop: Header=BB6_3020 Depth=2
	s_or_saveexec_b32 s26, s26
	v_mov_b32_e32 v2, 0x7f800001
	s_xor_b32 exec_lo, exec_lo, s26
	s_cbranch_execz .LBB6_4004
.LBB6_4495:                             ;   in Loop: Header=BB6_3020 Depth=2
	v_cmp_ne_u16_sdwa s27, v14, v30 src0_sel:BYTE_1 src1_sel:DWORD
	v_mov_b32_e32 v2, 0
	s_andn2_b32 s12, s12, exec_lo
	s_and_b32 s27, s27, exec_lo
	s_or_b32 s12, s12, s27
	s_or_b32 exec_lo, exec_lo, s26
	s_and_saveexec_b32 s26, s12
	s_cbranch_execnz .LBB6_4005
	s_branch .LBB6_4006
.LBB6_4496:                             ;   in Loop: Header=BB6_3020 Depth=2
	s_or_saveexec_b32 s26, s26
	v_mov_b32_e32 v3, 0x7f800001
	s_xor_b32 exec_lo, exec_lo, s26
	s_cbranch_execz .LBB6_4010
.LBB6_4497:                             ;   in Loop: Header=BB6_3020 Depth=2
	v_cmp_ne_u16_sdwa s27, v10, v30 src0_sel:BYTE_1 src1_sel:DWORD
	v_mov_b32_e32 v3, 0
	s_andn2_b32 s12, s12, exec_lo
	s_and_b32 s27, s27, exec_lo
	s_or_b32 s12, s12, s27
	s_or_b32 exec_lo, exec_lo, s26
	s_and_saveexec_b32 s26, s12
	s_cbranch_execnz .LBB6_4011
	s_branch .LBB6_4012
.LBB6_4498:                             ;   in Loop: Header=BB6_3020 Depth=2
	s_or_saveexec_b32 s26, s26
	v_mov_b32_e32 v2, 0x7f800001
	s_xor_b32 exec_lo, exec_lo, s26
	s_cbranch_execz .LBB6_4024
.LBB6_4499:                             ;   in Loop: Header=BB6_3020 Depth=2
	v_cmp_ne_u16_e32 vcc_lo, 0, v3
	v_mov_b32_e32 v2, 0
	s_andn2_b32 s12, s12, exec_lo
	s_and_b32 s27, vcc_lo, exec_lo
	s_or_b32 s12, s12, s27
	s_or_b32 exec_lo, exec_lo, s26
	s_and_saveexec_b32 s26, s12
	s_cbranch_execnz .LBB6_4025
	s_branch .LBB6_4026
.LBB6_4500:                             ;   in Loop: Header=BB6_3020 Depth=2
	s_or_saveexec_b32 s26, s26
	v_mov_b32_e32 v3, 0x7f800001
	s_xor_b32 exec_lo, exec_lo, s26
	s_cbranch_execz .LBB6_4030
.LBB6_4501:                             ;   in Loop: Header=BB6_3020 Depth=2
	v_cmp_ne_u16_e32 vcc_lo, 0, v113
	v_mov_b32_e32 v3, 0
	s_andn2_b32 s12, s12, exec_lo
	s_and_b32 s27, vcc_lo, exec_lo
	s_or_b32 s12, s12, s27
	s_or_b32 exec_lo, exec_lo, s26
	s_and_saveexec_b32 s26, s12
	s_cbranch_execnz .LBB6_4031
	s_branch .LBB6_4032
.LBB6_4502:                             ;   in Loop: Header=BB6_3020 Depth=2
	s_or_saveexec_b32 s26, s26
	v_mov_b32_e32 v2, 0x7f800001
	s_xor_b32 exec_lo, exec_lo, s26
	s_cbranch_execz .LBB6_4044
.LBB6_4503:                             ;   in Loop: Header=BB6_3020 Depth=2
	v_cmp_ne_u16_sdwa s27, v14, v30 src0_sel:BYTE_3 src1_sel:DWORD
	v_mov_b32_e32 v2, 0
	s_andn2_b32 s12, s12, exec_lo
	s_and_b32 s27, s27, exec_lo
	s_or_b32 s12, s12, s27
	s_or_b32 exec_lo, exec_lo, s26
	s_and_saveexec_b32 s26, s12
	s_cbranch_execnz .LBB6_4045
	s_branch .LBB6_4046
.LBB6_4504:                             ;   in Loop: Header=BB6_3020 Depth=2
	s_or_saveexec_b32 s26, s26
	v_mov_b32_e32 v3, 0x7f800001
	s_xor_b32 exec_lo, exec_lo, s26
	s_cbranch_execz .LBB6_4050
.LBB6_4505:                             ;   in Loop: Header=BB6_3020 Depth=2
	v_cmp_ne_u16_sdwa s27, v10, v30 src0_sel:BYTE_3 src1_sel:DWORD
	v_mov_b32_e32 v3, 0
	s_andn2_b32 s12, s12, exec_lo
	s_and_b32 s27, s27, exec_lo
	s_or_b32 s12, s12, s27
	s_or_b32 exec_lo, exec_lo, s26
	s_and_saveexec_b32 s26, s12
	s_cbranch_execnz .LBB6_4051
	s_branch .LBB6_4052
.LBB6_4506:                             ;   in Loop: Header=BB6_3020 Depth=2
	s_or_saveexec_b32 s26, s26
	v_mov_b32_e32 v2, 0x7f800001
	s_xor_b32 exec_lo, exec_lo, s26
	s_cbranch_execz .LBB6_4064
.LBB6_4507:                             ;   in Loop: Header=BB6_3020 Depth=2
	v_cmp_ne_u16_sdwa s27, v15, v30 src0_sel:BYTE_0 src1_sel:DWORD
	v_mov_b32_e32 v2, 0
	s_andn2_b32 s12, s12, exec_lo
	s_and_b32 s27, s27, exec_lo
	s_or_b32 s12, s12, s27
	s_or_b32 exec_lo, exec_lo, s26
	s_and_saveexec_b32 s26, s12
	s_cbranch_execnz .LBB6_4065
	s_branch .LBB6_4066
.LBB6_4508:                             ;   in Loop: Header=BB6_3020 Depth=2
	s_or_saveexec_b32 s26, s26
	v_mov_b32_e32 v3, 0x7f800001
	s_xor_b32 exec_lo, exec_lo, s26
	s_cbranch_execz .LBB6_4070
.LBB6_4509:                             ;   in Loop: Header=BB6_3020 Depth=2
	v_cmp_ne_u16_sdwa s27, v11, v30 src0_sel:BYTE_0 src1_sel:DWORD
	v_mov_b32_e32 v3, 0
	s_andn2_b32 s12, s12, exec_lo
	s_and_b32 s27, s27, exec_lo
	s_or_b32 s12, s12, s27
	s_or_b32 exec_lo, exec_lo, s26
	s_and_saveexec_b32 s26, s12
	s_cbranch_execnz .LBB6_4071
	s_branch .LBB6_4072
.LBB6_4510:                             ;   in Loop: Header=BB6_3020 Depth=2
	s_or_saveexec_b32 s26, s26
	v_mov_b32_e32 v2, 0x7f800001
	s_xor_b32 exec_lo, exec_lo, s26
	s_cbranch_execz .LBB6_4084
.LBB6_4511:                             ;   in Loop: Header=BB6_3020 Depth=2
	v_cmp_ne_u16_sdwa s27, v15, v30 src0_sel:BYTE_1 src1_sel:DWORD
	v_mov_b32_e32 v2, 0
	s_andn2_b32 s12, s12, exec_lo
	s_and_b32 s27, s27, exec_lo
	s_or_b32 s12, s12, s27
	s_or_b32 exec_lo, exec_lo, s26
	s_and_saveexec_b32 s26, s12
	s_cbranch_execnz .LBB6_4085
	s_branch .LBB6_4086
.LBB6_4512:                             ;   in Loop: Header=BB6_3020 Depth=2
	s_or_saveexec_b32 s26, s26
	v_mov_b32_e32 v3, 0x7f800001
	s_xor_b32 exec_lo, exec_lo, s26
	s_cbranch_execz .LBB6_4090
.LBB6_4513:                             ;   in Loop: Header=BB6_3020 Depth=2
	v_cmp_ne_u16_sdwa s27, v11, v30 src0_sel:BYTE_1 src1_sel:DWORD
	v_mov_b32_e32 v3, 0
	s_andn2_b32 s12, s12, exec_lo
	s_and_b32 s27, s27, exec_lo
	s_or_b32 s12, s12, s27
	s_or_b32 exec_lo, exec_lo, s26
	s_and_saveexec_b32 s26, s12
	s_cbranch_execnz .LBB6_4091
	s_branch .LBB6_4092
.LBB6_4514:                             ;   in Loop: Header=BB6_3020 Depth=2
	s_or_saveexec_b32 s26, s26
	v_mov_b32_e32 v2, 0x7f800001
	s_xor_b32 exec_lo, exec_lo, s26
	s_cbranch_execz .LBB6_4104
.LBB6_4515:                             ;   in Loop: Header=BB6_3020 Depth=2
	v_cmp_ne_u16_e32 vcc_lo, 0, v3
	v_mov_b32_e32 v2, 0
	s_andn2_b32 s12, s12, exec_lo
	s_and_b32 s27, vcc_lo, exec_lo
	s_or_b32 s12, s12, s27
	s_or_b32 exec_lo, exec_lo, s26
	s_and_saveexec_b32 s26, s12
	s_cbranch_execnz .LBB6_4105
	s_branch .LBB6_4106
.LBB6_4516:                             ;   in Loop: Header=BB6_3020 Depth=2
	s_or_saveexec_b32 s26, s26
	v_mov_b32_e32 v3, 0x7f800001
	s_xor_b32 exec_lo, exec_lo, s26
	s_cbranch_execz .LBB6_4110
.LBB6_4517:                             ;   in Loop: Header=BB6_3020 Depth=2
	v_cmp_ne_u16_e32 vcc_lo, 0, v113
	v_mov_b32_e32 v3, 0
	s_andn2_b32 s12, s12, exec_lo
	s_and_b32 s27, vcc_lo, exec_lo
	s_or_b32 s12, s12, s27
	s_or_b32 exec_lo, exec_lo, s26
	s_and_saveexec_b32 s26, s12
	s_cbranch_execnz .LBB6_4111
	s_branch .LBB6_4112
.LBB6_4518:                             ;   in Loop: Header=BB6_3020 Depth=2
	s_or_saveexec_b32 s26, s26
	v_mov_b32_e32 v2, 0x7f800001
	s_xor_b32 exec_lo, exec_lo, s26
	s_cbranch_execz .LBB6_4124
.LBB6_4519:                             ;   in Loop: Header=BB6_3020 Depth=2
	v_cmp_ne_u16_sdwa s27, v15, v30 src0_sel:BYTE_3 src1_sel:DWORD
	v_mov_b32_e32 v2, 0
	s_andn2_b32 s12, s12, exec_lo
	s_and_b32 s27, s27, exec_lo
	s_or_b32 s12, s12, s27
	s_or_b32 exec_lo, exec_lo, s26
	s_and_saveexec_b32 s26, s12
	s_cbranch_execnz .LBB6_4125
	s_branch .LBB6_4126
.LBB6_4520:                             ;   in Loop: Header=BB6_3020 Depth=2
	s_or_saveexec_b32 s26, s26
	v_mov_b32_e32 v3, 0x7f800001
	s_xor_b32 exec_lo, exec_lo, s26
	s_cbranch_execz .LBB6_4130
.LBB6_4521:                             ;   in Loop: Header=BB6_3020 Depth=2
	v_cmp_ne_u16_sdwa s27, v11, v30 src0_sel:BYTE_3 src1_sel:DWORD
	v_mov_b32_e32 v3, 0
	s_andn2_b32 s12, s12, exec_lo
	s_and_b32 s27, s27, exec_lo
	s_or_b32 s12, s12, s27
	s_or_b32 exec_lo, exec_lo, s26
	s_and_saveexec_b32 s26, s12
	s_cbranch_execnz .LBB6_4131
	s_branch .LBB6_4132
.LBB6_4522:                             ;   in Loop: Header=BB6_3020 Depth=2
	s_or_saveexec_b32 s26, s26
	v_mov_b32_e32 v2, 0x7f800001
	s_xor_b32 exec_lo, exec_lo, s26
	s_cbranch_execz .LBB6_4144
.LBB6_4523:                             ;   in Loop: Header=BB6_3020 Depth=2
	v_cmp_ne_u16_sdwa s27, v16, v30 src0_sel:BYTE_0 src1_sel:DWORD
	v_mov_b32_e32 v2, 0
	s_andn2_b32 s12, s12, exec_lo
	s_and_b32 s27, s27, exec_lo
	s_or_b32 s12, s12, s27
	s_or_b32 exec_lo, exec_lo, s26
	s_and_saveexec_b32 s26, s12
	s_cbranch_execnz .LBB6_4145
	s_branch .LBB6_4146
.LBB6_4524:                             ;   in Loop: Header=BB6_3020 Depth=2
	s_or_saveexec_b32 s26, s26
	v_mov_b32_e32 v3, 0x7f800001
	s_xor_b32 exec_lo, exec_lo, s26
	s_cbranch_execz .LBB6_4150
.LBB6_4525:                             ;   in Loop: Header=BB6_3020 Depth=2
	v_cmp_ne_u16_sdwa s27, v12, v30 src0_sel:BYTE_0 src1_sel:DWORD
	v_mov_b32_e32 v3, 0
	s_andn2_b32 s12, s12, exec_lo
	s_and_b32 s27, s27, exec_lo
	s_or_b32 s12, s12, s27
	s_or_b32 exec_lo, exec_lo, s26
	s_and_saveexec_b32 s26, s12
	s_cbranch_execnz .LBB6_4151
	s_branch .LBB6_4152
.LBB6_4526:                             ;   in Loop: Header=BB6_3020 Depth=2
	s_or_saveexec_b32 s26, s26
	v_mov_b32_e32 v2, 0x7f800001
	s_xor_b32 exec_lo, exec_lo, s26
	s_cbranch_execz .LBB6_4164
.LBB6_4527:                             ;   in Loop: Header=BB6_3020 Depth=2
	v_cmp_ne_u16_sdwa s27, v16, v30 src0_sel:BYTE_1 src1_sel:DWORD
	v_mov_b32_e32 v2, 0
	s_andn2_b32 s12, s12, exec_lo
	s_and_b32 s27, s27, exec_lo
	s_or_b32 s12, s12, s27
	s_or_b32 exec_lo, exec_lo, s26
	s_and_saveexec_b32 s26, s12
	s_cbranch_execnz .LBB6_4165
	s_branch .LBB6_4166
.LBB6_4528:                             ;   in Loop: Header=BB6_3020 Depth=2
	s_or_saveexec_b32 s26, s26
	v_mov_b32_e32 v3, 0x7f800001
	s_xor_b32 exec_lo, exec_lo, s26
	s_cbranch_execz .LBB6_4170
.LBB6_4529:                             ;   in Loop: Header=BB6_3020 Depth=2
	v_cmp_ne_u16_sdwa s27, v12, v30 src0_sel:BYTE_1 src1_sel:DWORD
	v_mov_b32_e32 v3, 0
	s_andn2_b32 s12, s12, exec_lo
	s_and_b32 s27, s27, exec_lo
	s_or_b32 s12, s12, s27
	s_or_b32 exec_lo, exec_lo, s26
	s_and_saveexec_b32 s26, s12
	s_cbranch_execnz .LBB6_4171
	s_branch .LBB6_4172
.LBB6_4530:                             ;   in Loop: Header=BB6_3020 Depth=2
	s_or_saveexec_b32 s12, s12
	v_mov_b32_e32 v2, 0x7f800001
	s_xor_b32 exec_lo, exec_lo, s12
	s_cbranch_execz .LBB6_4184
.LBB6_4531:                             ;   in Loop: Header=BB6_3020 Depth=2
	v_cmp_ne_u16_e32 vcc_lo, 0, v3
	v_mov_b32_e32 v2, 0
	s_andn2_b32 s26, s26, exec_lo
	s_and_b32 s27, vcc_lo, exec_lo
	s_or_b32 s26, s26, s27
	s_or_b32 exec_lo, exec_lo, s12
	s_and_saveexec_b32 s12, s26
	s_cbranch_execnz .LBB6_4185
	s_branch .LBB6_4186
.LBB6_4532:                             ;   in Loop: Header=BB6_3020 Depth=2
	s_or_saveexec_b32 s12, s12
	v_mov_b32_e32 v3, 0x7f800001
	s_xor_b32 exec_lo, exec_lo, s12
	s_cbranch_execz .LBB6_4190
.LBB6_4533:                             ;   in Loop: Header=BB6_3020 Depth=2
	v_cmp_ne_u16_e32 vcc_lo, 0, v113
	v_mov_b32_e32 v3, 0
	s_andn2_b32 s26, s26, exec_lo
	s_and_b32 s27, vcc_lo, exec_lo
	s_or_b32 s26, s26, s27
	s_or_b32 exec_lo, exec_lo, s12
	s_and_saveexec_b32 s12, s26
	s_cbranch_execnz .LBB6_4191
	s_branch .LBB6_4192
.LBB6_4534:                             ;   in Loop: Header=BB6_3020 Depth=2
	s_or_saveexec_b32 s26, s26
	v_mov_b32_e32 v2, 0x7f800001
	s_xor_b32 exec_lo, exec_lo, s26
	s_cbranch_execz .LBB6_4204
.LBB6_4535:                             ;   in Loop: Header=BB6_3020 Depth=2
	v_cmp_ne_u16_sdwa s27, v16, v30 src0_sel:BYTE_3 src1_sel:DWORD
	v_mov_b32_e32 v2, 0
	s_andn2_b32 s12, s12, exec_lo
	s_and_b32 s27, s27, exec_lo
	s_or_b32 s12, s12, s27
	s_or_b32 exec_lo, exec_lo, s26
	s_and_saveexec_b32 s26, s12
	s_cbranch_execnz .LBB6_4205
	s_branch .LBB6_4206
.LBB6_4536:                             ;   in Loop: Header=BB6_3020 Depth=2
	s_or_saveexec_b32 s26, s26
	v_mov_b32_e32 v3, 0x7f800001
	s_xor_b32 exec_lo, exec_lo, s26
	s_cbranch_execz .LBB6_4210
.LBB6_4537:                             ;   in Loop: Header=BB6_3020 Depth=2
	v_cmp_ne_u16_sdwa s27, v12, v30 src0_sel:BYTE_3 src1_sel:DWORD
	v_mov_b32_e32 v3, 0
	s_andn2_b32 s12, s12, exec_lo
	s_and_b32 s27, s27, exec_lo
	s_or_b32 s12, s12, s27
	s_or_b32 exec_lo, exec_lo, s26
	s_and_saveexec_b32 s26, s12
	s_cbranch_execnz .LBB6_4211
	s_branch .LBB6_4212
.LBB6_4538:                             ;   in Loop: Header=BB6_3020 Depth=2
	s_or_saveexec_b32 s12, s12
	v_mov_b32_e32 v2, 0x7f800001
	s_xor_b32 exec_lo, exec_lo, s12
	s_cbranch_execz .LBB6_4224
.LBB6_4539:                             ;   in Loop: Header=BB6_3020 Depth=2
	v_cmp_ne_u16_sdwa s27, v17, v30 src0_sel:BYTE_0 src1_sel:DWORD
	v_mov_b32_e32 v2, 0
	s_andn2_b32 s26, s26, exec_lo
	s_and_b32 s27, s27, exec_lo
	s_or_b32 s26, s26, s27
	s_or_b32 exec_lo, exec_lo, s12
	s_and_saveexec_b32 s12, s26
	s_cbranch_execnz .LBB6_4225
	s_branch .LBB6_4226
.LBB6_4540:                             ;   in Loop: Header=BB6_3020 Depth=2
	s_or_saveexec_b32 s12, s12
	v_mov_b32_e32 v3, 0x7f800001
	s_xor_b32 exec_lo, exec_lo, s12
	s_cbranch_execz .LBB6_4230
.LBB6_4541:                             ;   in Loop: Header=BB6_3020 Depth=2
	v_cmp_ne_u16_sdwa s27, v13, v30 src0_sel:BYTE_0 src1_sel:DWORD
	v_mov_b32_e32 v3, 0
	s_andn2_b32 s26, s26, exec_lo
	s_and_b32 s27, s27, exec_lo
	s_or_b32 s26, s26, s27
	s_or_b32 exec_lo, exec_lo, s12
	s_and_saveexec_b32 s12, s26
	s_cbranch_execnz .LBB6_4231
	s_branch .LBB6_4232
.LBB6_4542:                             ;   in Loop: Header=BB6_3020 Depth=2
	s_or_saveexec_b32 s26, s26
	v_mov_b32_e32 v2, 0x7f800001
	s_xor_b32 exec_lo, exec_lo, s26
	s_cbranch_execz .LBB6_4244
.LBB6_4543:                             ;   in Loop: Header=BB6_3020 Depth=2
	v_cmp_ne_u16_sdwa s27, v17, v30 src0_sel:BYTE_1 src1_sel:DWORD
	v_mov_b32_e32 v2, 0
	s_andn2_b32 s12, s12, exec_lo
	s_and_b32 s27, s27, exec_lo
	s_or_b32 s12, s12, s27
	s_or_b32 exec_lo, exec_lo, s26
	s_and_saveexec_b32 s26, s12
	s_cbranch_execnz .LBB6_4245
	s_branch .LBB6_4246
.LBB6_4544:                             ;   in Loop: Header=BB6_3020 Depth=2
	s_or_saveexec_b32 s26, s26
	v_mov_b32_e32 v3, 0x7f800001
	s_xor_b32 exec_lo, exec_lo, s26
	s_cbranch_execz .LBB6_4250
.LBB6_4545:                             ;   in Loop: Header=BB6_3020 Depth=2
	v_cmp_ne_u16_sdwa s27, v13, v30 src0_sel:BYTE_1 src1_sel:DWORD
	v_mov_b32_e32 v3, 0
	s_andn2_b32 s12, s12, exec_lo
	s_and_b32 s27, s27, exec_lo
	s_or_b32 s12, s12, s27
	s_or_b32 exec_lo, exec_lo, s26
	s_and_saveexec_b32 s26, s12
	s_cbranch_execnz .LBB6_4251
	s_branch .LBB6_4252
.LBB6_4546:                             ;   in Loop: Header=BB6_3020 Depth=2
	s_or_saveexec_b32 s12, s12
	v_mov_b32_e32 v2, 0x7f800001
	s_xor_b32 exec_lo, exec_lo, s12
	s_cbranch_execz .LBB6_4264
.LBB6_4547:                             ;   in Loop: Header=BB6_3020 Depth=2
	v_cmp_ne_u16_e32 vcc_lo, 0, v3
	v_mov_b32_e32 v2, 0
	s_andn2_b32 s26, s26, exec_lo
	s_and_b32 s27, vcc_lo, exec_lo
	s_or_b32 s26, s26, s27
	s_or_b32 exec_lo, exec_lo, s12
	s_and_saveexec_b32 s12, s26
	s_cbranch_execnz .LBB6_4265
	s_branch .LBB6_4266
.LBB6_4548:                             ;   in Loop: Header=BB6_3020 Depth=2
	s_or_saveexec_b32 s12, s12
	v_mov_b32_e32 v3, 0x7f800001
	s_xor_b32 exec_lo, exec_lo, s12
	s_cbranch_execz .LBB6_4270
.LBB6_4549:                             ;   in Loop: Header=BB6_3020 Depth=2
	v_cmp_ne_u16_e32 vcc_lo, 0, v113
	v_mov_b32_e32 v3, 0
	s_andn2_b32 s26, s26, exec_lo
	s_and_b32 s27, vcc_lo, exec_lo
	s_or_b32 s26, s26, s27
	s_or_b32 exec_lo, exec_lo, s12
	s_and_saveexec_b32 s12, s26
	s_cbranch_execnz .LBB6_4271
	s_branch .LBB6_4272
.LBB6_4550:                             ;   in Loop: Header=BB6_3020 Depth=2
	s_or_saveexec_b32 s26, s26
	v_mov_b32_e32 v3, 0x7f800001
	s_xor_b32 exec_lo, exec_lo, s26
	s_cbranch_execz .LBB6_4284
.LBB6_4551:                             ;   in Loop: Header=BB6_3020 Depth=2
	v_cmp_ne_u16_sdwa s27, v17, v30 src0_sel:BYTE_3 src1_sel:DWORD
	v_mov_b32_e32 v3, 0
	s_andn2_b32 s12, s12, exec_lo
	s_and_b32 s27, s27, exec_lo
	s_or_b32 s12, s12, s27
	s_or_b32 exec_lo, exec_lo, s26
	s_and_saveexec_b32 s26, s12
	s_cbranch_execnz .LBB6_4285
	s_branch .LBB6_4286
.LBB6_4552:                             ;   in Loop: Header=BB6_3020 Depth=2
	s_or_saveexec_b32 s26, s26
	v_mov_b32_e32 v17, 0x7f800001
	s_xor_b32 exec_lo, exec_lo, s26
	s_cbranch_execz .LBB6_4290
.LBB6_4553:                             ;   in Loop: Header=BB6_3020 Depth=2
	v_cmp_ne_u16_sdwa s27, v13, v30 src0_sel:BYTE_3 src1_sel:DWORD
	v_mov_b32_e32 v17, 0
	s_andn2_b32 s12, s12, exec_lo
	s_and_b32 s27, s27, exec_lo
	s_or_b32 s12, s12, s27
	s_or_b32 exec_lo, exec_lo, s26
	s_and_saveexec_b32 s26, s12
	s_cbranch_execnz .LBB6_4291
	s_branch .LBB6_4292
.LBB6_4554:                             ;   in Loop: Header=BB6_2943 Depth=1
	s_or_b32 exec_lo, exec_lo, s25
.LBB6_4555:                             ;   in Loop: Header=BB6_2943 Depth=1
	s_or_b32 exec_lo, exec_lo, s13
	v_and_b32_e32 v3, 0x3ffff800, v59
	v_mov_b32_e32 v16, 0
	s_mov_b32 s12, 0
	s_mov_b32 s25, exec_lo
                                        ; implicit-def: $vgpr17
                                        ; implicit-def: $vgpr18
                                        ; implicit-def: $vgpr2
	v_cmpx_ne_u32_e64 v59, v3
	s_cbranch_execz .LBB6_4947
; %bb.4556:                             ;   in Loop: Header=BB6_2943 Depth=1
	v_lshlrev_b32_e32 v2, 5, v60
	v_and_b32_e32 v26, 0x1ff, v59
	v_bfe_u32 v12, v59, 9, 2
	s_mov_b32 s26, exec_lo
	v_sub_nc_u32_e32 v2, v40, v2
	v_cmp_lt_u32_e32 vcc_lo, 15, v26
	v_ashrrev_i32_e32 v10, 31, v2
	v_add_co_ci_u32_e64 v12, null, 0, v12, vcc_lo
	v_lshrrev_b32_e32 v10, 27, v10
	v_add_nc_u32_e32 v10, v2, v10
	v_and_b32_e32 v11, 0xffffffe0, v10
	v_ashrrev_i32_e32 v10, 5, v10
	v_sub_nc_u32_e32 v24, v2, v11
	v_and_b32_e32 v11, 0x7ff, v59
	v_sub_nc_u32_e32 v25, v12, v10
	v_lshlrev_b32_e32 v2, 4, v24
	v_lshl_add_u32 v2, v10, 9, v2
	v_sub_nc_u32_e32 v27, v11, v2
	v_cmpx_lt_i32_e32 15, v27
	s_cbranch_execz .LBB6_4944
; %bb.4557:                             ;   in Loop: Header=BB6_2943 Depth=1
	s_trap 2
	ds_read_b64 v[10:11], v0
	v_add_nc_u32_e32 v2, v2, v3
	s_mov_b32 s27, 0
	v_ashrrev_i32_e32 v3, 31, v2
	v_add_co_u32 v18, s12, v2, v85
	v_add_co_ci_u32_e64 v19, null, v3, v86, s12
	s_waitcnt lgkmcnt(0)
	v_add_co_u32 v20, s12, v10, v2
	v_add_co_ci_u32_e64 v21, null, v11, v3, s12
	v_add_co_u32 v22, s12, v2, v96
	v_add_co_ci_u32_e64 v23, null, v3, v97, s12
	s_branch .LBB6_4561
.LBB6_4558:                             ;   in Loop: Header=BB6_4561 Depth=2
	s_or_b32 exec_lo, exec_lo, s12
	v_lshrrev_b32_e32 v17, 20, v17
	v_min_i32_e32 v38, 15, v13
	v_cmp_gt_i32_e64 s12, 16, v13
	v_and_b32_sdwa v3, v3, v119 dst_sel:DWORD dst_unused:UNUSED_PAD src0_sel:BYTE_3 src1_sel:DWORD
	v_lshlrev_b32_e32 v38, 3, v38
	v_cndmask_b32_e64 v17, 7, v17, s12
	v_and_b32_e32 v38, 0xf8, v38
	v_and_b32_e32 v39, 7, v17
	v_or_b32_e32 v13, v13, v17
	v_or3_b32 v3, v3, v38, v39
	v_cmp_ne_u32_e64 s12, 0, v13
	v_lshlrev_b32_e32 v3, 8, v3
	v_cndmask_b32_e64 v13, 0, v3, s12
.LBB6_4559:                             ;   in Loop: Header=BB6_4561 Depth=2
	s_or_b32 exec_lo, exec_lo, s29
.LBB6_4560:                             ;   in Loop: Header=BB6_4561 Depth=2
	s_or_b32 exec_lo, exec_lo, s28
	v_or_b32_sdwa v3, v11, v34 dst_sel:WORD_1 dst_unused:UNUSED_PAD src0_sel:DWORD src1_sel:DWORD
	v_or_b32_sdwa v10, v10, v32 dst_sel:WORD_1 dst_unused:UNUSED_PAD src0_sel:DWORD src1_sel:DWORD
	;; [unrolled: 1-line block ×4, first 2 shown]
	v_sub_nc_u32_e32 v27, v27, v44
	v_or3_b32 v11, v33, v14, v3
	v_or3_b32 v10, v29, v28, v10
	;; [unrolled: 1-line block ×4, first 2 shown]
	v_add_co_u32 v18, s12, v18, v44
	v_add_co_ci_u32_e64 v19, null, 0, v19, s12
	v_add_co_u32 v20, s12, v20, v44
	global_store_dwordx4 v[22:23], v[10:13], off glc slc
	v_add_co_ci_u32_e64 v21, null, 0, v21, s12
	v_cmp_gt_i32_e64 s12, 16, v27
	v_add_co_u32 v22, s13, v22, v44
	v_add_co_ci_u32_e64 v23, null, 0, v23, s13
	v_sub_nc_u32_e32 v25, v25, v87
	s_or_b32 s27, s12, s27
	s_andn2_b32 exec_lo, exec_lo, s27
	s_cbranch_execz .LBB6_4943
.LBB6_4561:                             ;   Parent Loop BB6_2943 Depth=1
                                        ; =>  This Inner Loop Header: Depth=2
	global_load_dwordx4 v[14:17], v[18:19], off slc
	global_load_dwordx4 v[10:13], v[20:21], off slc
	s_mov_b32 s12, 0
	s_waitcnt vmcnt(1)
	v_cmp_gt_i16_sdwa s13, v14, v115 src0_sel:BYTE_0 src1_sel:DWORD
	s_and_saveexec_b32 s28, s13
	s_xor_b32 s13, exec_lo, s28
	s_cbranch_execz .LBB6_4879
; %bb.4562:                             ;   in Loop: Header=BB6_4561 Depth=2
	v_cmp_eq_u16_sdwa s29, v14, v119 src0_sel:BYTE_0 src1_sel:DWORD
	s_mov_b32 s12, -1
	s_and_saveexec_b32 s28, s29
; %bb.4563:                             ;   in Loop: Header=BB6_4561 Depth=2
	s_xor_b32 s12, exec_lo, -1
; %bb.4564:                             ;   in Loop: Header=BB6_4561 Depth=2
	s_or_b32 exec_lo, exec_lo, s28
	s_and_b32 s12, s12, exec_lo
	s_or_saveexec_b32 s13, s13
	v_mov_b32_e32 v2, 0x7f800001
	s_xor_b32 exec_lo, exec_lo, s13
	s_cbranch_execnz .LBB6_4880
.LBB6_4565:                             ;   in Loop: Header=BB6_4561 Depth=2
	s_or_b32 exec_lo, exec_lo, s13
	s_and_saveexec_b32 s13, s12
	s_cbranch_execz .LBB6_4567
.LBB6_4566:                             ;   in Loop: Header=BB6_4561 Depth=2
	v_and_b32_e32 v2, 7, v14
	v_bfe_u32 v29, v14, 3, 4
	v_lshlrev_b32_e32 v32, 24, v14
	v_ffbh_u32_e32 v3, v2
	v_cmp_eq_u32_e64 s12, 0, v29
	v_min_u32_e32 v3, 32, v3
	v_subrev_nc_u32_e32 v28, 28, v3
	v_sub_nc_u32_e32 v3, 29, v3
	v_lshlrev_b32_e32 v28, v28, v14
	v_cndmask_b32_e64 v3, v29, v3, s12
	v_and_b32_e32 v28, 7, v28
	v_lshl_add_u32 v3, v3, 23, 0x3b800000
	v_cndmask_b32_e64 v2, v2, v28, s12
	v_and_b32_e32 v28, 0x80000000, v32
	v_lshlrev_b32_e32 v2, 20, v2
	v_or3_b32 v2, v28, v3, v2
.LBB6_4567:                             ;   in Loop: Header=BB6_4561 Depth=2
	s_or_b32 exec_lo, exec_lo, s13
	s_waitcnt vmcnt(0)
	v_cmp_gt_i16_sdwa s13, v10, v115 src0_sel:BYTE_0 src1_sel:DWORD
	s_mov_b32 s12, 0
	s_and_saveexec_b32 s28, s13
	s_xor_b32 s13, exec_lo, s28
	s_cbranch_execz .LBB6_4881
; %bb.4568:                             ;   in Loop: Header=BB6_4561 Depth=2
	v_cmp_eq_u16_sdwa s29, v10, v119 src0_sel:BYTE_0 src1_sel:DWORD
	s_mov_b32 s12, -1
	s_and_saveexec_b32 s28, s29
; %bb.4569:                             ;   in Loop: Header=BB6_4561 Depth=2
	s_xor_b32 s12, exec_lo, -1
; %bb.4570:                             ;   in Loop: Header=BB6_4561 Depth=2
	s_or_b32 exec_lo, exec_lo, s28
	s_and_b32 s12, s12, exec_lo
	s_or_saveexec_b32 s13, s13
	v_mov_b32_e32 v3, 0x7f800001
	s_xor_b32 exec_lo, exec_lo, s13
	s_cbranch_execnz .LBB6_4882
.LBB6_4571:                             ;   in Loop: Header=BB6_4561 Depth=2
	s_or_b32 exec_lo, exec_lo, s13
	s_and_saveexec_b32 s13, s12
	s_cbranch_execz .LBB6_4573
.LBB6_4572:                             ;   in Loop: Header=BB6_4561 Depth=2
	v_and_b32_e32 v3, 7, v10
	v_bfe_u32 v32, v10, 3, 4
	v_lshlrev_b32_e32 v33, 24, v10
	v_ffbh_u32_e32 v28, v3
	v_cmp_eq_u32_e64 s12, 0, v32
	v_min_u32_e32 v28, 32, v28
	v_subrev_nc_u32_e32 v29, 28, v28
	v_sub_nc_u32_e32 v28, 29, v28
	v_lshlrev_b32_e32 v29, v29, v10
	v_cndmask_b32_e64 v28, v32, v28, s12
	v_and_b32_e32 v29, 7, v29
	v_lshl_add_u32 v28, v28, 23, 0x3b800000
	v_cndmask_b32_e64 v3, v3, v29, s12
	v_and_b32_e32 v29, 0x80000000, v33
	v_lshlrev_b32_e32 v3, 20, v3
	v_or3_b32 v3, v29, v28, v3
.LBB6_4573:                             ;   in Loop: Header=BB6_4561 Depth=2
	s_or_b32 exec_lo, exec_lo, s13
	v_add_f32_e32 v2, v2, v3
	v_mov_b32_e32 v28, 0x80
	s_mov_b32 s28, exec_lo
	v_and_b32_e32 v3, 0x7f800000, v2
	v_cmpx_ne_u32_e32 0x7f800000, v3
	s_cbranch_execz .LBB6_4581
; %bb.4574:                             ;   in Loop: Header=BB6_4561 Depth=2
	v_mov_b32_e32 v28, 0
	s_mov_b32 s29, exec_lo
	v_cmpx_ne_u32_e32 0, v2
	s_cbranch_execz .LBB6_4580
; %bb.4575:                             ;   in Loop: Header=BB6_4561 Depth=2
	v_bfe_u32 v3, v2, 23, 8
	v_and_b32_e32 v28, 0x7fffff, v2
	v_sub_nc_u32_e32 v29, 0x78, v3
	v_cmp_gt_u32_e64 s12, 0x79, v3
	v_or_b32_e32 v32, 0x800000, v28
	v_cndmask_b32_e64 v29, 0, v29, s12
	v_cmp_eq_u32_e64 s12, 0, v3
	v_add_nc_u32_e32 v3, 0xffffff89, v3
	v_cndmask_b32_e64 v29, v29, 0x77, s12
	v_cndmask_b32_e64 v28, v32, v28, s12
	;; [unrolled: 1-line block ×3, first 2 shown]
	v_lshl_add_u32 v32, 0x100000, v29, -1
	v_lshrrev_b32_e32 v33, v29, v28
	v_lshlrev_b32_e64 v35, v29, 0x80000
	v_add_nc_u32_e32 v29, v29, v3
	v_and_b32_e32 v28, v32, v28
	v_bfe_u32 v34, v33, 20, 1
	v_cmp_eq_u32_e64 s13, v28, v35
	v_add_nc_u32_e32 v32, -1, v34
	v_cndmask_b32_e64 v28, 0, v32, s13
	v_lshrrev_b32_e32 v32, 23, v33
	s_mov_b32 s13, exec_lo
	v_add_nc_u32_e32 v28, v28, v33
	v_xor_b32_e32 v32, 1, v32
	v_and_b32_e32 v3, 0xfffff, v28
	v_add_nc_u32_e32 v28, v3, v33
                                        ; implicit-def: $vgpr3
	v_cmpx_ne_u32_e64 v29, v32
	s_xor_b32 s13, exec_lo, s13
; %bb.4576:                             ;   in Loop: Header=BB6_4561 Depth=2
	v_cmp_lt_u32_e64 s12, 0xffffff, v28
	v_sub_nc_u32_e32 v3, v29, v32
	v_cndmask_b32_e64 v29, 0, 1, s12
	v_add_co_ci_u32_e64 v3, null, 0, v3, s12
	v_lshrrev_b32_e32 v28, v29, v28
; %bb.4577:                             ;   in Loop: Header=BB6_4561 Depth=2
	s_andn2_saveexec_b32 s12, s13
; %bb.4578:                             ;   in Loop: Header=BB6_4561 Depth=2
	v_bfe_u32 v3, v28, 23, 1
; %bb.4579:                             ;   in Loop: Header=BB6_4561 Depth=2
	s_or_b32 exec_lo, exec_lo, s12
	v_lshrrev_b32_e32 v28, 20, v28
	v_min_i32_e32 v29, 15, v3
	v_cmp_gt_i32_e64 s12, 16, v3
	v_and_b32_sdwa v2, v2, v119 dst_sel:DWORD dst_unused:UNUSED_PAD src0_sel:BYTE_3 src1_sel:DWORD
	v_lshlrev_b32_e32 v29, 3, v29
	v_cndmask_b32_e64 v28, 7, v28, s12
	v_and_b32_e32 v29, 0xf8, v29
	v_and_b32_e32 v32, 7, v28
	v_or_b32_e32 v3, v3, v28
	v_or3_b32 v2, v29, v2, v32
	v_cmp_ne_u32_e64 s12, 0, v3
	v_cndmask_b32_e64 v28, 0, v2, s12
.LBB6_4580:                             ;   in Loop: Header=BB6_4561 Depth=2
	s_or_b32 exec_lo, exec_lo, s29
.LBB6_4581:                             ;   in Loop: Header=BB6_4561 Depth=2
	s_or_b32 exec_lo, exec_lo, s28
	v_cmp_gt_i16_sdwa s13, v14, v115 src0_sel:BYTE_1 src1_sel:DWORD
	s_mov_b32 s12, 0
	s_and_saveexec_b32 s28, s13
	s_xor_b32 s13, exec_lo, s28
	s_cbranch_execz .LBB6_4883
; %bb.4582:                             ;   in Loop: Header=BB6_4561 Depth=2
	v_cmp_eq_u16_sdwa s29, v14, v119 src0_sel:BYTE_1 src1_sel:DWORD
	s_mov_b32 s12, -1
	s_and_saveexec_b32 s28, s29
; %bb.4583:                             ;   in Loop: Header=BB6_4561 Depth=2
	s_xor_b32 s12, exec_lo, -1
; %bb.4584:                             ;   in Loop: Header=BB6_4561 Depth=2
	s_or_b32 exec_lo, exec_lo, s28
	s_and_b32 s12, s12, exec_lo
	s_or_saveexec_b32 s13, s13
	v_mov_b32_e32 v2, 0x7f800001
	s_xor_b32 exec_lo, exec_lo, s13
	s_cbranch_execnz .LBB6_4884
.LBB6_4585:                             ;   in Loop: Header=BB6_4561 Depth=2
	s_or_b32 exec_lo, exec_lo, s13
	s_and_saveexec_b32 s13, s12
	s_cbranch_execz .LBB6_4587
.LBB6_4586:                             ;   in Loop: Header=BB6_4561 Depth=2
	v_and_b32_sdwa v2, v41, v14 dst_sel:DWORD dst_unused:UNUSED_PAD src0_sel:DWORD src1_sel:BYTE_1
	v_and_b32_e32 v3, 7, v2
	v_bfe_u32 v33, v2, 3, 4
	v_ffbh_u32_e32 v29, v3
	v_cmp_eq_u32_e64 s12, 0, v33
	v_min_u32_e32 v29, 32, v29
	v_subrev_nc_u32_e32 v32, 28, v29
	v_sub_nc_u32_e32 v29, 29, v29
	v_lshlrev_b32_e32 v2, v32, v2
	v_lshlrev_b32_sdwa v32, v47, v14 dst_sel:DWORD dst_unused:UNUSED_PAD src0_sel:DWORD src1_sel:BYTE_1
	v_cndmask_b32_e64 v29, v33, v29, s12
	v_and_b32_e32 v2, 7, v2
	v_lshl_add_u32 v29, v29, 23, 0x3b800000
	v_cndmask_b32_e64 v2, v3, v2, s12
	v_and_b32_e32 v3, 0x80000000, v32
	v_lshlrev_b32_e32 v2, 20, v2
	v_or3_b32 v2, v3, v29, v2
.LBB6_4587:                             ;   in Loop: Header=BB6_4561 Depth=2
	s_or_b32 exec_lo, exec_lo, s13
	v_cmp_gt_i16_sdwa s13, v10, v115 src0_sel:BYTE_1 src1_sel:DWORD
	s_mov_b32 s12, 0
	s_and_saveexec_b32 s28, s13
	s_xor_b32 s13, exec_lo, s28
	s_cbranch_execz .LBB6_4885
; %bb.4588:                             ;   in Loop: Header=BB6_4561 Depth=2
	v_cmp_eq_u16_sdwa s29, v10, v119 src0_sel:BYTE_1 src1_sel:DWORD
	s_mov_b32 s12, -1
	s_and_saveexec_b32 s28, s29
; %bb.4589:                             ;   in Loop: Header=BB6_4561 Depth=2
	s_xor_b32 s12, exec_lo, -1
; %bb.4590:                             ;   in Loop: Header=BB6_4561 Depth=2
	s_or_b32 exec_lo, exec_lo, s28
	s_and_b32 s12, s12, exec_lo
	s_or_saveexec_b32 s13, s13
	v_mov_b32_e32 v3, 0x7f800001
	s_xor_b32 exec_lo, exec_lo, s13
	s_cbranch_execnz .LBB6_4886
.LBB6_4591:                             ;   in Loop: Header=BB6_4561 Depth=2
	s_or_b32 exec_lo, exec_lo, s13
	s_and_saveexec_b32 s13, s12
	s_cbranch_execz .LBB6_4593
.LBB6_4592:                             ;   in Loop: Header=BB6_4561 Depth=2
	v_and_b32_sdwa v3, v41, v10 dst_sel:DWORD dst_unused:UNUSED_PAD src0_sel:DWORD src1_sel:BYTE_1
	v_and_b32_e32 v29, 7, v3
	v_bfe_u32 v34, v3, 3, 4
	v_ffbh_u32_e32 v32, v29
	v_cmp_eq_u32_e64 s12, 0, v34
	v_min_u32_e32 v32, 32, v32
	v_subrev_nc_u32_e32 v33, 28, v32
	v_sub_nc_u32_e32 v32, 29, v32
	v_lshlrev_b32_e32 v3, v33, v3
	v_lshlrev_b32_sdwa v33, v47, v10 dst_sel:DWORD dst_unused:UNUSED_PAD src0_sel:DWORD src1_sel:BYTE_1
	v_cndmask_b32_e64 v32, v34, v32, s12
	v_and_b32_e32 v3, 7, v3
	v_lshl_add_u32 v32, v32, 23, 0x3b800000
	v_cndmask_b32_e64 v3, v29, v3, s12
	v_and_b32_e32 v29, 0x80000000, v33
	v_lshlrev_b32_e32 v3, 20, v3
	v_or3_b32 v3, v29, v32, v3
.LBB6_4593:                             ;   in Loop: Header=BB6_4561 Depth=2
	s_or_b32 exec_lo, exec_lo, s13
	v_add_f32_e32 v2, v2, v3
	v_mov_b32_e32 v29, 0x8000
	s_mov_b32 s28, exec_lo
	v_and_b32_e32 v3, 0x7f800000, v2
	v_cmpx_ne_u32_e32 0x7f800000, v3
	s_cbranch_execz .LBB6_4601
; %bb.4594:                             ;   in Loop: Header=BB6_4561 Depth=2
	v_mov_b32_e32 v29, 0
	s_mov_b32 s29, exec_lo
	v_cmpx_ne_u32_e32 0, v2
	s_cbranch_execz .LBB6_4600
; %bb.4595:                             ;   in Loop: Header=BB6_4561 Depth=2
	v_bfe_u32 v3, v2, 23, 8
	v_and_b32_e32 v29, 0x7fffff, v2
	v_sub_nc_u32_e32 v32, 0x78, v3
	v_cmp_gt_u32_e64 s12, 0x79, v3
	v_or_b32_e32 v33, 0x800000, v29
	v_cndmask_b32_e64 v32, 0, v32, s12
	v_cmp_eq_u32_e64 s12, 0, v3
	v_add_nc_u32_e32 v3, 0xffffff89, v3
	v_cndmask_b32_e64 v32, v32, 0x77, s12
	v_cndmask_b32_e64 v29, v33, v29, s12
	;; [unrolled: 1-line block ×3, first 2 shown]
	v_lshl_add_u32 v33, 0x100000, v32, -1
	v_lshrrev_b32_e32 v34, v32, v29
	v_lshlrev_b32_e64 v36, v32, 0x80000
	v_add_nc_u32_e32 v32, v32, v3
	v_and_b32_e32 v29, v33, v29
	v_bfe_u32 v35, v34, 20, 1
	v_cmp_eq_u32_e64 s13, v29, v36
	v_add_nc_u32_e32 v33, -1, v35
	v_cndmask_b32_e64 v29, 0, v33, s13
	v_lshrrev_b32_e32 v33, 23, v34
	s_mov_b32 s13, exec_lo
	v_add_nc_u32_e32 v29, v29, v34
	v_xor_b32_e32 v33, 1, v33
	v_and_b32_e32 v3, 0xfffff, v29
	v_add_nc_u32_e32 v29, v3, v34
                                        ; implicit-def: $vgpr3
	v_cmpx_ne_u32_e64 v32, v33
	s_xor_b32 s13, exec_lo, s13
; %bb.4596:                             ;   in Loop: Header=BB6_4561 Depth=2
	v_cmp_lt_u32_e64 s12, 0xffffff, v29
	v_sub_nc_u32_e32 v3, v32, v33
	v_cndmask_b32_e64 v32, 0, 1, s12
	v_add_co_ci_u32_e64 v3, null, 0, v3, s12
	v_lshrrev_b32_e32 v29, v32, v29
; %bb.4597:                             ;   in Loop: Header=BB6_4561 Depth=2
	s_andn2_saveexec_b32 s12, s13
; %bb.4598:                             ;   in Loop: Header=BB6_4561 Depth=2
	v_bfe_u32 v3, v29, 23, 1
; %bb.4599:                             ;   in Loop: Header=BB6_4561 Depth=2
	s_or_b32 exec_lo, exec_lo, s12
	v_lshrrev_b32_e32 v29, 20, v29
	v_min_i32_e32 v32, 15, v3
	v_cmp_gt_i32_e64 s12, 16, v3
	v_and_b32_sdwa v2, v2, v119 dst_sel:DWORD dst_unused:UNUSED_PAD src0_sel:BYTE_3 src1_sel:DWORD
	v_lshlrev_b32_e32 v32, 3, v32
	v_cndmask_b32_e64 v29, 7, v29, s12
	v_and_b32_e32 v32, 0xf8, v32
	v_and_b32_e32 v33, 7, v29
	v_or_b32_e32 v3, v3, v29
	v_or3_b32 v2, v2, v32, v33
	v_cmp_ne_u32_e64 s12, 0, v3
	v_lshlrev_b32_e32 v2, 8, v2
	v_cndmask_b32_e64 v29, 0, v2, s12
.LBB6_4600:                             ;   in Loop: Header=BB6_4561 Depth=2
	s_or_b32 exec_lo, exec_lo, s29
.LBB6_4601:                             ;   in Loop: Header=BB6_4561 Depth=2
	s_or_b32 exec_lo, exec_lo, s28
	v_and_b32_sdwa v3, v14, v56 dst_sel:DWORD dst_unused:UNUSED_PAD src0_sel:WORD_1 src1_sel:DWORD
	s_mov_b32 s13, 0
	s_mov_b32 s28, exec_lo
	v_cmpx_lt_i16_e32 0x7f, v3
	s_xor_b32 s28, exec_lo, s28
	s_cbranch_execz .LBB6_4887
; %bb.4602:                             ;   in Loop: Header=BB6_4561 Depth=2
	s_mov_b32 s13, -1
	s_mov_b32 s29, exec_lo
	v_cmpx_eq_u16_e32 0x80, v3
; %bb.4603:                             ;   in Loop: Header=BB6_4561 Depth=2
	s_xor_b32 s13, exec_lo, -1
; %bb.4604:                             ;   in Loop: Header=BB6_4561 Depth=2
	s_or_b32 exec_lo, exec_lo, s29
	s_and_b32 s13, s13, exec_lo
                                        ; implicit-def: $vgpr3
	s_or_saveexec_b32 s28, s28
	v_mov_b32_e32 v2, 0x7f800001
	s_xor_b32 exec_lo, exec_lo, s28
	s_cbranch_execnz .LBB6_4888
.LBB6_4605:                             ;   in Loop: Header=BB6_4561 Depth=2
	s_or_b32 exec_lo, exec_lo, s28
	s_and_saveexec_b32 s28, s13
	s_cbranch_execz .LBB6_4607
.LBB6_4606:                             ;   in Loop: Header=BB6_4561 Depth=2
	v_bfe_u32 v2, v14, 16, 3
	v_bfe_u32 v33, v14, 19, 4
	v_lshlrev_b32_e32 v34, 8, v14
	v_ffbh_u32_e32 v3, v2
	v_cmp_eq_u32_e64 s12, 0, v33
	v_min_u32_e32 v3, 32, v3
	v_subrev_nc_u32_e32 v32, 28, v3
	v_sub_nc_u32_e32 v3, 29, v3
	v_lshlrev_b32_sdwa v32, v32, v14 dst_sel:DWORD dst_unused:UNUSED_PAD src0_sel:DWORD src1_sel:WORD_1
	v_cndmask_b32_e64 v3, v33, v3, s12
	v_and_b32_e32 v32, 7, v32
	v_lshl_add_u32 v3, v3, 23, 0x3b800000
	v_cndmask_b32_e64 v2, v2, v32, s12
	v_and_b32_e32 v32, 0x80000000, v34
	v_lshlrev_b32_e32 v2, 20, v2
	v_or3_b32 v2, v32, v3, v2
.LBB6_4607:                             ;   in Loop: Header=BB6_4561 Depth=2
	s_or_b32 exec_lo, exec_lo, s28
	v_and_b32_sdwa v32, v10, v56 dst_sel:DWORD dst_unused:UNUSED_PAD src0_sel:WORD_1 src1_sel:DWORD
	s_mov_b32 s13, 0
	s_mov_b32 s28, exec_lo
	v_cmpx_lt_i16_e32 0x7f, v32
	s_xor_b32 s28, exec_lo, s28
	s_cbranch_execz .LBB6_4889
; %bb.4608:                             ;   in Loop: Header=BB6_4561 Depth=2
	s_mov_b32 s13, -1
	s_mov_b32 s29, exec_lo
	v_cmpx_eq_u16_e32 0x80, v32
; %bb.4609:                             ;   in Loop: Header=BB6_4561 Depth=2
	s_xor_b32 s13, exec_lo, -1
; %bb.4610:                             ;   in Loop: Header=BB6_4561 Depth=2
	s_or_b32 exec_lo, exec_lo, s29
	s_and_b32 s13, s13, exec_lo
                                        ; implicit-def: $vgpr32
	s_or_saveexec_b32 s28, s28
	v_mov_b32_e32 v3, 0x7f800001
	s_xor_b32 exec_lo, exec_lo, s28
	s_cbranch_execnz .LBB6_4890
.LBB6_4611:                             ;   in Loop: Header=BB6_4561 Depth=2
	s_or_b32 exec_lo, exec_lo, s28
	s_and_saveexec_b32 s28, s13
	s_cbranch_execz .LBB6_4613
.LBB6_4612:                             ;   in Loop: Header=BB6_4561 Depth=2
	v_and_b32_sdwa v3, v10, v57 dst_sel:DWORD dst_unused:UNUSED_PAD src0_sel:WORD_1 src1_sel:DWORD
	v_bfe_u32 v34, v10, 19, 4
	v_lshlrev_b32_sdwa v35, v47, v10 dst_sel:DWORD dst_unused:UNUSED_PAD src0_sel:DWORD src1_sel:WORD_1
	v_ffbh_u32_e32 v32, v3
	v_cmp_eq_u32_e64 s12, 0, v34
	v_min_u32_e32 v32, 32, v32
	v_subrev_nc_u32_e32 v33, 28, v32
	v_sub_nc_u32_e32 v32, 29, v32
	v_lshlrev_b32_sdwa v33, v33, v10 dst_sel:DWORD dst_unused:UNUSED_PAD src0_sel:DWORD src1_sel:WORD_1
	v_cndmask_b32_e64 v32, v34, v32, s12
	v_and_b32_e32 v33, 7, v33
	v_lshl_add_u32 v32, v32, 23, 0x3b800000
	v_cndmask_b32_e64 v3, v3, v33, s12
	v_and_b32_e32 v33, 0x80000000, v35
	v_lshlrev_b32_e32 v3, 20, v3
	v_or3_b32 v3, v33, v32, v3
.LBB6_4613:                             ;   in Loop: Header=BB6_4561 Depth=2
	s_or_b32 exec_lo, exec_lo, s28
	v_add_f32_e32 v2, v2, v3
	v_mov_b32_e32 v32, 0x80
	s_mov_b32 s28, exec_lo
	v_and_b32_e32 v3, 0x7f800000, v2
	v_cmpx_ne_u32_e32 0x7f800000, v3
	s_cbranch_execz .LBB6_4621
; %bb.4614:                             ;   in Loop: Header=BB6_4561 Depth=2
	v_mov_b32_e32 v32, 0
	s_mov_b32 s29, exec_lo
	v_cmpx_ne_u32_e32 0, v2
	s_cbranch_execz .LBB6_4620
; %bb.4615:                             ;   in Loop: Header=BB6_4561 Depth=2
	v_bfe_u32 v3, v2, 23, 8
	v_and_b32_e32 v32, 0x7fffff, v2
	v_sub_nc_u32_e32 v33, 0x78, v3
	v_cmp_gt_u32_e64 s12, 0x79, v3
	v_or_b32_e32 v34, 0x800000, v32
	v_cndmask_b32_e64 v33, 0, v33, s12
	v_cmp_eq_u32_e64 s12, 0, v3
	v_add_nc_u32_e32 v3, 0xffffff89, v3
	v_cndmask_b32_e64 v33, v33, 0x77, s12
	v_cndmask_b32_e64 v32, v34, v32, s12
	;; [unrolled: 1-line block ×3, first 2 shown]
	v_lshl_add_u32 v34, 0x100000, v33, -1
	v_lshrrev_b32_e32 v35, v33, v32
	v_lshlrev_b32_e64 v37, v33, 0x80000
	v_add_nc_u32_e32 v33, v33, v3
	v_and_b32_e32 v32, v34, v32
	v_bfe_u32 v36, v35, 20, 1
	v_cmp_eq_u32_e64 s13, v32, v37
	v_add_nc_u32_e32 v34, -1, v36
	v_cndmask_b32_e64 v32, 0, v34, s13
	v_lshrrev_b32_e32 v34, 23, v35
	s_mov_b32 s13, exec_lo
	v_add_nc_u32_e32 v32, v32, v35
	v_xor_b32_e32 v34, 1, v34
	v_and_b32_e32 v3, 0xfffff, v32
	v_add_nc_u32_e32 v32, v3, v35
                                        ; implicit-def: $vgpr3
	v_cmpx_ne_u32_e64 v33, v34
	s_xor_b32 s13, exec_lo, s13
; %bb.4616:                             ;   in Loop: Header=BB6_4561 Depth=2
	v_cmp_lt_u32_e64 s12, 0xffffff, v32
	v_sub_nc_u32_e32 v3, v33, v34
	v_cndmask_b32_e64 v33, 0, 1, s12
	v_add_co_ci_u32_e64 v3, null, 0, v3, s12
	v_lshrrev_b32_e32 v32, v33, v32
; %bb.4617:                             ;   in Loop: Header=BB6_4561 Depth=2
	s_andn2_saveexec_b32 s12, s13
; %bb.4618:                             ;   in Loop: Header=BB6_4561 Depth=2
	v_bfe_u32 v3, v32, 23, 1
; %bb.4619:                             ;   in Loop: Header=BB6_4561 Depth=2
	s_or_b32 exec_lo, exec_lo, s12
	v_lshrrev_b32_e32 v32, 20, v32
	v_min_i32_e32 v33, 15, v3
	v_cmp_gt_i32_e64 s12, 16, v3
	v_and_b32_sdwa v2, v2, v119 dst_sel:DWORD dst_unused:UNUSED_PAD src0_sel:BYTE_3 src1_sel:DWORD
	v_lshlrev_b32_e32 v33, 3, v33
	v_cndmask_b32_e64 v32, 7, v32, s12
	v_and_b32_e32 v33, 0xf8, v33
	v_and_b32_e32 v34, 7, v32
	v_or_b32_e32 v3, v3, v32
	v_or3_b32 v2, v33, v2, v34
	v_cmp_ne_u32_e64 s12, 0, v3
	v_cndmask_b32_e64 v32, 0, v2, s12
.LBB6_4620:                             ;   in Loop: Header=BB6_4561 Depth=2
	s_or_b32 exec_lo, exec_lo, s29
.LBB6_4621:                             ;   in Loop: Header=BB6_4561 Depth=2
	s_or_b32 exec_lo, exec_lo, s28
	v_cmp_gt_i16_sdwa s13, v14, v115 src0_sel:BYTE_3 src1_sel:DWORD
	s_mov_b32 s12, 0
	s_and_saveexec_b32 s28, s13
	s_xor_b32 s13, exec_lo, s28
	s_cbranch_execz .LBB6_4891
; %bb.4622:                             ;   in Loop: Header=BB6_4561 Depth=2
	v_cmp_eq_u16_sdwa s29, v14, v119 src0_sel:BYTE_3 src1_sel:DWORD
	s_mov_b32 s12, -1
	s_and_saveexec_b32 s28, s29
; %bb.4623:                             ;   in Loop: Header=BB6_4561 Depth=2
	s_xor_b32 s12, exec_lo, -1
; %bb.4624:                             ;   in Loop: Header=BB6_4561 Depth=2
	s_or_b32 exec_lo, exec_lo, s28
	s_and_b32 s12, s12, exec_lo
	s_or_saveexec_b32 s13, s13
	v_mov_b32_e32 v2, 0x7f800001
	s_xor_b32 exec_lo, exec_lo, s13
	s_cbranch_execnz .LBB6_4892
.LBB6_4625:                             ;   in Loop: Header=BB6_4561 Depth=2
	s_or_b32 exec_lo, exec_lo, s13
	s_and_saveexec_b32 s13, s12
	s_cbranch_execz .LBB6_4627
.LBB6_4626:                             ;   in Loop: Header=BB6_4561 Depth=2
	v_bfe_u32 v2, v14, 24, 3
	v_bfe_u32 v34, v14, 27, 4
	v_ffbh_u32_e32 v3, v2
	v_cmp_eq_u32_e64 s12, 0, v34
	v_min_u32_e32 v3, 32, v3
	v_subrev_nc_u32_e32 v33, 28, v3
	v_sub_nc_u32_e32 v3, 29, v3
	v_lshlrev_b32_sdwa v33, v33, v14 dst_sel:DWORD dst_unused:UNUSED_PAD src0_sel:DWORD src1_sel:BYTE_3
	v_cndmask_b32_e64 v3, v34, v3, s12
	v_and_b32_e32 v14, 0x80000000, v14
	v_and_b32_e32 v33, 7, v33
	v_lshl_add_u32 v3, v3, 23, 0x3b800000
	v_cndmask_b32_e64 v2, v2, v33, s12
	v_lshlrev_b32_e32 v2, 20, v2
	v_or3_b32 v2, v14, v3, v2
.LBB6_4627:                             ;   in Loop: Header=BB6_4561 Depth=2
	s_or_b32 exec_lo, exec_lo, s13
	v_cmp_gt_i16_sdwa s13, v10, v115 src0_sel:BYTE_3 src1_sel:DWORD
	s_mov_b32 s12, 0
	s_and_saveexec_b32 s28, s13
	s_xor_b32 s13, exec_lo, s28
	s_cbranch_execz .LBB6_4893
; %bb.4628:                             ;   in Loop: Header=BB6_4561 Depth=2
	v_cmp_eq_u16_sdwa s29, v10, v119 src0_sel:BYTE_3 src1_sel:DWORD
	s_mov_b32 s12, -1
	s_and_saveexec_b32 s28, s29
; %bb.4629:                             ;   in Loop: Header=BB6_4561 Depth=2
	s_xor_b32 s12, exec_lo, -1
; %bb.4630:                             ;   in Loop: Header=BB6_4561 Depth=2
	s_or_b32 exec_lo, exec_lo, s28
	s_and_b32 s12, s12, exec_lo
	s_or_saveexec_b32 s13, s13
	v_mov_b32_e32 v3, 0x7f800001
	s_xor_b32 exec_lo, exec_lo, s13
	s_cbranch_execnz .LBB6_4894
.LBB6_4631:                             ;   in Loop: Header=BB6_4561 Depth=2
	s_or_b32 exec_lo, exec_lo, s13
	s_and_saveexec_b32 s13, s12
	s_cbranch_execz .LBB6_4633
.LBB6_4632:                             ;   in Loop: Header=BB6_4561 Depth=2
	v_and_b32_sdwa v3, v10, v57 dst_sel:DWORD dst_unused:UNUSED_PAD src0_sel:BYTE_3 src1_sel:DWORD
	v_bfe_u32 v34, v10, 27, 4
	v_ffbh_u32_e32 v14, v3
	v_cmp_eq_u32_e64 s12, 0, v34
	v_min_u32_e32 v14, 32, v14
	v_subrev_nc_u32_e32 v33, 28, v14
	v_sub_nc_u32_e32 v14, 29, v14
	v_lshlrev_b32_sdwa v33, v33, v10 dst_sel:DWORD dst_unused:UNUSED_PAD src0_sel:DWORD src1_sel:BYTE_3
	v_cndmask_b32_e64 v14, v34, v14, s12
	v_and_b32_e32 v10, 0x80000000, v10
	v_and_b32_e32 v33, 7, v33
	v_lshl_add_u32 v14, v14, 23, 0x3b800000
	v_cndmask_b32_e64 v3, v3, v33, s12
	v_lshlrev_b32_e32 v3, 20, v3
	v_or3_b32 v3, v10, v14, v3
.LBB6_4633:                             ;   in Loop: Header=BB6_4561 Depth=2
	s_or_b32 exec_lo, exec_lo, s13
	v_add_f32_e32 v2, v2, v3
	v_mov_b32_e32 v10, 0x8000
	s_mov_b32 s28, exec_lo
	v_and_b32_e32 v3, 0x7f800000, v2
	v_cmpx_ne_u32_e32 0x7f800000, v3
	s_cbranch_execz .LBB6_4641
; %bb.4634:                             ;   in Loop: Header=BB6_4561 Depth=2
	v_mov_b32_e32 v10, 0
	s_mov_b32 s29, exec_lo
	v_cmpx_ne_u32_e32 0, v2
	s_cbranch_execz .LBB6_4640
; %bb.4635:                             ;   in Loop: Header=BB6_4561 Depth=2
	v_bfe_u32 v3, v2, 23, 8
	v_and_b32_e32 v10, 0x7fffff, v2
	v_sub_nc_u32_e32 v14, 0x78, v3
	v_cmp_gt_u32_e64 s12, 0x79, v3
	v_or_b32_e32 v33, 0x800000, v10
	v_cndmask_b32_e64 v14, 0, v14, s12
	v_cmp_eq_u32_e64 s12, 0, v3
	v_add_nc_u32_e32 v3, 0xffffff89, v3
	v_cndmask_b32_e64 v14, v14, 0x77, s12
	v_cndmask_b32_e64 v10, v33, v10, s12
	;; [unrolled: 1-line block ×3, first 2 shown]
	v_lshl_add_u32 v33, 0x100000, v14, -1
	v_lshrrev_b32_e32 v34, v14, v10
	v_lshlrev_b32_e64 v36, v14, 0x80000
	v_add_nc_u32_e32 v14, v14, v3
	v_and_b32_e32 v10, v33, v10
	v_bfe_u32 v35, v34, 20, 1
	v_cmp_eq_u32_e64 s13, v10, v36
	v_add_nc_u32_e32 v33, -1, v35
	v_cndmask_b32_e64 v10, 0, v33, s13
	v_lshrrev_b32_e32 v33, 23, v34
	s_mov_b32 s13, exec_lo
	v_add_nc_u32_e32 v10, v10, v34
	v_xor_b32_e32 v33, 1, v33
	v_and_b32_e32 v3, 0xfffff, v10
	v_add_nc_u32_e32 v10, v3, v34
                                        ; implicit-def: $vgpr3
	v_cmpx_ne_u32_e64 v14, v33
	s_xor_b32 s13, exec_lo, s13
; %bb.4636:                             ;   in Loop: Header=BB6_4561 Depth=2
	v_cmp_lt_u32_e64 s12, 0xffffff, v10
	v_sub_nc_u32_e32 v3, v14, v33
	v_cndmask_b32_e64 v14, 0, 1, s12
	v_add_co_ci_u32_e64 v3, null, 0, v3, s12
	v_lshrrev_b32_e32 v10, v14, v10
; %bb.4637:                             ;   in Loop: Header=BB6_4561 Depth=2
	s_andn2_saveexec_b32 s12, s13
; %bb.4638:                             ;   in Loop: Header=BB6_4561 Depth=2
	v_bfe_u32 v3, v10, 23, 1
; %bb.4639:                             ;   in Loop: Header=BB6_4561 Depth=2
	s_or_b32 exec_lo, exec_lo, s12
	v_lshrrev_b32_e32 v10, 20, v10
	v_min_i32_e32 v14, 15, v3
	v_cmp_gt_i32_e64 s12, 16, v3
	v_and_b32_sdwa v2, v2, v119 dst_sel:DWORD dst_unused:UNUSED_PAD src0_sel:BYTE_3 src1_sel:DWORD
	v_lshlrev_b32_e32 v14, 3, v14
	v_cndmask_b32_e64 v10, 7, v10, s12
	v_and_b32_e32 v14, 0xf8, v14
	v_and_b32_e32 v33, 7, v10
	v_or_b32_e32 v3, v3, v10
	v_or3_b32 v2, v2, v14, v33
	v_cmp_ne_u32_e64 s12, 0, v3
	v_lshlrev_b32_e32 v2, 8, v2
	v_cndmask_b32_e64 v10, 0, v2, s12
.LBB6_4640:                             ;   in Loop: Header=BB6_4561 Depth=2
	s_or_b32 exec_lo, exec_lo, s29
.LBB6_4641:                             ;   in Loop: Header=BB6_4561 Depth=2
	s_or_b32 exec_lo, exec_lo, s28
	v_cmp_gt_i16_sdwa s13, v15, v115 src0_sel:BYTE_0 src1_sel:DWORD
	s_mov_b32 s12, 0
	s_and_saveexec_b32 s28, s13
	s_xor_b32 s13, exec_lo, s28
	s_cbranch_execz .LBB6_4895
; %bb.4642:                             ;   in Loop: Header=BB6_4561 Depth=2
	v_cmp_eq_u16_sdwa s29, v15, v119 src0_sel:BYTE_0 src1_sel:DWORD
	s_mov_b32 s12, -1
	s_and_saveexec_b32 s28, s29
; %bb.4643:                             ;   in Loop: Header=BB6_4561 Depth=2
	s_xor_b32 s12, exec_lo, -1
; %bb.4644:                             ;   in Loop: Header=BB6_4561 Depth=2
	s_or_b32 exec_lo, exec_lo, s28
	s_and_b32 s12, s12, exec_lo
	s_or_saveexec_b32 s13, s13
	v_mov_b32_e32 v2, 0x7f800001
	s_xor_b32 exec_lo, exec_lo, s13
	s_cbranch_execnz .LBB6_4896
.LBB6_4645:                             ;   in Loop: Header=BB6_4561 Depth=2
	s_or_b32 exec_lo, exec_lo, s13
	s_and_saveexec_b32 s13, s12
	s_cbranch_execz .LBB6_4647
.LBB6_4646:                             ;   in Loop: Header=BB6_4561 Depth=2
	v_and_b32_e32 v2, 7, v15
	v_bfe_u32 v33, v15, 3, 4
	v_lshlrev_b32_e32 v34, 24, v15
	v_ffbh_u32_e32 v3, v2
	v_cmp_eq_u32_e64 s12, 0, v33
	v_min_u32_e32 v3, 32, v3
	v_subrev_nc_u32_e32 v14, 28, v3
	v_sub_nc_u32_e32 v3, 29, v3
	v_lshlrev_b32_e32 v14, v14, v15
	v_cndmask_b32_e64 v3, v33, v3, s12
	v_and_b32_e32 v14, 7, v14
	v_lshl_add_u32 v3, v3, 23, 0x3b800000
	v_cndmask_b32_e64 v2, v2, v14, s12
	v_and_b32_e32 v14, 0x80000000, v34
	v_lshlrev_b32_e32 v2, 20, v2
	v_or3_b32 v2, v14, v3, v2
.LBB6_4647:                             ;   in Loop: Header=BB6_4561 Depth=2
	s_or_b32 exec_lo, exec_lo, s13
	v_cmp_gt_i16_sdwa s13, v11, v115 src0_sel:BYTE_0 src1_sel:DWORD
	s_mov_b32 s12, 0
	s_and_saveexec_b32 s28, s13
	s_xor_b32 s13, exec_lo, s28
	s_cbranch_execz .LBB6_4897
; %bb.4648:                             ;   in Loop: Header=BB6_4561 Depth=2
	v_cmp_eq_u16_sdwa s29, v11, v119 src0_sel:BYTE_0 src1_sel:DWORD
	s_mov_b32 s12, -1
	s_and_saveexec_b32 s28, s29
; %bb.4649:                             ;   in Loop: Header=BB6_4561 Depth=2
	s_xor_b32 s12, exec_lo, -1
; %bb.4650:                             ;   in Loop: Header=BB6_4561 Depth=2
	s_or_b32 exec_lo, exec_lo, s28
	s_and_b32 s12, s12, exec_lo
	s_or_saveexec_b32 s13, s13
	v_mov_b32_e32 v3, 0x7f800001
	s_xor_b32 exec_lo, exec_lo, s13
	s_cbranch_execnz .LBB6_4898
.LBB6_4651:                             ;   in Loop: Header=BB6_4561 Depth=2
	s_or_b32 exec_lo, exec_lo, s13
	s_and_saveexec_b32 s13, s12
	s_cbranch_execz .LBB6_4653
.LBB6_4652:                             ;   in Loop: Header=BB6_4561 Depth=2
	v_and_b32_e32 v3, 7, v11
	v_bfe_u32 v34, v11, 3, 4
	v_lshlrev_b32_e32 v35, 24, v11
	v_ffbh_u32_e32 v14, v3
	v_cmp_eq_u32_e64 s12, 0, v34
	v_min_u32_e32 v14, 32, v14
	v_subrev_nc_u32_e32 v33, 28, v14
	v_sub_nc_u32_e32 v14, 29, v14
	v_lshlrev_b32_e32 v33, v33, v11
	v_cndmask_b32_e64 v14, v34, v14, s12
	v_and_b32_e32 v33, 7, v33
	v_lshl_add_u32 v14, v14, 23, 0x3b800000
	v_cndmask_b32_e64 v3, v3, v33, s12
	v_and_b32_e32 v33, 0x80000000, v35
	v_lshlrev_b32_e32 v3, 20, v3
	v_or3_b32 v3, v33, v14, v3
.LBB6_4653:                             ;   in Loop: Header=BB6_4561 Depth=2
	s_or_b32 exec_lo, exec_lo, s13
	v_add_f32_e32 v2, v2, v3
	v_mov_b32_e32 v14, 0x80
	s_mov_b32 s28, exec_lo
	v_and_b32_e32 v3, 0x7f800000, v2
	v_cmpx_ne_u32_e32 0x7f800000, v3
	s_cbranch_execz .LBB6_4661
; %bb.4654:                             ;   in Loop: Header=BB6_4561 Depth=2
	v_mov_b32_e32 v14, 0
	s_mov_b32 s29, exec_lo
	v_cmpx_ne_u32_e32 0, v2
	s_cbranch_execz .LBB6_4660
; %bb.4655:                             ;   in Loop: Header=BB6_4561 Depth=2
	v_bfe_u32 v3, v2, 23, 8
	v_and_b32_e32 v14, 0x7fffff, v2
	v_sub_nc_u32_e32 v33, 0x78, v3
	v_cmp_gt_u32_e64 s12, 0x79, v3
	v_or_b32_e32 v34, 0x800000, v14
	v_cndmask_b32_e64 v33, 0, v33, s12
	v_cmp_eq_u32_e64 s12, 0, v3
	v_add_nc_u32_e32 v3, 0xffffff89, v3
	v_cndmask_b32_e64 v33, v33, 0x77, s12
	v_cndmask_b32_e64 v14, v34, v14, s12
	;; [unrolled: 1-line block ×3, first 2 shown]
	v_lshl_add_u32 v34, 0x100000, v33, -1
	v_lshrrev_b32_e32 v35, v33, v14
	v_lshlrev_b32_e64 v37, v33, 0x80000
	v_add_nc_u32_e32 v33, v33, v3
	v_and_b32_e32 v14, v34, v14
	v_bfe_u32 v36, v35, 20, 1
	v_cmp_eq_u32_e64 s13, v14, v37
	v_add_nc_u32_e32 v34, -1, v36
	v_cndmask_b32_e64 v14, 0, v34, s13
	v_lshrrev_b32_e32 v34, 23, v35
	s_mov_b32 s13, exec_lo
	v_add_nc_u32_e32 v14, v14, v35
	v_xor_b32_e32 v34, 1, v34
	v_and_b32_e32 v3, 0xfffff, v14
	v_add_nc_u32_e32 v14, v3, v35
                                        ; implicit-def: $vgpr3
	v_cmpx_ne_u32_e64 v33, v34
	s_xor_b32 s13, exec_lo, s13
; %bb.4656:                             ;   in Loop: Header=BB6_4561 Depth=2
	v_cmp_lt_u32_e64 s12, 0xffffff, v14
	v_sub_nc_u32_e32 v3, v33, v34
	v_cndmask_b32_e64 v33, 0, 1, s12
	v_add_co_ci_u32_e64 v3, null, 0, v3, s12
	v_lshrrev_b32_e32 v14, v33, v14
; %bb.4657:                             ;   in Loop: Header=BB6_4561 Depth=2
	s_andn2_saveexec_b32 s12, s13
; %bb.4658:                             ;   in Loop: Header=BB6_4561 Depth=2
	v_bfe_u32 v3, v14, 23, 1
; %bb.4659:                             ;   in Loop: Header=BB6_4561 Depth=2
	s_or_b32 exec_lo, exec_lo, s12
	v_lshrrev_b32_e32 v14, 20, v14
	v_min_i32_e32 v33, 15, v3
	v_cmp_gt_i32_e64 s12, 16, v3
	v_and_b32_sdwa v2, v2, v119 dst_sel:DWORD dst_unused:UNUSED_PAD src0_sel:BYTE_3 src1_sel:DWORD
	v_lshlrev_b32_e32 v33, 3, v33
	v_cndmask_b32_e64 v14, 7, v14, s12
	v_and_b32_e32 v33, 0xf8, v33
	v_and_b32_e32 v34, 7, v14
	v_or_b32_e32 v3, v3, v14
	v_or3_b32 v2, v33, v2, v34
	v_cmp_ne_u32_e64 s12, 0, v3
	v_cndmask_b32_e64 v14, 0, v2, s12
.LBB6_4660:                             ;   in Loop: Header=BB6_4561 Depth=2
	s_or_b32 exec_lo, exec_lo, s29
.LBB6_4661:                             ;   in Loop: Header=BB6_4561 Depth=2
	s_or_b32 exec_lo, exec_lo, s28
	v_cmp_gt_i16_sdwa s13, v15, v115 src0_sel:BYTE_1 src1_sel:DWORD
	s_mov_b32 s12, 0
	s_and_saveexec_b32 s28, s13
	s_xor_b32 s13, exec_lo, s28
	s_cbranch_execz .LBB6_4899
; %bb.4662:                             ;   in Loop: Header=BB6_4561 Depth=2
	v_cmp_eq_u16_sdwa s29, v15, v119 src0_sel:BYTE_1 src1_sel:DWORD
	s_mov_b32 s12, -1
	s_and_saveexec_b32 s28, s29
; %bb.4663:                             ;   in Loop: Header=BB6_4561 Depth=2
	s_xor_b32 s12, exec_lo, -1
; %bb.4664:                             ;   in Loop: Header=BB6_4561 Depth=2
	s_or_b32 exec_lo, exec_lo, s28
	s_and_b32 s12, s12, exec_lo
	s_or_saveexec_b32 s13, s13
	v_mov_b32_e32 v2, 0x7f800001
	s_xor_b32 exec_lo, exec_lo, s13
	s_cbranch_execnz .LBB6_4900
.LBB6_4665:                             ;   in Loop: Header=BB6_4561 Depth=2
	s_or_b32 exec_lo, exec_lo, s13
	s_and_saveexec_b32 s13, s12
	s_cbranch_execz .LBB6_4667
.LBB6_4666:                             ;   in Loop: Header=BB6_4561 Depth=2
	v_and_b32_sdwa v2, v41, v15 dst_sel:DWORD dst_unused:UNUSED_PAD src0_sel:DWORD src1_sel:BYTE_1
	v_and_b32_e32 v3, 7, v2
	v_bfe_u32 v35, v2, 3, 4
	v_ffbh_u32_e32 v33, v3
	v_cmp_eq_u32_e64 s12, 0, v35
	v_min_u32_e32 v33, 32, v33
	v_subrev_nc_u32_e32 v34, 28, v33
	v_sub_nc_u32_e32 v33, 29, v33
	v_lshlrev_b32_e32 v2, v34, v2
	v_lshlrev_b32_sdwa v34, v47, v15 dst_sel:DWORD dst_unused:UNUSED_PAD src0_sel:DWORD src1_sel:BYTE_1
	v_cndmask_b32_e64 v33, v35, v33, s12
	v_and_b32_e32 v2, 7, v2
	v_lshl_add_u32 v33, v33, 23, 0x3b800000
	v_cndmask_b32_e64 v2, v3, v2, s12
	v_and_b32_e32 v3, 0x80000000, v34
	v_lshlrev_b32_e32 v2, 20, v2
	v_or3_b32 v2, v3, v33, v2
.LBB6_4667:                             ;   in Loop: Header=BB6_4561 Depth=2
	s_or_b32 exec_lo, exec_lo, s13
	v_cmp_gt_i16_sdwa s13, v11, v115 src0_sel:BYTE_1 src1_sel:DWORD
	s_mov_b32 s12, 0
	s_and_saveexec_b32 s28, s13
	s_xor_b32 s13, exec_lo, s28
	s_cbranch_execz .LBB6_4901
; %bb.4668:                             ;   in Loop: Header=BB6_4561 Depth=2
	v_cmp_eq_u16_sdwa s29, v11, v119 src0_sel:BYTE_1 src1_sel:DWORD
	s_mov_b32 s12, -1
	s_and_saveexec_b32 s28, s29
; %bb.4669:                             ;   in Loop: Header=BB6_4561 Depth=2
	s_xor_b32 s12, exec_lo, -1
; %bb.4670:                             ;   in Loop: Header=BB6_4561 Depth=2
	s_or_b32 exec_lo, exec_lo, s28
	s_and_b32 s12, s12, exec_lo
	s_or_saveexec_b32 s13, s13
	v_mov_b32_e32 v3, 0x7f800001
	s_xor_b32 exec_lo, exec_lo, s13
	s_cbranch_execnz .LBB6_4902
.LBB6_4671:                             ;   in Loop: Header=BB6_4561 Depth=2
	s_or_b32 exec_lo, exec_lo, s13
	s_and_saveexec_b32 s13, s12
	s_cbranch_execz .LBB6_4673
.LBB6_4672:                             ;   in Loop: Header=BB6_4561 Depth=2
	v_and_b32_sdwa v3, v41, v11 dst_sel:DWORD dst_unused:UNUSED_PAD src0_sel:DWORD src1_sel:BYTE_1
	v_and_b32_e32 v33, 7, v3
	v_bfe_u32 v36, v3, 3, 4
	v_ffbh_u32_e32 v34, v33
	v_cmp_eq_u32_e64 s12, 0, v36
	v_min_u32_e32 v34, 32, v34
	v_subrev_nc_u32_e32 v35, 28, v34
	v_sub_nc_u32_e32 v34, 29, v34
	v_lshlrev_b32_e32 v3, v35, v3
	v_lshlrev_b32_sdwa v35, v47, v11 dst_sel:DWORD dst_unused:UNUSED_PAD src0_sel:DWORD src1_sel:BYTE_1
	v_cndmask_b32_e64 v34, v36, v34, s12
	v_and_b32_e32 v3, 7, v3
	v_lshl_add_u32 v34, v34, 23, 0x3b800000
	v_cndmask_b32_e64 v3, v33, v3, s12
	v_and_b32_e32 v33, 0x80000000, v35
	v_lshlrev_b32_e32 v3, 20, v3
	v_or3_b32 v3, v33, v34, v3
.LBB6_4673:                             ;   in Loop: Header=BB6_4561 Depth=2
	s_or_b32 exec_lo, exec_lo, s13
	v_add_f32_e32 v2, v2, v3
	v_mov_b32_e32 v33, 0x8000
	s_mov_b32 s28, exec_lo
	v_and_b32_e32 v3, 0x7f800000, v2
	v_cmpx_ne_u32_e32 0x7f800000, v3
	s_cbranch_execz .LBB6_4681
; %bb.4674:                             ;   in Loop: Header=BB6_4561 Depth=2
	v_mov_b32_e32 v33, 0
	s_mov_b32 s29, exec_lo
	v_cmpx_ne_u32_e32 0, v2
	s_cbranch_execz .LBB6_4680
; %bb.4675:                             ;   in Loop: Header=BB6_4561 Depth=2
	v_bfe_u32 v3, v2, 23, 8
	v_and_b32_e32 v33, 0x7fffff, v2
	v_sub_nc_u32_e32 v34, 0x78, v3
	v_cmp_gt_u32_e64 s12, 0x79, v3
	v_or_b32_e32 v35, 0x800000, v33
	v_cndmask_b32_e64 v34, 0, v34, s12
	v_cmp_eq_u32_e64 s12, 0, v3
	v_add_nc_u32_e32 v3, 0xffffff89, v3
	v_cndmask_b32_e64 v34, v34, 0x77, s12
	v_cndmask_b32_e64 v33, v35, v33, s12
	;; [unrolled: 1-line block ×3, first 2 shown]
	v_lshl_add_u32 v35, 0x100000, v34, -1
	v_lshrrev_b32_e32 v36, v34, v33
	v_lshlrev_b32_e64 v38, v34, 0x80000
	v_add_nc_u32_e32 v34, v34, v3
	v_and_b32_e32 v33, v35, v33
	v_bfe_u32 v37, v36, 20, 1
	v_cmp_eq_u32_e64 s13, v33, v38
	v_add_nc_u32_e32 v35, -1, v37
	v_cndmask_b32_e64 v33, 0, v35, s13
	v_lshrrev_b32_e32 v35, 23, v36
	s_mov_b32 s13, exec_lo
	v_add_nc_u32_e32 v33, v33, v36
	v_xor_b32_e32 v35, 1, v35
	v_and_b32_e32 v3, 0xfffff, v33
	v_add_nc_u32_e32 v33, v3, v36
                                        ; implicit-def: $vgpr3
	v_cmpx_ne_u32_e64 v34, v35
	s_xor_b32 s13, exec_lo, s13
; %bb.4676:                             ;   in Loop: Header=BB6_4561 Depth=2
	v_cmp_lt_u32_e64 s12, 0xffffff, v33
	v_sub_nc_u32_e32 v3, v34, v35
	v_cndmask_b32_e64 v34, 0, 1, s12
	v_add_co_ci_u32_e64 v3, null, 0, v3, s12
	v_lshrrev_b32_e32 v33, v34, v33
; %bb.4677:                             ;   in Loop: Header=BB6_4561 Depth=2
	s_andn2_saveexec_b32 s12, s13
; %bb.4678:                             ;   in Loop: Header=BB6_4561 Depth=2
	v_bfe_u32 v3, v33, 23, 1
; %bb.4679:                             ;   in Loop: Header=BB6_4561 Depth=2
	s_or_b32 exec_lo, exec_lo, s12
	v_lshrrev_b32_e32 v33, 20, v33
	v_min_i32_e32 v34, 15, v3
	v_cmp_gt_i32_e64 s12, 16, v3
	v_and_b32_sdwa v2, v2, v119 dst_sel:DWORD dst_unused:UNUSED_PAD src0_sel:BYTE_3 src1_sel:DWORD
	v_lshlrev_b32_e32 v34, 3, v34
	v_cndmask_b32_e64 v33, 7, v33, s12
	v_and_b32_e32 v34, 0xf8, v34
	v_and_b32_e32 v35, 7, v33
	v_or_b32_e32 v3, v3, v33
	v_or3_b32 v2, v2, v34, v35
	v_cmp_ne_u32_e64 s12, 0, v3
	v_lshlrev_b32_e32 v2, 8, v2
	v_cndmask_b32_e64 v33, 0, v2, s12
.LBB6_4680:                             ;   in Loop: Header=BB6_4561 Depth=2
	s_or_b32 exec_lo, exec_lo, s29
.LBB6_4681:                             ;   in Loop: Header=BB6_4561 Depth=2
	s_or_b32 exec_lo, exec_lo, s28
	v_and_b32_sdwa v3, v15, v56 dst_sel:DWORD dst_unused:UNUSED_PAD src0_sel:WORD_1 src1_sel:DWORD
	s_mov_b32 s13, 0
	s_mov_b32 s28, exec_lo
	v_cmpx_lt_i16_e32 0x7f, v3
	s_xor_b32 s28, exec_lo, s28
	s_cbranch_execz .LBB6_4903
; %bb.4682:                             ;   in Loop: Header=BB6_4561 Depth=2
	s_mov_b32 s13, -1
	s_mov_b32 s29, exec_lo
	v_cmpx_eq_u16_e32 0x80, v3
; %bb.4683:                             ;   in Loop: Header=BB6_4561 Depth=2
	s_xor_b32 s13, exec_lo, -1
; %bb.4684:                             ;   in Loop: Header=BB6_4561 Depth=2
	s_or_b32 exec_lo, exec_lo, s29
	s_and_b32 s13, s13, exec_lo
                                        ; implicit-def: $vgpr3
	s_or_saveexec_b32 s28, s28
	v_mov_b32_e32 v2, 0x7f800001
	s_xor_b32 exec_lo, exec_lo, s28
	s_cbranch_execnz .LBB6_4904
.LBB6_4685:                             ;   in Loop: Header=BB6_4561 Depth=2
	s_or_b32 exec_lo, exec_lo, s28
	s_and_saveexec_b32 s28, s13
	s_cbranch_execz .LBB6_4687
.LBB6_4686:                             ;   in Loop: Header=BB6_4561 Depth=2
	v_bfe_u32 v2, v15, 16, 3
	v_bfe_u32 v35, v15, 19, 4
	v_lshlrev_b32_e32 v36, 8, v15
	v_ffbh_u32_e32 v3, v2
	v_cmp_eq_u32_e64 s12, 0, v35
	v_min_u32_e32 v3, 32, v3
	v_subrev_nc_u32_e32 v34, 28, v3
	v_sub_nc_u32_e32 v3, 29, v3
	v_lshlrev_b32_sdwa v34, v34, v15 dst_sel:DWORD dst_unused:UNUSED_PAD src0_sel:DWORD src1_sel:WORD_1
	v_cndmask_b32_e64 v3, v35, v3, s12
	v_and_b32_e32 v34, 7, v34
	v_lshl_add_u32 v3, v3, 23, 0x3b800000
	v_cndmask_b32_e64 v2, v2, v34, s12
	v_and_b32_e32 v34, 0x80000000, v36
	v_lshlrev_b32_e32 v2, 20, v2
	v_or3_b32 v2, v34, v3, v2
.LBB6_4687:                             ;   in Loop: Header=BB6_4561 Depth=2
	s_or_b32 exec_lo, exec_lo, s28
	v_and_b32_sdwa v34, v11, v56 dst_sel:DWORD dst_unused:UNUSED_PAD src0_sel:WORD_1 src1_sel:DWORD
	s_mov_b32 s13, 0
	s_mov_b32 s28, exec_lo
	v_cmpx_lt_i16_e32 0x7f, v34
	s_xor_b32 s28, exec_lo, s28
	s_cbranch_execz .LBB6_4905
; %bb.4688:                             ;   in Loop: Header=BB6_4561 Depth=2
	s_mov_b32 s13, -1
	s_mov_b32 s29, exec_lo
	v_cmpx_eq_u16_e32 0x80, v34
; %bb.4689:                             ;   in Loop: Header=BB6_4561 Depth=2
	s_xor_b32 s13, exec_lo, -1
; %bb.4690:                             ;   in Loop: Header=BB6_4561 Depth=2
	s_or_b32 exec_lo, exec_lo, s29
	s_and_b32 s13, s13, exec_lo
                                        ; implicit-def: $vgpr34
	s_or_saveexec_b32 s28, s28
	v_mov_b32_e32 v3, 0x7f800001
	s_xor_b32 exec_lo, exec_lo, s28
	s_cbranch_execnz .LBB6_4906
.LBB6_4691:                             ;   in Loop: Header=BB6_4561 Depth=2
	s_or_b32 exec_lo, exec_lo, s28
	s_and_saveexec_b32 s28, s13
	s_cbranch_execz .LBB6_4693
.LBB6_4692:                             ;   in Loop: Header=BB6_4561 Depth=2
	v_and_b32_sdwa v3, v11, v57 dst_sel:DWORD dst_unused:UNUSED_PAD src0_sel:WORD_1 src1_sel:DWORD
	v_bfe_u32 v36, v11, 19, 4
	v_lshlrev_b32_sdwa v37, v47, v11 dst_sel:DWORD dst_unused:UNUSED_PAD src0_sel:DWORD src1_sel:WORD_1
	v_ffbh_u32_e32 v34, v3
	v_cmp_eq_u32_e64 s12, 0, v36
	v_min_u32_e32 v34, 32, v34
	v_subrev_nc_u32_e32 v35, 28, v34
	v_sub_nc_u32_e32 v34, 29, v34
	v_lshlrev_b32_sdwa v35, v35, v11 dst_sel:DWORD dst_unused:UNUSED_PAD src0_sel:DWORD src1_sel:WORD_1
	v_cndmask_b32_e64 v34, v36, v34, s12
	v_and_b32_e32 v35, 7, v35
	v_lshl_add_u32 v34, v34, 23, 0x3b800000
	v_cndmask_b32_e64 v3, v3, v35, s12
	v_and_b32_e32 v35, 0x80000000, v37
	v_lshlrev_b32_e32 v3, 20, v3
	v_or3_b32 v3, v35, v34, v3
.LBB6_4693:                             ;   in Loop: Header=BB6_4561 Depth=2
	s_or_b32 exec_lo, exec_lo, s28
	v_add_f32_e32 v2, v2, v3
	v_mov_b32_e32 v34, 0x80
	s_mov_b32 s28, exec_lo
	v_and_b32_e32 v3, 0x7f800000, v2
	v_cmpx_ne_u32_e32 0x7f800000, v3
	s_cbranch_execz .LBB6_4701
; %bb.4694:                             ;   in Loop: Header=BB6_4561 Depth=2
	v_mov_b32_e32 v34, 0
	s_mov_b32 s29, exec_lo
	v_cmpx_ne_u32_e32 0, v2
	s_cbranch_execz .LBB6_4700
; %bb.4695:                             ;   in Loop: Header=BB6_4561 Depth=2
	v_bfe_u32 v3, v2, 23, 8
	v_and_b32_e32 v34, 0x7fffff, v2
	v_sub_nc_u32_e32 v35, 0x78, v3
	v_cmp_gt_u32_e64 s12, 0x79, v3
	v_or_b32_e32 v36, 0x800000, v34
	v_cndmask_b32_e64 v35, 0, v35, s12
	v_cmp_eq_u32_e64 s12, 0, v3
	v_add_nc_u32_e32 v3, 0xffffff89, v3
	v_cndmask_b32_e64 v35, v35, 0x77, s12
	v_cndmask_b32_e64 v34, v36, v34, s12
	;; [unrolled: 1-line block ×3, first 2 shown]
	v_lshl_add_u32 v36, 0x100000, v35, -1
	v_lshrrev_b32_e32 v37, v35, v34
	v_lshlrev_b32_e64 v39, v35, 0x80000
	v_add_nc_u32_e32 v35, v35, v3
	v_and_b32_e32 v34, v36, v34
	v_bfe_u32 v38, v37, 20, 1
	v_cmp_eq_u32_e64 s13, v34, v39
	v_add_nc_u32_e32 v36, -1, v38
	v_cndmask_b32_e64 v34, 0, v36, s13
	v_lshrrev_b32_e32 v36, 23, v37
	s_mov_b32 s13, exec_lo
	v_add_nc_u32_e32 v34, v34, v37
	v_xor_b32_e32 v36, 1, v36
	v_and_b32_e32 v3, 0xfffff, v34
	v_add_nc_u32_e32 v34, v3, v37
                                        ; implicit-def: $vgpr3
	v_cmpx_ne_u32_e64 v35, v36
	s_xor_b32 s13, exec_lo, s13
; %bb.4696:                             ;   in Loop: Header=BB6_4561 Depth=2
	v_cmp_lt_u32_e64 s12, 0xffffff, v34
	v_sub_nc_u32_e32 v3, v35, v36
	v_cndmask_b32_e64 v35, 0, 1, s12
	v_add_co_ci_u32_e64 v3, null, 0, v3, s12
	v_lshrrev_b32_e32 v34, v35, v34
; %bb.4697:                             ;   in Loop: Header=BB6_4561 Depth=2
	s_andn2_saveexec_b32 s12, s13
; %bb.4698:                             ;   in Loop: Header=BB6_4561 Depth=2
	v_bfe_u32 v3, v34, 23, 1
; %bb.4699:                             ;   in Loop: Header=BB6_4561 Depth=2
	s_or_b32 exec_lo, exec_lo, s12
	v_lshrrev_b32_e32 v34, 20, v34
	v_min_i32_e32 v35, 15, v3
	v_cmp_gt_i32_e64 s12, 16, v3
	v_and_b32_sdwa v2, v2, v119 dst_sel:DWORD dst_unused:UNUSED_PAD src0_sel:BYTE_3 src1_sel:DWORD
	v_lshlrev_b32_e32 v35, 3, v35
	v_cndmask_b32_e64 v34, 7, v34, s12
	v_and_b32_e32 v35, 0xf8, v35
	v_and_b32_e32 v36, 7, v34
	v_or_b32_e32 v3, v3, v34
	v_or3_b32 v2, v35, v2, v36
	v_cmp_ne_u32_e64 s12, 0, v3
	v_cndmask_b32_e64 v34, 0, v2, s12
.LBB6_4700:                             ;   in Loop: Header=BB6_4561 Depth=2
	s_or_b32 exec_lo, exec_lo, s29
.LBB6_4701:                             ;   in Loop: Header=BB6_4561 Depth=2
	s_or_b32 exec_lo, exec_lo, s28
	v_cmp_gt_i16_sdwa s13, v15, v115 src0_sel:BYTE_3 src1_sel:DWORD
	s_mov_b32 s12, 0
	s_and_saveexec_b32 s28, s13
	s_xor_b32 s13, exec_lo, s28
	s_cbranch_execz .LBB6_4907
; %bb.4702:                             ;   in Loop: Header=BB6_4561 Depth=2
	v_cmp_eq_u16_sdwa s29, v15, v119 src0_sel:BYTE_3 src1_sel:DWORD
	s_mov_b32 s12, -1
	s_and_saveexec_b32 s28, s29
; %bb.4703:                             ;   in Loop: Header=BB6_4561 Depth=2
	s_xor_b32 s12, exec_lo, -1
; %bb.4704:                             ;   in Loop: Header=BB6_4561 Depth=2
	s_or_b32 exec_lo, exec_lo, s28
	s_and_b32 s12, s12, exec_lo
	s_or_saveexec_b32 s13, s13
	v_mov_b32_e32 v2, 0x7f800001
	s_xor_b32 exec_lo, exec_lo, s13
	s_cbranch_execnz .LBB6_4908
.LBB6_4705:                             ;   in Loop: Header=BB6_4561 Depth=2
	s_or_b32 exec_lo, exec_lo, s13
	s_and_saveexec_b32 s13, s12
	s_cbranch_execz .LBB6_4707
.LBB6_4706:                             ;   in Loop: Header=BB6_4561 Depth=2
	v_bfe_u32 v2, v15, 24, 3
	v_bfe_u32 v36, v15, 27, 4
	v_ffbh_u32_e32 v3, v2
	v_cmp_eq_u32_e64 s12, 0, v36
	v_min_u32_e32 v3, 32, v3
	v_subrev_nc_u32_e32 v35, 28, v3
	v_sub_nc_u32_e32 v3, 29, v3
	v_lshlrev_b32_sdwa v35, v35, v15 dst_sel:DWORD dst_unused:UNUSED_PAD src0_sel:DWORD src1_sel:BYTE_3
	v_cndmask_b32_e64 v3, v36, v3, s12
	v_and_b32_e32 v15, 0x80000000, v15
	v_and_b32_e32 v35, 7, v35
	v_lshl_add_u32 v3, v3, 23, 0x3b800000
	v_cndmask_b32_e64 v2, v2, v35, s12
	v_lshlrev_b32_e32 v2, 20, v2
	v_or3_b32 v2, v15, v3, v2
.LBB6_4707:                             ;   in Loop: Header=BB6_4561 Depth=2
	s_or_b32 exec_lo, exec_lo, s13
	v_cmp_gt_i16_sdwa s13, v11, v115 src0_sel:BYTE_3 src1_sel:DWORD
	s_mov_b32 s12, 0
	s_and_saveexec_b32 s28, s13
	s_xor_b32 s13, exec_lo, s28
	s_cbranch_execz .LBB6_4909
; %bb.4708:                             ;   in Loop: Header=BB6_4561 Depth=2
	v_cmp_eq_u16_sdwa s29, v11, v119 src0_sel:BYTE_3 src1_sel:DWORD
	s_mov_b32 s12, -1
	s_and_saveexec_b32 s28, s29
; %bb.4709:                             ;   in Loop: Header=BB6_4561 Depth=2
	s_xor_b32 s12, exec_lo, -1
; %bb.4710:                             ;   in Loop: Header=BB6_4561 Depth=2
	s_or_b32 exec_lo, exec_lo, s28
	s_and_b32 s12, s12, exec_lo
	s_or_saveexec_b32 s13, s13
	v_mov_b32_e32 v3, 0x7f800001
	s_xor_b32 exec_lo, exec_lo, s13
	s_cbranch_execnz .LBB6_4910
.LBB6_4711:                             ;   in Loop: Header=BB6_4561 Depth=2
	s_or_b32 exec_lo, exec_lo, s13
	s_and_saveexec_b32 s13, s12
	s_cbranch_execz .LBB6_4713
.LBB6_4712:                             ;   in Loop: Header=BB6_4561 Depth=2
	v_and_b32_sdwa v3, v11, v57 dst_sel:DWORD dst_unused:UNUSED_PAD src0_sel:BYTE_3 src1_sel:DWORD
	v_bfe_u32 v36, v11, 27, 4
	v_ffbh_u32_e32 v15, v3
	v_cmp_eq_u32_e64 s12, 0, v36
	v_min_u32_e32 v15, 32, v15
	v_subrev_nc_u32_e32 v35, 28, v15
	v_sub_nc_u32_e32 v15, 29, v15
	v_lshlrev_b32_sdwa v35, v35, v11 dst_sel:DWORD dst_unused:UNUSED_PAD src0_sel:DWORD src1_sel:BYTE_3
	v_cndmask_b32_e64 v15, v36, v15, s12
	v_and_b32_e32 v11, 0x80000000, v11
	v_and_b32_e32 v35, 7, v35
	v_lshl_add_u32 v15, v15, 23, 0x3b800000
	v_cndmask_b32_e64 v3, v3, v35, s12
	v_lshlrev_b32_e32 v3, 20, v3
	v_or3_b32 v3, v11, v15, v3
.LBB6_4713:                             ;   in Loop: Header=BB6_4561 Depth=2
	s_or_b32 exec_lo, exec_lo, s13
	v_add_f32_e32 v2, v2, v3
	v_mov_b32_e32 v11, 0x8000
	s_mov_b32 s28, exec_lo
	v_and_b32_e32 v3, 0x7f800000, v2
	v_cmpx_ne_u32_e32 0x7f800000, v3
	s_cbranch_execz .LBB6_4721
; %bb.4714:                             ;   in Loop: Header=BB6_4561 Depth=2
	v_mov_b32_e32 v11, 0
	s_mov_b32 s29, exec_lo
	v_cmpx_ne_u32_e32 0, v2
	s_cbranch_execz .LBB6_4720
; %bb.4715:                             ;   in Loop: Header=BB6_4561 Depth=2
	v_bfe_u32 v3, v2, 23, 8
	v_and_b32_e32 v11, 0x7fffff, v2
	v_sub_nc_u32_e32 v15, 0x78, v3
	v_cmp_gt_u32_e64 s12, 0x79, v3
	v_or_b32_e32 v35, 0x800000, v11
	v_cndmask_b32_e64 v15, 0, v15, s12
	v_cmp_eq_u32_e64 s12, 0, v3
	v_add_nc_u32_e32 v3, 0xffffff89, v3
	v_cndmask_b32_e64 v15, v15, 0x77, s12
	v_cndmask_b32_e64 v11, v35, v11, s12
	;; [unrolled: 1-line block ×3, first 2 shown]
	v_lshl_add_u32 v35, 0x100000, v15, -1
	v_lshrrev_b32_e32 v36, v15, v11
	v_lshlrev_b32_e64 v38, v15, 0x80000
	v_add_nc_u32_e32 v15, v15, v3
	v_and_b32_e32 v11, v35, v11
	v_bfe_u32 v37, v36, 20, 1
	v_cmp_eq_u32_e64 s13, v11, v38
	v_add_nc_u32_e32 v35, -1, v37
	v_cndmask_b32_e64 v11, 0, v35, s13
	v_lshrrev_b32_e32 v35, 23, v36
	s_mov_b32 s13, exec_lo
	v_add_nc_u32_e32 v11, v11, v36
	v_xor_b32_e32 v35, 1, v35
	v_and_b32_e32 v3, 0xfffff, v11
	v_add_nc_u32_e32 v11, v3, v36
                                        ; implicit-def: $vgpr3
	v_cmpx_ne_u32_e64 v15, v35
	s_xor_b32 s13, exec_lo, s13
; %bb.4716:                             ;   in Loop: Header=BB6_4561 Depth=2
	v_cmp_lt_u32_e64 s12, 0xffffff, v11
	v_sub_nc_u32_e32 v3, v15, v35
	v_cndmask_b32_e64 v15, 0, 1, s12
	v_add_co_ci_u32_e64 v3, null, 0, v3, s12
	v_lshrrev_b32_e32 v11, v15, v11
; %bb.4717:                             ;   in Loop: Header=BB6_4561 Depth=2
	s_andn2_saveexec_b32 s12, s13
; %bb.4718:                             ;   in Loop: Header=BB6_4561 Depth=2
	v_bfe_u32 v3, v11, 23, 1
; %bb.4719:                             ;   in Loop: Header=BB6_4561 Depth=2
	s_or_b32 exec_lo, exec_lo, s12
	v_lshrrev_b32_e32 v11, 20, v11
	v_min_i32_e32 v15, 15, v3
	v_cmp_gt_i32_e64 s12, 16, v3
	v_and_b32_sdwa v2, v2, v119 dst_sel:DWORD dst_unused:UNUSED_PAD src0_sel:BYTE_3 src1_sel:DWORD
	v_lshlrev_b32_e32 v15, 3, v15
	v_cndmask_b32_e64 v11, 7, v11, s12
	v_and_b32_e32 v15, 0xf8, v15
	v_and_b32_e32 v35, 7, v11
	v_or_b32_e32 v3, v3, v11
	v_or3_b32 v2, v2, v15, v35
	v_cmp_ne_u32_e64 s12, 0, v3
	v_lshlrev_b32_e32 v2, 8, v2
	v_cndmask_b32_e64 v11, 0, v2, s12
.LBB6_4720:                             ;   in Loop: Header=BB6_4561 Depth=2
	s_or_b32 exec_lo, exec_lo, s29
.LBB6_4721:                             ;   in Loop: Header=BB6_4561 Depth=2
	s_or_b32 exec_lo, exec_lo, s28
	v_cmp_gt_i16_sdwa s13, v16, v115 src0_sel:BYTE_0 src1_sel:DWORD
	s_mov_b32 s12, 0
	s_and_saveexec_b32 s28, s13
	s_xor_b32 s13, exec_lo, s28
	s_cbranch_execz .LBB6_4911
; %bb.4722:                             ;   in Loop: Header=BB6_4561 Depth=2
	v_cmp_eq_u16_sdwa s29, v16, v119 src0_sel:BYTE_0 src1_sel:DWORD
	s_mov_b32 s12, -1
	s_and_saveexec_b32 s28, s29
; %bb.4723:                             ;   in Loop: Header=BB6_4561 Depth=2
	s_xor_b32 s12, exec_lo, -1
; %bb.4724:                             ;   in Loop: Header=BB6_4561 Depth=2
	s_or_b32 exec_lo, exec_lo, s28
	s_and_b32 s12, s12, exec_lo
	s_or_saveexec_b32 s13, s13
	v_mov_b32_e32 v2, 0x7f800001
	s_xor_b32 exec_lo, exec_lo, s13
	s_cbranch_execnz .LBB6_4912
.LBB6_4725:                             ;   in Loop: Header=BB6_4561 Depth=2
	s_or_b32 exec_lo, exec_lo, s13
	s_and_saveexec_b32 s13, s12
	s_cbranch_execz .LBB6_4727
.LBB6_4726:                             ;   in Loop: Header=BB6_4561 Depth=2
	v_and_b32_e32 v2, 7, v16
	v_bfe_u32 v35, v16, 3, 4
	v_lshlrev_b32_e32 v36, 24, v16
	v_ffbh_u32_e32 v3, v2
	v_cmp_eq_u32_e64 s12, 0, v35
	v_min_u32_e32 v3, 32, v3
	v_subrev_nc_u32_e32 v15, 28, v3
	v_sub_nc_u32_e32 v3, 29, v3
	v_lshlrev_b32_e32 v15, v15, v16
	v_cndmask_b32_e64 v3, v35, v3, s12
	v_and_b32_e32 v15, 7, v15
	v_lshl_add_u32 v3, v3, 23, 0x3b800000
	v_cndmask_b32_e64 v2, v2, v15, s12
	v_and_b32_e32 v15, 0x80000000, v36
	v_lshlrev_b32_e32 v2, 20, v2
	v_or3_b32 v2, v15, v3, v2
.LBB6_4727:                             ;   in Loop: Header=BB6_4561 Depth=2
	s_or_b32 exec_lo, exec_lo, s13
	v_cmp_gt_i16_sdwa s13, v12, v115 src0_sel:BYTE_0 src1_sel:DWORD
	s_mov_b32 s12, 0
	s_and_saveexec_b32 s28, s13
	s_xor_b32 s13, exec_lo, s28
	s_cbranch_execz .LBB6_4913
; %bb.4728:                             ;   in Loop: Header=BB6_4561 Depth=2
	v_cmp_eq_u16_sdwa s29, v12, v119 src0_sel:BYTE_0 src1_sel:DWORD
	s_mov_b32 s12, -1
	s_and_saveexec_b32 s28, s29
; %bb.4729:                             ;   in Loop: Header=BB6_4561 Depth=2
	s_xor_b32 s12, exec_lo, -1
; %bb.4730:                             ;   in Loop: Header=BB6_4561 Depth=2
	s_or_b32 exec_lo, exec_lo, s28
	s_and_b32 s12, s12, exec_lo
	s_or_saveexec_b32 s13, s13
	v_mov_b32_e32 v3, 0x7f800001
	s_xor_b32 exec_lo, exec_lo, s13
	s_cbranch_execnz .LBB6_4914
.LBB6_4731:                             ;   in Loop: Header=BB6_4561 Depth=2
	s_or_b32 exec_lo, exec_lo, s13
	s_and_saveexec_b32 s13, s12
	s_cbranch_execz .LBB6_4733
.LBB6_4732:                             ;   in Loop: Header=BB6_4561 Depth=2
	v_and_b32_e32 v3, 7, v12
	v_bfe_u32 v36, v12, 3, 4
	v_lshlrev_b32_e32 v37, 24, v12
	v_ffbh_u32_e32 v15, v3
	v_cmp_eq_u32_e64 s12, 0, v36
	v_min_u32_e32 v15, 32, v15
	v_subrev_nc_u32_e32 v35, 28, v15
	v_sub_nc_u32_e32 v15, 29, v15
	v_lshlrev_b32_e32 v35, v35, v12
	v_cndmask_b32_e64 v15, v36, v15, s12
	v_and_b32_e32 v35, 7, v35
	v_lshl_add_u32 v15, v15, 23, 0x3b800000
	v_cndmask_b32_e64 v3, v3, v35, s12
	v_and_b32_e32 v35, 0x80000000, v37
	v_lshlrev_b32_e32 v3, 20, v3
	v_or3_b32 v3, v35, v15, v3
.LBB6_4733:                             ;   in Loop: Header=BB6_4561 Depth=2
	s_or_b32 exec_lo, exec_lo, s13
	v_add_f32_e32 v2, v2, v3
	v_mov_b32_e32 v15, 0x80
	s_mov_b32 s28, exec_lo
	v_and_b32_e32 v3, 0x7f800000, v2
	v_cmpx_ne_u32_e32 0x7f800000, v3
	s_cbranch_execz .LBB6_4741
; %bb.4734:                             ;   in Loop: Header=BB6_4561 Depth=2
	v_mov_b32_e32 v15, 0
	s_mov_b32 s29, exec_lo
	v_cmpx_ne_u32_e32 0, v2
	s_cbranch_execz .LBB6_4740
; %bb.4735:                             ;   in Loop: Header=BB6_4561 Depth=2
	v_bfe_u32 v3, v2, 23, 8
	v_and_b32_e32 v15, 0x7fffff, v2
	v_sub_nc_u32_e32 v35, 0x78, v3
	v_cmp_gt_u32_e64 s12, 0x79, v3
	v_or_b32_e32 v36, 0x800000, v15
	v_cndmask_b32_e64 v35, 0, v35, s12
	v_cmp_eq_u32_e64 s12, 0, v3
	v_add_nc_u32_e32 v3, 0xffffff89, v3
	v_cndmask_b32_e64 v35, v35, 0x77, s12
	v_cndmask_b32_e64 v15, v36, v15, s12
	;; [unrolled: 1-line block ×3, first 2 shown]
	v_lshl_add_u32 v36, 0x100000, v35, -1
	v_lshrrev_b32_e32 v37, v35, v15
	v_lshlrev_b32_e64 v39, v35, 0x80000
	v_add_nc_u32_e32 v35, v35, v3
	v_and_b32_e32 v15, v36, v15
	v_bfe_u32 v38, v37, 20, 1
	v_cmp_eq_u32_e64 s13, v15, v39
	v_add_nc_u32_e32 v36, -1, v38
	v_cndmask_b32_e64 v15, 0, v36, s13
	v_lshrrev_b32_e32 v36, 23, v37
	s_mov_b32 s13, exec_lo
	v_add_nc_u32_e32 v15, v15, v37
	v_xor_b32_e32 v36, 1, v36
	v_and_b32_e32 v3, 0xfffff, v15
	v_add_nc_u32_e32 v15, v3, v37
                                        ; implicit-def: $vgpr3
	v_cmpx_ne_u32_e64 v35, v36
	s_xor_b32 s13, exec_lo, s13
; %bb.4736:                             ;   in Loop: Header=BB6_4561 Depth=2
	v_cmp_lt_u32_e64 s12, 0xffffff, v15
	v_sub_nc_u32_e32 v3, v35, v36
	v_cndmask_b32_e64 v35, 0, 1, s12
	v_add_co_ci_u32_e64 v3, null, 0, v3, s12
	v_lshrrev_b32_e32 v15, v35, v15
; %bb.4737:                             ;   in Loop: Header=BB6_4561 Depth=2
	s_andn2_saveexec_b32 s12, s13
; %bb.4738:                             ;   in Loop: Header=BB6_4561 Depth=2
	v_bfe_u32 v3, v15, 23, 1
; %bb.4739:                             ;   in Loop: Header=BB6_4561 Depth=2
	s_or_b32 exec_lo, exec_lo, s12
	v_lshrrev_b32_e32 v15, 20, v15
	v_min_i32_e32 v35, 15, v3
	v_cmp_gt_i32_e64 s12, 16, v3
	v_and_b32_sdwa v2, v2, v119 dst_sel:DWORD dst_unused:UNUSED_PAD src0_sel:BYTE_3 src1_sel:DWORD
	v_lshlrev_b32_e32 v35, 3, v35
	v_cndmask_b32_e64 v15, 7, v15, s12
	v_and_b32_e32 v35, 0xf8, v35
	v_and_b32_e32 v36, 7, v15
	v_or_b32_e32 v3, v3, v15
	v_or3_b32 v2, v35, v2, v36
	v_cmp_ne_u32_e64 s12, 0, v3
	v_cndmask_b32_e64 v15, 0, v2, s12
.LBB6_4740:                             ;   in Loop: Header=BB6_4561 Depth=2
	s_or_b32 exec_lo, exec_lo, s29
.LBB6_4741:                             ;   in Loop: Header=BB6_4561 Depth=2
	s_or_b32 exec_lo, exec_lo, s28
	v_cmp_gt_i16_sdwa s13, v16, v115 src0_sel:BYTE_1 src1_sel:DWORD
	s_mov_b32 s12, 0
	s_and_saveexec_b32 s28, s13
	s_xor_b32 s13, exec_lo, s28
	s_cbranch_execz .LBB6_4915
; %bb.4742:                             ;   in Loop: Header=BB6_4561 Depth=2
	v_cmp_eq_u16_sdwa s29, v16, v119 src0_sel:BYTE_1 src1_sel:DWORD
	s_mov_b32 s12, -1
	s_and_saveexec_b32 s28, s29
; %bb.4743:                             ;   in Loop: Header=BB6_4561 Depth=2
	s_xor_b32 s12, exec_lo, -1
; %bb.4744:                             ;   in Loop: Header=BB6_4561 Depth=2
	s_or_b32 exec_lo, exec_lo, s28
	s_and_b32 s12, s12, exec_lo
	s_or_saveexec_b32 s13, s13
	v_mov_b32_e32 v2, 0x7f800001
	s_xor_b32 exec_lo, exec_lo, s13
	s_cbranch_execnz .LBB6_4916
.LBB6_4745:                             ;   in Loop: Header=BB6_4561 Depth=2
	s_or_b32 exec_lo, exec_lo, s13
	s_and_saveexec_b32 s13, s12
	s_cbranch_execz .LBB6_4747
.LBB6_4746:                             ;   in Loop: Header=BB6_4561 Depth=2
	v_and_b32_sdwa v2, v41, v16 dst_sel:DWORD dst_unused:UNUSED_PAD src0_sel:DWORD src1_sel:BYTE_1
	v_and_b32_e32 v3, 7, v2
	v_bfe_u32 v37, v2, 3, 4
	v_ffbh_u32_e32 v35, v3
	v_cmp_eq_u32_e64 s12, 0, v37
	v_min_u32_e32 v35, 32, v35
	v_subrev_nc_u32_e32 v36, 28, v35
	v_sub_nc_u32_e32 v35, 29, v35
	v_lshlrev_b32_e32 v2, v36, v2
	v_lshlrev_b32_sdwa v36, v47, v16 dst_sel:DWORD dst_unused:UNUSED_PAD src0_sel:DWORD src1_sel:BYTE_1
	v_cndmask_b32_e64 v35, v37, v35, s12
	v_and_b32_e32 v2, 7, v2
	v_lshl_add_u32 v35, v35, 23, 0x3b800000
	v_cndmask_b32_e64 v2, v3, v2, s12
	v_and_b32_e32 v3, 0x80000000, v36
	v_lshlrev_b32_e32 v2, 20, v2
	v_or3_b32 v2, v3, v35, v2
.LBB6_4747:                             ;   in Loop: Header=BB6_4561 Depth=2
	s_or_b32 exec_lo, exec_lo, s13
	v_cmp_gt_i16_sdwa s13, v12, v115 src0_sel:BYTE_1 src1_sel:DWORD
	s_mov_b32 s12, 0
	s_and_saveexec_b32 s28, s13
	s_xor_b32 s13, exec_lo, s28
	s_cbranch_execz .LBB6_4917
; %bb.4748:                             ;   in Loop: Header=BB6_4561 Depth=2
	v_cmp_eq_u16_sdwa s29, v12, v119 src0_sel:BYTE_1 src1_sel:DWORD
	s_mov_b32 s12, -1
	s_and_saveexec_b32 s28, s29
; %bb.4749:                             ;   in Loop: Header=BB6_4561 Depth=2
	s_xor_b32 s12, exec_lo, -1
; %bb.4750:                             ;   in Loop: Header=BB6_4561 Depth=2
	s_or_b32 exec_lo, exec_lo, s28
	s_and_b32 s12, s12, exec_lo
	s_or_saveexec_b32 s13, s13
	v_mov_b32_e32 v3, 0x7f800001
	s_xor_b32 exec_lo, exec_lo, s13
	s_cbranch_execnz .LBB6_4918
.LBB6_4751:                             ;   in Loop: Header=BB6_4561 Depth=2
	s_or_b32 exec_lo, exec_lo, s13
	s_and_saveexec_b32 s13, s12
	s_cbranch_execz .LBB6_4753
.LBB6_4752:                             ;   in Loop: Header=BB6_4561 Depth=2
	v_and_b32_sdwa v3, v41, v12 dst_sel:DWORD dst_unused:UNUSED_PAD src0_sel:DWORD src1_sel:BYTE_1
	v_and_b32_e32 v35, 7, v3
	v_bfe_u32 v38, v3, 3, 4
	v_ffbh_u32_e32 v36, v35
	v_cmp_eq_u32_e64 s12, 0, v38
	v_min_u32_e32 v36, 32, v36
	v_subrev_nc_u32_e32 v37, 28, v36
	v_sub_nc_u32_e32 v36, 29, v36
	v_lshlrev_b32_e32 v3, v37, v3
	v_lshlrev_b32_sdwa v37, v47, v12 dst_sel:DWORD dst_unused:UNUSED_PAD src0_sel:DWORD src1_sel:BYTE_1
	v_cndmask_b32_e64 v36, v38, v36, s12
	v_and_b32_e32 v3, 7, v3
	v_lshl_add_u32 v36, v36, 23, 0x3b800000
	v_cndmask_b32_e64 v3, v35, v3, s12
	v_and_b32_e32 v35, 0x80000000, v37
	v_lshlrev_b32_e32 v3, 20, v3
	v_or3_b32 v3, v35, v36, v3
.LBB6_4753:                             ;   in Loop: Header=BB6_4561 Depth=2
	s_or_b32 exec_lo, exec_lo, s13
	v_add_f32_e32 v2, v2, v3
	v_mov_b32_e32 v35, 0x8000
	s_mov_b32 s28, exec_lo
	v_and_b32_e32 v3, 0x7f800000, v2
	v_cmpx_ne_u32_e32 0x7f800000, v3
	s_cbranch_execz .LBB6_4761
; %bb.4754:                             ;   in Loop: Header=BB6_4561 Depth=2
	v_mov_b32_e32 v35, 0
	s_mov_b32 s29, exec_lo
	v_cmpx_ne_u32_e32 0, v2
	s_cbranch_execz .LBB6_4760
; %bb.4755:                             ;   in Loop: Header=BB6_4561 Depth=2
	v_bfe_u32 v3, v2, 23, 8
	v_and_b32_e32 v35, 0x7fffff, v2
	v_sub_nc_u32_e32 v36, 0x78, v3
	v_cmp_gt_u32_e64 s12, 0x79, v3
	v_or_b32_e32 v37, 0x800000, v35
	v_cndmask_b32_e64 v36, 0, v36, s12
	v_cmp_eq_u32_e64 s12, 0, v3
	v_add_nc_u32_e32 v3, 0xffffff89, v3
	v_cndmask_b32_e64 v36, v36, 0x77, s12
	v_cndmask_b32_e64 v35, v37, v35, s12
	;; [unrolled: 1-line block ×3, first 2 shown]
	v_lshl_add_u32 v37, 0x100000, v36, -1
	v_lshrrev_b32_e32 v38, v36, v35
	v_lshlrev_b32_e64 v48, v36, 0x80000
	v_add_nc_u32_e32 v36, v36, v3
	v_and_b32_e32 v35, v37, v35
	v_bfe_u32 v39, v38, 20, 1
	v_cmp_eq_u32_e64 s13, v35, v48
	v_add_nc_u32_e32 v37, -1, v39
	v_cndmask_b32_e64 v35, 0, v37, s13
	v_lshrrev_b32_e32 v37, 23, v38
	s_mov_b32 s13, exec_lo
	v_add_nc_u32_e32 v35, v35, v38
	v_xor_b32_e32 v37, 1, v37
	v_and_b32_e32 v3, 0xfffff, v35
	v_add_nc_u32_e32 v35, v3, v38
                                        ; implicit-def: $vgpr3
	v_cmpx_ne_u32_e64 v36, v37
	s_xor_b32 s13, exec_lo, s13
; %bb.4756:                             ;   in Loop: Header=BB6_4561 Depth=2
	v_cmp_lt_u32_e64 s12, 0xffffff, v35
	v_sub_nc_u32_e32 v3, v36, v37
	v_cndmask_b32_e64 v36, 0, 1, s12
	v_add_co_ci_u32_e64 v3, null, 0, v3, s12
	v_lshrrev_b32_e32 v35, v36, v35
; %bb.4757:                             ;   in Loop: Header=BB6_4561 Depth=2
	s_andn2_saveexec_b32 s12, s13
; %bb.4758:                             ;   in Loop: Header=BB6_4561 Depth=2
	v_bfe_u32 v3, v35, 23, 1
; %bb.4759:                             ;   in Loop: Header=BB6_4561 Depth=2
	s_or_b32 exec_lo, exec_lo, s12
	v_lshrrev_b32_e32 v35, 20, v35
	v_min_i32_e32 v36, 15, v3
	v_cmp_gt_i32_e64 s12, 16, v3
	v_and_b32_sdwa v2, v2, v119 dst_sel:DWORD dst_unused:UNUSED_PAD src0_sel:BYTE_3 src1_sel:DWORD
	v_lshlrev_b32_e32 v36, 3, v36
	v_cndmask_b32_e64 v35, 7, v35, s12
	v_and_b32_e32 v36, 0xf8, v36
	v_and_b32_e32 v37, 7, v35
	v_or_b32_e32 v3, v3, v35
	v_or3_b32 v2, v2, v36, v37
	v_cmp_ne_u32_e64 s12, 0, v3
	v_lshlrev_b32_e32 v2, 8, v2
	v_cndmask_b32_e64 v35, 0, v2, s12
.LBB6_4760:                             ;   in Loop: Header=BB6_4561 Depth=2
	s_or_b32 exec_lo, exec_lo, s29
.LBB6_4761:                             ;   in Loop: Header=BB6_4561 Depth=2
	s_or_b32 exec_lo, exec_lo, s28
	v_and_b32_sdwa v3, v16, v56 dst_sel:DWORD dst_unused:UNUSED_PAD src0_sel:WORD_1 src1_sel:DWORD
	s_mov_b32 s13, 0
	s_mov_b32 s28, exec_lo
	v_cmpx_lt_i16_e32 0x7f, v3
	s_xor_b32 s28, exec_lo, s28
	s_cbranch_execz .LBB6_4919
; %bb.4762:                             ;   in Loop: Header=BB6_4561 Depth=2
	s_mov_b32 s13, -1
	s_mov_b32 s29, exec_lo
	v_cmpx_eq_u16_e32 0x80, v3
; %bb.4763:                             ;   in Loop: Header=BB6_4561 Depth=2
	s_xor_b32 s13, exec_lo, -1
; %bb.4764:                             ;   in Loop: Header=BB6_4561 Depth=2
	s_or_b32 exec_lo, exec_lo, s29
	s_and_b32 s13, s13, exec_lo
                                        ; implicit-def: $vgpr3
	s_or_saveexec_b32 s28, s28
	v_mov_b32_e32 v2, 0x7f800001
	s_xor_b32 exec_lo, exec_lo, s28
	s_cbranch_execnz .LBB6_4920
.LBB6_4765:                             ;   in Loop: Header=BB6_4561 Depth=2
	s_or_b32 exec_lo, exec_lo, s28
	s_and_saveexec_b32 s28, s13
	s_cbranch_execz .LBB6_4767
.LBB6_4766:                             ;   in Loop: Header=BB6_4561 Depth=2
	v_bfe_u32 v2, v16, 16, 3
	v_bfe_u32 v37, v16, 19, 4
	v_lshlrev_b32_e32 v38, 8, v16
	v_ffbh_u32_e32 v3, v2
	v_cmp_eq_u32_e64 s12, 0, v37
	v_min_u32_e32 v3, 32, v3
	v_subrev_nc_u32_e32 v36, 28, v3
	v_sub_nc_u32_e32 v3, 29, v3
	v_lshlrev_b32_sdwa v36, v36, v16 dst_sel:DWORD dst_unused:UNUSED_PAD src0_sel:DWORD src1_sel:WORD_1
	v_cndmask_b32_e64 v3, v37, v3, s12
	v_and_b32_e32 v36, 7, v36
	v_lshl_add_u32 v3, v3, 23, 0x3b800000
	v_cndmask_b32_e64 v2, v2, v36, s12
	v_and_b32_e32 v36, 0x80000000, v38
	v_lshlrev_b32_e32 v2, 20, v2
	v_or3_b32 v2, v36, v3, v2
.LBB6_4767:                             ;   in Loop: Header=BB6_4561 Depth=2
	s_or_b32 exec_lo, exec_lo, s28
	v_and_b32_sdwa v36, v12, v56 dst_sel:DWORD dst_unused:UNUSED_PAD src0_sel:WORD_1 src1_sel:DWORD
	s_mov_b32 s13, 0
	s_mov_b32 s28, exec_lo
	v_cmpx_lt_i16_e32 0x7f, v36
	s_xor_b32 s28, exec_lo, s28
	s_cbranch_execz .LBB6_4921
; %bb.4768:                             ;   in Loop: Header=BB6_4561 Depth=2
	s_mov_b32 s13, -1
	s_mov_b32 s29, exec_lo
	v_cmpx_eq_u16_e32 0x80, v36
; %bb.4769:                             ;   in Loop: Header=BB6_4561 Depth=2
	s_xor_b32 s13, exec_lo, -1
; %bb.4770:                             ;   in Loop: Header=BB6_4561 Depth=2
	s_or_b32 exec_lo, exec_lo, s29
	s_and_b32 s13, s13, exec_lo
                                        ; implicit-def: $vgpr36
	s_or_saveexec_b32 s28, s28
	v_mov_b32_e32 v3, 0x7f800001
	s_xor_b32 exec_lo, exec_lo, s28
	s_cbranch_execnz .LBB6_4922
.LBB6_4771:                             ;   in Loop: Header=BB6_4561 Depth=2
	s_or_b32 exec_lo, exec_lo, s28
	s_and_saveexec_b32 s28, s13
	s_cbranch_execz .LBB6_4773
.LBB6_4772:                             ;   in Loop: Header=BB6_4561 Depth=2
	v_and_b32_sdwa v3, v12, v57 dst_sel:DWORD dst_unused:UNUSED_PAD src0_sel:WORD_1 src1_sel:DWORD
	v_bfe_u32 v38, v12, 19, 4
	v_lshlrev_b32_sdwa v39, v47, v12 dst_sel:DWORD dst_unused:UNUSED_PAD src0_sel:DWORD src1_sel:WORD_1
	v_ffbh_u32_e32 v36, v3
	v_cmp_eq_u32_e64 s12, 0, v38
	v_min_u32_e32 v36, 32, v36
	v_subrev_nc_u32_e32 v37, 28, v36
	v_sub_nc_u32_e32 v36, 29, v36
	v_lshlrev_b32_sdwa v37, v37, v12 dst_sel:DWORD dst_unused:UNUSED_PAD src0_sel:DWORD src1_sel:WORD_1
	v_cndmask_b32_e64 v36, v38, v36, s12
	v_and_b32_e32 v37, 7, v37
	v_lshl_add_u32 v36, v36, 23, 0x3b800000
	v_cndmask_b32_e64 v3, v3, v37, s12
	v_and_b32_e32 v37, 0x80000000, v39
	v_lshlrev_b32_e32 v3, 20, v3
	v_or3_b32 v3, v37, v36, v3
.LBB6_4773:                             ;   in Loop: Header=BB6_4561 Depth=2
	s_or_b32 exec_lo, exec_lo, s28
	v_add_f32_e32 v2, v2, v3
	v_mov_b32_e32 v36, 0x80
	s_mov_b32 s28, exec_lo
	v_and_b32_e32 v3, 0x7f800000, v2
	v_cmpx_ne_u32_e32 0x7f800000, v3
	s_cbranch_execz .LBB6_4781
; %bb.4774:                             ;   in Loop: Header=BB6_4561 Depth=2
	v_mov_b32_e32 v36, 0
	s_mov_b32 s29, exec_lo
	v_cmpx_ne_u32_e32 0, v2
	s_cbranch_execz .LBB6_4780
; %bb.4775:                             ;   in Loop: Header=BB6_4561 Depth=2
	v_bfe_u32 v3, v2, 23, 8
	v_and_b32_e32 v36, 0x7fffff, v2
	v_sub_nc_u32_e32 v37, 0x78, v3
	v_cmp_gt_u32_e64 s12, 0x79, v3
	v_or_b32_e32 v38, 0x800000, v36
	v_cndmask_b32_e64 v37, 0, v37, s12
	v_cmp_eq_u32_e64 s12, 0, v3
	v_add_nc_u32_e32 v3, 0xffffff89, v3
	v_cndmask_b32_e64 v37, v37, 0x77, s12
	v_cndmask_b32_e64 v36, v38, v36, s12
	;; [unrolled: 1-line block ×3, first 2 shown]
	v_lshl_add_u32 v38, 0x100000, v37, -1
	v_lshrrev_b32_e32 v39, v37, v36
	v_lshlrev_b32_e64 v49, v37, 0x80000
	v_add_nc_u32_e32 v37, v37, v3
	v_and_b32_e32 v36, v38, v36
	v_bfe_u32 v48, v39, 20, 1
	v_cmp_eq_u32_e64 s13, v36, v49
	v_add_nc_u32_e32 v38, -1, v48
	v_cndmask_b32_e64 v36, 0, v38, s13
	v_lshrrev_b32_e32 v38, 23, v39
	s_mov_b32 s13, exec_lo
	v_add_nc_u32_e32 v36, v36, v39
	v_xor_b32_e32 v38, 1, v38
	v_and_b32_e32 v3, 0xfffff, v36
	v_add_nc_u32_e32 v36, v3, v39
                                        ; implicit-def: $vgpr3
	v_cmpx_ne_u32_e64 v37, v38
	s_xor_b32 s13, exec_lo, s13
; %bb.4776:                             ;   in Loop: Header=BB6_4561 Depth=2
	v_cmp_lt_u32_e64 s12, 0xffffff, v36
	v_sub_nc_u32_e32 v3, v37, v38
	v_cndmask_b32_e64 v37, 0, 1, s12
	v_add_co_ci_u32_e64 v3, null, 0, v3, s12
	v_lshrrev_b32_e32 v36, v37, v36
; %bb.4777:                             ;   in Loop: Header=BB6_4561 Depth=2
	s_andn2_saveexec_b32 s12, s13
; %bb.4778:                             ;   in Loop: Header=BB6_4561 Depth=2
	v_bfe_u32 v3, v36, 23, 1
; %bb.4779:                             ;   in Loop: Header=BB6_4561 Depth=2
	s_or_b32 exec_lo, exec_lo, s12
	v_lshrrev_b32_e32 v36, 20, v36
	v_min_i32_e32 v37, 15, v3
	v_cmp_gt_i32_e64 s12, 16, v3
	v_and_b32_sdwa v2, v2, v119 dst_sel:DWORD dst_unused:UNUSED_PAD src0_sel:BYTE_3 src1_sel:DWORD
	v_lshlrev_b32_e32 v37, 3, v37
	v_cndmask_b32_e64 v36, 7, v36, s12
	v_and_b32_e32 v37, 0xf8, v37
	v_and_b32_e32 v38, 7, v36
	v_or_b32_e32 v3, v3, v36
	v_or3_b32 v2, v37, v2, v38
	v_cmp_ne_u32_e64 s12, 0, v3
	v_cndmask_b32_e64 v36, 0, v2, s12
.LBB6_4780:                             ;   in Loop: Header=BB6_4561 Depth=2
	s_or_b32 exec_lo, exec_lo, s29
.LBB6_4781:                             ;   in Loop: Header=BB6_4561 Depth=2
	s_or_b32 exec_lo, exec_lo, s28
	v_cmp_gt_i16_sdwa s13, v16, v115 src0_sel:BYTE_3 src1_sel:DWORD
	s_mov_b32 s12, 0
	s_and_saveexec_b32 s28, s13
	s_xor_b32 s13, exec_lo, s28
	s_cbranch_execz .LBB6_4923
; %bb.4782:                             ;   in Loop: Header=BB6_4561 Depth=2
	v_cmp_eq_u16_sdwa s29, v16, v119 src0_sel:BYTE_3 src1_sel:DWORD
	s_mov_b32 s12, -1
	s_and_saveexec_b32 s28, s29
; %bb.4783:                             ;   in Loop: Header=BB6_4561 Depth=2
	s_xor_b32 s12, exec_lo, -1
; %bb.4784:                             ;   in Loop: Header=BB6_4561 Depth=2
	s_or_b32 exec_lo, exec_lo, s28
	s_and_b32 s12, s12, exec_lo
	s_or_saveexec_b32 s13, s13
	v_mov_b32_e32 v2, 0x7f800001
	s_xor_b32 exec_lo, exec_lo, s13
	s_cbranch_execnz .LBB6_4924
.LBB6_4785:                             ;   in Loop: Header=BB6_4561 Depth=2
	s_or_b32 exec_lo, exec_lo, s13
	s_and_saveexec_b32 s13, s12
	s_cbranch_execz .LBB6_4787
.LBB6_4786:                             ;   in Loop: Header=BB6_4561 Depth=2
	v_bfe_u32 v2, v16, 24, 3
	v_bfe_u32 v38, v16, 27, 4
	v_ffbh_u32_e32 v3, v2
	v_cmp_eq_u32_e64 s12, 0, v38
	v_min_u32_e32 v3, 32, v3
	v_subrev_nc_u32_e32 v37, 28, v3
	v_sub_nc_u32_e32 v3, 29, v3
	v_lshlrev_b32_sdwa v37, v37, v16 dst_sel:DWORD dst_unused:UNUSED_PAD src0_sel:DWORD src1_sel:BYTE_3
	v_cndmask_b32_e64 v3, v38, v3, s12
	v_and_b32_e32 v16, 0x80000000, v16
	v_and_b32_e32 v37, 7, v37
	v_lshl_add_u32 v3, v3, 23, 0x3b800000
	v_cndmask_b32_e64 v2, v2, v37, s12
	v_lshlrev_b32_e32 v2, 20, v2
	v_or3_b32 v2, v16, v3, v2
.LBB6_4787:                             ;   in Loop: Header=BB6_4561 Depth=2
	s_or_b32 exec_lo, exec_lo, s13
	v_cmp_gt_i16_sdwa s13, v12, v115 src0_sel:BYTE_3 src1_sel:DWORD
	s_mov_b32 s12, 0
	s_and_saveexec_b32 s28, s13
	s_xor_b32 s13, exec_lo, s28
	s_cbranch_execz .LBB6_4925
; %bb.4788:                             ;   in Loop: Header=BB6_4561 Depth=2
	v_cmp_eq_u16_sdwa s29, v12, v119 src0_sel:BYTE_3 src1_sel:DWORD
	s_mov_b32 s12, -1
	s_and_saveexec_b32 s28, s29
; %bb.4789:                             ;   in Loop: Header=BB6_4561 Depth=2
	s_xor_b32 s12, exec_lo, -1
; %bb.4790:                             ;   in Loop: Header=BB6_4561 Depth=2
	s_or_b32 exec_lo, exec_lo, s28
	s_and_b32 s12, s12, exec_lo
	s_or_saveexec_b32 s13, s13
	v_mov_b32_e32 v3, 0x7f800001
	s_xor_b32 exec_lo, exec_lo, s13
	s_cbranch_execnz .LBB6_4926
.LBB6_4791:                             ;   in Loop: Header=BB6_4561 Depth=2
	s_or_b32 exec_lo, exec_lo, s13
	s_and_saveexec_b32 s13, s12
	s_cbranch_execz .LBB6_4793
.LBB6_4792:                             ;   in Loop: Header=BB6_4561 Depth=2
	v_and_b32_sdwa v3, v12, v57 dst_sel:DWORD dst_unused:UNUSED_PAD src0_sel:BYTE_3 src1_sel:DWORD
	v_bfe_u32 v38, v12, 27, 4
	v_ffbh_u32_e32 v16, v3
	v_cmp_eq_u32_e64 s12, 0, v38
	v_min_u32_e32 v16, 32, v16
	v_subrev_nc_u32_e32 v37, 28, v16
	v_sub_nc_u32_e32 v16, 29, v16
	v_lshlrev_b32_sdwa v37, v37, v12 dst_sel:DWORD dst_unused:UNUSED_PAD src0_sel:DWORD src1_sel:BYTE_3
	v_cndmask_b32_e64 v16, v38, v16, s12
	v_and_b32_e32 v12, 0x80000000, v12
	v_and_b32_e32 v37, 7, v37
	v_lshl_add_u32 v16, v16, 23, 0x3b800000
	v_cndmask_b32_e64 v3, v3, v37, s12
	v_lshlrev_b32_e32 v3, 20, v3
	v_or3_b32 v3, v12, v16, v3
.LBB6_4793:                             ;   in Loop: Header=BB6_4561 Depth=2
	s_or_b32 exec_lo, exec_lo, s13
	v_add_f32_e32 v2, v2, v3
	v_mov_b32_e32 v12, 0x8000
	s_mov_b32 s28, exec_lo
	v_and_b32_e32 v3, 0x7f800000, v2
	v_cmpx_ne_u32_e32 0x7f800000, v3
	s_cbranch_execz .LBB6_4801
; %bb.4794:                             ;   in Loop: Header=BB6_4561 Depth=2
	v_mov_b32_e32 v12, 0
	s_mov_b32 s29, exec_lo
	v_cmpx_ne_u32_e32 0, v2
	s_cbranch_execz .LBB6_4800
; %bb.4795:                             ;   in Loop: Header=BB6_4561 Depth=2
	v_bfe_u32 v3, v2, 23, 8
	v_and_b32_e32 v12, 0x7fffff, v2
	v_sub_nc_u32_e32 v16, 0x78, v3
	v_cmp_gt_u32_e64 s12, 0x79, v3
	v_or_b32_e32 v37, 0x800000, v12
	v_cndmask_b32_e64 v16, 0, v16, s12
	v_cmp_eq_u32_e64 s12, 0, v3
	v_add_nc_u32_e32 v3, 0xffffff89, v3
	v_cndmask_b32_e64 v16, v16, 0x77, s12
	v_cndmask_b32_e64 v12, v37, v12, s12
	;; [unrolled: 1-line block ×3, first 2 shown]
	v_lshl_add_u32 v37, 0x100000, v16, -1
	v_lshrrev_b32_e32 v38, v16, v12
	v_lshlrev_b32_e64 v48, v16, 0x80000
	v_add_nc_u32_e32 v16, v16, v3
	v_and_b32_e32 v12, v37, v12
	v_bfe_u32 v39, v38, 20, 1
	v_cmp_eq_u32_e64 s13, v12, v48
	v_add_nc_u32_e32 v37, -1, v39
	v_cndmask_b32_e64 v12, 0, v37, s13
	v_lshrrev_b32_e32 v37, 23, v38
	s_mov_b32 s13, exec_lo
	v_add_nc_u32_e32 v12, v12, v38
	v_xor_b32_e32 v37, 1, v37
	v_and_b32_e32 v3, 0xfffff, v12
	v_add_nc_u32_e32 v12, v3, v38
                                        ; implicit-def: $vgpr3
	v_cmpx_ne_u32_e64 v16, v37
	s_xor_b32 s13, exec_lo, s13
; %bb.4796:                             ;   in Loop: Header=BB6_4561 Depth=2
	v_cmp_lt_u32_e64 s12, 0xffffff, v12
	v_sub_nc_u32_e32 v3, v16, v37
	v_cndmask_b32_e64 v16, 0, 1, s12
	v_add_co_ci_u32_e64 v3, null, 0, v3, s12
	v_lshrrev_b32_e32 v12, v16, v12
; %bb.4797:                             ;   in Loop: Header=BB6_4561 Depth=2
	s_andn2_saveexec_b32 s12, s13
; %bb.4798:                             ;   in Loop: Header=BB6_4561 Depth=2
	v_bfe_u32 v3, v12, 23, 1
; %bb.4799:                             ;   in Loop: Header=BB6_4561 Depth=2
	s_or_b32 exec_lo, exec_lo, s12
	v_lshrrev_b32_e32 v12, 20, v12
	v_min_i32_e32 v16, 15, v3
	v_cmp_gt_i32_e64 s12, 16, v3
	v_and_b32_sdwa v2, v2, v119 dst_sel:DWORD dst_unused:UNUSED_PAD src0_sel:BYTE_3 src1_sel:DWORD
	v_lshlrev_b32_e32 v16, 3, v16
	v_cndmask_b32_e64 v12, 7, v12, s12
	v_and_b32_e32 v16, 0xf8, v16
	v_and_b32_e32 v37, 7, v12
	v_or_b32_e32 v3, v3, v12
	v_or3_b32 v2, v2, v16, v37
	v_cmp_ne_u32_e64 s12, 0, v3
	v_lshlrev_b32_e32 v2, 8, v2
	v_cndmask_b32_e64 v12, 0, v2, s12
.LBB6_4800:                             ;   in Loop: Header=BB6_4561 Depth=2
	s_or_b32 exec_lo, exec_lo, s29
.LBB6_4801:                             ;   in Loop: Header=BB6_4561 Depth=2
	s_or_b32 exec_lo, exec_lo, s28
	v_cmp_gt_i16_sdwa s13, v17, v115 src0_sel:BYTE_0 src1_sel:DWORD
	s_mov_b32 s12, 0
	s_and_saveexec_b32 s28, s13
	s_xor_b32 s13, exec_lo, s28
	s_cbranch_execz .LBB6_4927
; %bb.4802:                             ;   in Loop: Header=BB6_4561 Depth=2
	v_cmp_eq_u16_sdwa s29, v17, v119 src0_sel:BYTE_0 src1_sel:DWORD
	s_mov_b32 s12, -1
	s_and_saveexec_b32 s28, s29
; %bb.4803:                             ;   in Loop: Header=BB6_4561 Depth=2
	s_xor_b32 s12, exec_lo, -1
; %bb.4804:                             ;   in Loop: Header=BB6_4561 Depth=2
	s_or_b32 exec_lo, exec_lo, s28
	s_and_b32 s12, s12, exec_lo
	s_or_saveexec_b32 s13, s13
	v_mov_b32_e32 v2, 0x7f800001
	s_xor_b32 exec_lo, exec_lo, s13
	s_cbranch_execnz .LBB6_4928
.LBB6_4805:                             ;   in Loop: Header=BB6_4561 Depth=2
	s_or_b32 exec_lo, exec_lo, s13
	s_and_saveexec_b32 s13, s12
	s_cbranch_execz .LBB6_4807
.LBB6_4806:                             ;   in Loop: Header=BB6_4561 Depth=2
	v_and_b32_e32 v2, 7, v17
	v_bfe_u32 v37, v17, 3, 4
	v_lshlrev_b32_e32 v38, 24, v17
	v_ffbh_u32_e32 v3, v2
	v_cmp_eq_u32_e64 s12, 0, v37
	v_min_u32_e32 v3, 32, v3
	v_subrev_nc_u32_e32 v16, 28, v3
	v_sub_nc_u32_e32 v3, 29, v3
	v_lshlrev_b32_e32 v16, v16, v17
	v_cndmask_b32_e64 v3, v37, v3, s12
	v_and_b32_e32 v16, 7, v16
	v_lshl_add_u32 v3, v3, 23, 0x3b800000
	v_cndmask_b32_e64 v2, v2, v16, s12
	v_and_b32_e32 v16, 0x80000000, v38
	v_lshlrev_b32_e32 v2, 20, v2
	v_or3_b32 v2, v16, v3, v2
.LBB6_4807:                             ;   in Loop: Header=BB6_4561 Depth=2
	s_or_b32 exec_lo, exec_lo, s13
	v_cmp_gt_i16_sdwa s13, v13, v115 src0_sel:BYTE_0 src1_sel:DWORD
	s_mov_b32 s12, 0
	s_and_saveexec_b32 s28, s13
	s_xor_b32 s13, exec_lo, s28
	s_cbranch_execz .LBB6_4929
; %bb.4808:                             ;   in Loop: Header=BB6_4561 Depth=2
	v_cmp_eq_u16_sdwa s29, v13, v119 src0_sel:BYTE_0 src1_sel:DWORD
	s_mov_b32 s12, -1
	s_and_saveexec_b32 s28, s29
; %bb.4809:                             ;   in Loop: Header=BB6_4561 Depth=2
	s_xor_b32 s12, exec_lo, -1
; %bb.4810:                             ;   in Loop: Header=BB6_4561 Depth=2
	s_or_b32 exec_lo, exec_lo, s28
	s_and_b32 s12, s12, exec_lo
	s_or_saveexec_b32 s13, s13
	v_mov_b32_e32 v3, 0x7f800001
	s_xor_b32 exec_lo, exec_lo, s13
	s_cbranch_execnz .LBB6_4930
.LBB6_4811:                             ;   in Loop: Header=BB6_4561 Depth=2
	s_or_b32 exec_lo, exec_lo, s13
	s_and_saveexec_b32 s13, s12
	s_cbranch_execz .LBB6_4813
.LBB6_4812:                             ;   in Loop: Header=BB6_4561 Depth=2
	v_and_b32_e32 v3, 7, v13
	v_bfe_u32 v38, v13, 3, 4
	v_lshlrev_b32_e32 v39, 24, v13
	v_ffbh_u32_e32 v16, v3
	v_cmp_eq_u32_e64 s12, 0, v38
	v_min_u32_e32 v16, 32, v16
	v_subrev_nc_u32_e32 v37, 28, v16
	v_sub_nc_u32_e32 v16, 29, v16
	v_lshlrev_b32_e32 v37, v37, v13
	v_cndmask_b32_e64 v16, v38, v16, s12
	v_and_b32_e32 v37, 7, v37
	v_lshl_add_u32 v16, v16, 23, 0x3b800000
	v_cndmask_b32_e64 v3, v3, v37, s12
	v_and_b32_e32 v37, 0x80000000, v39
	v_lshlrev_b32_e32 v3, 20, v3
	v_or3_b32 v3, v37, v16, v3
.LBB6_4813:                             ;   in Loop: Header=BB6_4561 Depth=2
	s_or_b32 exec_lo, exec_lo, s13
	v_add_f32_e32 v2, v2, v3
	v_mov_b32_e32 v16, 0x80
	s_mov_b32 s28, exec_lo
	v_and_b32_e32 v3, 0x7f800000, v2
	v_cmpx_ne_u32_e32 0x7f800000, v3
	s_cbranch_execz .LBB6_4821
; %bb.4814:                             ;   in Loop: Header=BB6_4561 Depth=2
	v_mov_b32_e32 v16, 0
	s_mov_b32 s29, exec_lo
	v_cmpx_ne_u32_e32 0, v2
	s_cbranch_execz .LBB6_4820
; %bb.4815:                             ;   in Loop: Header=BB6_4561 Depth=2
	v_bfe_u32 v3, v2, 23, 8
	v_and_b32_e32 v16, 0x7fffff, v2
	v_sub_nc_u32_e32 v37, 0x78, v3
	v_cmp_gt_u32_e64 s12, 0x79, v3
	v_or_b32_e32 v38, 0x800000, v16
	v_cndmask_b32_e64 v37, 0, v37, s12
	v_cmp_eq_u32_e64 s12, 0, v3
	v_add_nc_u32_e32 v3, 0xffffff89, v3
	v_cndmask_b32_e64 v37, v37, 0x77, s12
	v_cndmask_b32_e64 v16, v38, v16, s12
	;; [unrolled: 1-line block ×3, first 2 shown]
	v_lshl_add_u32 v38, 0x100000, v37, -1
	v_lshrrev_b32_e32 v39, v37, v16
	v_lshlrev_b32_e64 v49, v37, 0x80000
	v_add_nc_u32_e32 v37, v37, v3
	v_and_b32_e32 v16, v38, v16
	v_bfe_u32 v48, v39, 20, 1
	v_cmp_eq_u32_e64 s13, v16, v49
	v_add_nc_u32_e32 v38, -1, v48
	v_cndmask_b32_e64 v16, 0, v38, s13
	v_lshrrev_b32_e32 v38, 23, v39
	s_mov_b32 s13, exec_lo
	v_add_nc_u32_e32 v16, v16, v39
	v_xor_b32_e32 v38, 1, v38
	v_and_b32_e32 v3, 0xfffff, v16
	v_add_nc_u32_e32 v16, v3, v39
                                        ; implicit-def: $vgpr3
	v_cmpx_ne_u32_e64 v37, v38
	s_xor_b32 s13, exec_lo, s13
; %bb.4816:                             ;   in Loop: Header=BB6_4561 Depth=2
	v_cmp_lt_u32_e64 s12, 0xffffff, v16
	v_sub_nc_u32_e32 v3, v37, v38
	v_cndmask_b32_e64 v37, 0, 1, s12
	v_add_co_ci_u32_e64 v3, null, 0, v3, s12
	v_lshrrev_b32_e32 v16, v37, v16
; %bb.4817:                             ;   in Loop: Header=BB6_4561 Depth=2
	s_andn2_saveexec_b32 s12, s13
; %bb.4818:                             ;   in Loop: Header=BB6_4561 Depth=2
	v_bfe_u32 v3, v16, 23, 1
; %bb.4819:                             ;   in Loop: Header=BB6_4561 Depth=2
	s_or_b32 exec_lo, exec_lo, s12
	v_lshrrev_b32_e32 v16, 20, v16
	v_min_i32_e32 v37, 15, v3
	v_cmp_gt_i32_e64 s12, 16, v3
	v_and_b32_sdwa v2, v2, v119 dst_sel:DWORD dst_unused:UNUSED_PAD src0_sel:BYTE_3 src1_sel:DWORD
	v_lshlrev_b32_e32 v37, 3, v37
	v_cndmask_b32_e64 v16, 7, v16, s12
	v_and_b32_e32 v37, 0xf8, v37
	v_and_b32_e32 v38, 7, v16
	v_or_b32_e32 v3, v3, v16
	v_or3_b32 v2, v37, v2, v38
	v_cmp_ne_u32_e64 s12, 0, v3
	v_cndmask_b32_e64 v16, 0, v2, s12
.LBB6_4820:                             ;   in Loop: Header=BB6_4561 Depth=2
	s_or_b32 exec_lo, exec_lo, s29
.LBB6_4821:                             ;   in Loop: Header=BB6_4561 Depth=2
	s_or_b32 exec_lo, exec_lo, s28
	v_cmp_gt_i16_sdwa s13, v17, v115 src0_sel:BYTE_1 src1_sel:DWORD
	s_mov_b32 s12, 0
	s_and_saveexec_b32 s28, s13
	s_xor_b32 s13, exec_lo, s28
	s_cbranch_execz .LBB6_4931
; %bb.4822:                             ;   in Loop: Header=BB6_4561 Depth=2
	v_cmp_eq_u16_sdwa s29, v17, v119 src0_sel:BYTE_1 src1_sel:DWORD
	s_mov_b32 s12, -1
	s_and_saveexec_b32 s28, s29
; %bb.4823:                             ;   in Loop: Header=BB6_4561 Depth=2
	s_xor_b32 s12, exec_lo, -1
; %bb.4824:                             ;   in Loop: Header=BB6_4561 Depth=2
	s_or_b32 exec_lo, exec_lo, s28
	s_and_b32 s12, s12, exec_lo
	s_or_saveexec_b32 s13, s13
	v_mov_b32_e32 v2, 0x7f800001
	s_xor_b32 exec_lo, exec_lo, s13
	s_cbranch_execnz .LBB6_4932
.LBB6_4825:                             ;   in Loop: Header=BB6_4561 Depth=2
	s_or_b32 exec_lo, exec_lo, s13
	s_and_saveexec_b32 s13, s12
	s_cbranch_execz .LBB6_4827
.LBB6_4826:                             ;   in Loop: Header=BB6_4561 Depth=2
	v_and_b32_sdwa v2, v41, v17 dst_sel:DWORD dst_unused:UNUSED_PAD src0_sel:DWORD src1_sel:BYTE_1
	v_and_b32_e32 v3, 7, v2
	v_bfe_u32 v39, v2, 3, 4
	v_ffbh_u32_e32 v37, v3
	v_cmp_eq_u32_e64 s12, 0, v39
	v_min_u32_e32 v37, 32, v37
	v_subrev_nc_u32_e32 v38, 28, v37
	v_sub_nc_u32_e32 v37, 29, v37
	v_lshlrev_b32_e32 v2, v38, v2
	v_lshlrev_b32_sdwa v38, v47, v17 dst_sel:DWORD dst_unused:UNUSED_PAD src0_sel:DWORD src1_sel:BYTE_1
	v_cndmask_b32_e64 v37, v39, v37, s12
	v_and_b32_e32 v2, 7, v2
	v_lshl_add_u32 v37, v37, 23, 0x3b800000
	v_cndmask_b32_e64 v2, v3, v2, s12
	v_and_b32_e32 v3, 0x80000000, v38
	v_lshlrev_b32_e32 v2, 20, v2
	v_or3_b32 v2, v3, v37, v2
.LBB6_4827:                             ;   in Loop: Header=BB6_4561 Depth=2
	s_or_b32 exec_lo, exec_lo, s13
	v_cmp_gt_i16_sdwa s13, v13, v115 src0_sel:BYTE_1 src1_sel:DWORD
	s_mov_b32 s12, 0
	s_and_saveexec_b32 s28, s13
	s_xor_b32 s13, exec_lo, s28
	s_cbranch_execz .LBB6_4933
; %bb.4828:                             ;   in Loop: Header=BB6_4561 Depth=2
	v_cmp_eq_u16_sdwa s29, v13, v119 src0_sel:BYTE_1 src1_sel:DWORD
	s_mov_b32 s12, -1
	s_and_saveexec_b32 s28, s29
; %bb.4829:                             ;   in Loop: Header=BB6_4561 Depth=2
	s_xor_b32 s12, exec_lo, -1
; %bb.4830:                             ;   in Loop: Header=BB6_4561 Depth=2
	s_or_b32 exec_lo, exec_lo, s28
	s_and_b32 s12, s12, exec_lo
	s_or_saveexec_b32 s13, s13
	v_mov_b32_e32 v3, 0x7f800001
	s_xor_b32 exec_lo, exec_lo, s13
	s_cbranch_execnz .LBB6_4934
.LBB6_4831:                             ;   in Loop: Header=BB6_4561 Depth=2
	s_or_b32 exec_lo, exec_lo, s13
	s_and_saveexec_b32 s13, s12
	s_cbranch_execz .LBB6_4833
.LBB6_4832:                             ;   in Loop: Header=BB6_4561 Depth=2
	v_and_b32_sdwa v3, v41, v13 dst_sel:DWORD dst_unused:UNUSED_PAD src0_sel:DWORD src1_sel:BYTE_1
	v_and_b32_e32 v37, 7, v3
	v_bfe_u32 v48, v3, 3, 4
	v_ffbh_u32_e32 v38, v37
	v_cmp_eq_u32_e64 s12, 0, v48
	v_min_u32_e32 v38, 32, v38
	v_subrev_nc_u32_e32 v39, 28, v38
	v_sub_nc_u32_e32 v38, 29, v38
	v_lshlrev_b32_e32 v3, v39, v3
	v_lshlrev_b32_sdwa v39, v47, v13 dst_sel:DWORD dst_unused:UNUSED_PAD src0_sel:DWORD src1_sel:BYTE_1
	v_cndmask_b32_e64 v38, v48, v38, s12
	v_and_b32_e32 v3, 7, v3
	v_lshl_add_u32 v38, v38, 23, 0x3b800000
	v_cndmask_b32_e64 v3, v37, v3, s12
	v_and_b32_e32 v37, 0x80000000, v39
	v_lshlrev_b32_e32 v3, 20, v3
	v_or3_b32 v3, v37, v38, v3
.LBB6_4833:                             ;   in Loop: Header=BB6_4561 Depth=2
	s_or_b32 exec_lo, exec_lo, s13
	v_add_f32_e32 v2, v2, v3
	v_mov_b32_e32 v37, 0x8000
	s_mov_b32 s28, exec_lo
	v_and_b32_e32 v3, 0x7f800000, v2
	v_cmpx_ne_u32_e32 0x7f800000, v3
	s_cbranch_execz .LBB6_4841
; %bb.4834:                             ;   in Loop: Header=BB6_4561 Depth=2
	v_mov_b32_e32 v37, 0
	s_mov_b32 s29, exec_lo
	v_cmpx_ne_u32_e32 0, v2
	s_cbranch_execz .LBB6_4840
; %bb.4835:                             ;   in Loop: Header=BB6_4561 Depth=2
	v_bfe_u32 v3, v2, 23, 8
	v_and_b32_e32 v37, 0x7fffff, v2
	v_sub_nc_u32_e32 v38, 0x78, v3
	v_cmp_gt_u32_e64 s12, 0x79, v3
	v_or_b32_e32 v39, 0x800000, v37
	v_cndmask_b32_e64 v38, 0, v38, s12
	v_cmp_eq_u32_e64 s12, 0, v3
	v_add_nc_u32_e32 v3, 0xffffff89, v3
	v_cndmask_b32_e64 v38, v38, 0x77, s12
	v_cndmask_b32_e64 v37, v39, v37, s12
	;; [unrolled: 1-line block ×3, first 2 shown]
	v_lshl_add_u32 v39, 0x100000, v38, -1
	v_lshrrev_b32_e32 v48, v38, v37
	v_lshlrev_b32_e64 v50, v38, 0x80000
	v_add_nc_u32_e32 v38, v38, v3
	v_and_b32_e32 v37, v39, v37
	v_bfe_u32 v49, v48, 20, 1
	v_cmp_eq_u32_e64 s13, v37, v50
	v_add_nc_u32_e32 v39, -1, v49
	v_cndmask_b32_e64 v37, 0, v39, s13
	v_lshrrev_b32_e32 v39, 23, v48
	s_mov_b32 s13, exec_lo
	v_add_nc_u32_e32 v37, v37, v48
	v_xor_b32_e32 v39, 1, v39
	v_and_b32_e32 v3, 0xfffff, v37
	v_add_nc_u32_e32 v37, v3, v48
                                        ; implicit-def: $vgpr3
	v_cmpx_ne_u32_e64 v38, v39
	s_xor_b32 s13, exec_lo, s13
; %bb.4836:                             ;   in Loop: Header=BB6_4561 Depth=2
	v_cmp_lt_u32_e64 s12, 0xffffff, v37
	v_sub_nc_u32_e32 v3, v38, v39
	v_cndmask_b32_e64 v38, 0, 1, s12
	v_add_co_ci_u32_e64 v3, null, 0, v3, s12
	v_lshrrev_b32_e32 v37, v38, v37
; %bb.4837:                             ;   in Loop: Header=BB6_4561 Depth=2
	s_andn2_saveexec_b32 s12, s13
; %bb.4838:                             ;   in Loop: Header=BB6_4561 Depth=2
	v_bfe_u32 v3, v37, 23, 1
; %bb.4839:                             ;   in Loop: Header=BB6_4561 Depth=2
	s_or_b32 exec_lo, exec_lo, s12
	v_lshrrev_b32_e32 v37, 20, v37
	v_min_i32_e32 v38, 15, v3
	v_cmp_gt_i32_e64 s12, 16, v3
	v_and_b32_sdwa v2, v2, v119 dst_sel:DWORD dst_unused:UNUSED_PAD src0_sel:BYTE_3 src1_sel:DWORD
	v_lshlrev_b32_e32 v38, 3, v38
	v_cndmask_b32_e64 v37, 7, v37, s12
	v_and_b32_e32 v38, 0xf8, v38
	v_and_b32_e32 v39, 7, v37
	v_or_b32_e32 v3, v3, v37
	v_or3_b32 v2, v2, v38, v39
	v_cmp_ne_u32_e64 s12, 0, v3
	v_lshlrev_b32_e32 v2, 8, v2
	v_cndmask_b32_e64 v37, 0, v2, s12
.LBB6_4840:                             ;   in Loop: Header=BB6_4561 Depth=2
	s_or_b32 exec_lo, exec_lo, s29
.LBB6_4841:                             ;   in Loop: Header=BB6_4561 Depth=2
	s_or_b32 exec_lo, exec_lo, s28
	v_and_b32_sdwa v3, v17, v56 dst_sel:DWORD dst_unused:UNUSED_PAD src0_sel:WORD_1 src1_sel:DWORD
	s_mov_b32 s13, 0
	s_mov_b32 s28, exec_lo
	v_cmpx_lt_i16_e32 0x7f, v3
	s_xor_b32 s28, exec_lo, s28
	s_cbranch_execz .LBB6_4935
; %bb.4842:                             ;   in Loop: Header=BB6_4561 Depth=2
	s_mov_b32 s13, -1
	s_mov_b32 s29, exec_lo
	v_cmpx_eq_u16_e32 0x80, v3
; %bb.4843:                             ;   in Loop: Header=BB6_4561 Depth=2
	s_xor_b32 s13, exec_lo, -1
; %bb.4844:                             ;   in Loop: Header=BB6_4561 Depth=2
	s_or_b32 exec_lo, exec_lo, s29
	s_and_b32 s13, s13, exec_lo
                                        ; implicit-def: $vgpr3
	s_or_saveexec_b32 s28, s28
	v_mov_b32_e32 v2, 0x7f800001
	s_xor_b32 exec_lo, exec_lo, s28
	s_cbranch_execnz .LBB6_4936
.LBB6_4845:                             ;   in Loop: Header=BB6_4561 Depth=2
	s_or_b32 exec_lo, exec_lo, s28
	s_and_saveexec_b32 s28, s13
	s_cbranch_execz .LBB6_4847
.LBB6_4846:                             ;   in Loop: Header=BB6_4561 Depth=2
	v_bfe_u32 v2, v17, 16, 3
	v_bfe_u32 v39, v17, 19, 4
	v_lshlrev_b32_e32 v48, 8, v17
	v_ffbh_u32_e32 v3, v2
	v_cmp_eq_u32_e64 s12, 0, v39
	v_min_u32_e32 v3, 32, v3
	v_subrev_nc_u32_e32 v38, 28, v3
	v_sub_nc_u32_e32 v3, 29, v3
	v_lshlrev_b32_sdwa v38, v38, v17 dst_sel:DWORD dst_unused:UNUSED_PAD src0_sel:DWORD src1_sel:WORD_1
	v_cndmask_b32_e64 v3, v39, v3, s12
	v_and_b32_e32 v38, 7, v38
	v_lshl_add_u32 v3, v3, 23, 0x3b800000
	v_cndmask_b32_e64 v2, v2, v38, s12
	v_and_b32_e32 v38, 0x80000000, v48
	v_lshlrev_b32_e32 v2, 20, v2
	v_or3_b32 v2, v38, v3, v2
.LBB6_4847:                             ;   in Loop: Header=BB6_4561 Depth=2
	s_or_b32 exec_lo, exec_lo, s28
	v_and_b32_sdwa v38, v13, v56 dst_sel:DWORD dst_unused:UNUSED_PAD src0_sel:WORD_1 src1_sel:DWORD
	s_mov_b32 s13, 0
	s_mov_b32 s28, exec_lo
	v_cmpx_lt_i16_e32 0x7f, v38
	s_xor_b32 s28, exec_lo, s28
	s_cbranch_execz .LBB6_4937
; %bb.4848:                             ;   in Loop: Header=BB6_4561 Depth=2
	s_mov_b32 s13, -1
	s_mov_b32 s29, exec_lo
	v_cmpx_eq_u16_e32 0x80, v38
; %bb.4849:                             ;   in Loop: Header=BB6_4561 Depth=2
	s_xor_b32 s13, exec_lo, -1
; %bb.4850:                             ;   in Loop: Header=BB6_4561 Depth=2
	s_or_b32 exec_lo, exec_lo, s29
	s_and_b32 s13, s13, exec_lo
                                        ; implicit-def: $vgpr38
	s_or_saveexec_b32 s28, s28
	v_mov_b32_e32 v3, 0x7f800001
	s_xor_b32 exec_lo, exec_lo, s28
	s_cbranch_execnz .LBB6_4938
.LBB6_4851:                             ;   in Loop: Header=BB6_4561 Depth=2
	s_or_b32 exec_lo, exec_lo, s28
	s_and_saveexec_b32 s28, s13
	s_cbranch_execz .LBB6_4853
.LBB6_4852:                             ;   in Loop: Header=BB6_4561 Depth=2
	v_and_b32_sdwa v3, v13, v57 dst_sel:DWORD dst_unused:UNUSED_PAD src0_sel:WORD_1 src1_sel:DWORD
	v_bfe_u32 v48, v13, 19, 4
	v_lshlrev_b32_sdwa v49, v47, v13 dst_sel:DWORD dst_unused:UNUSED_PAD src0_sel:DWORD src1_sel:WORD_1
	v_ffbh_u32_e32 v38, v3
	v_cmp_eq_u32_e64 s12, 0, v48
	v_min_u32_e32 v38, 32, v38
	v_subrev_nc_u32_e32 v39, 28, v38
	v_sub_nc_u32_e32 v38, 29, v38
	v_lshlrev_b32_sdwa v39, v39, v13 dst_sel:DWORD dst_unused:UNUSED_PAD src0_sel:DWORD src1_sel:WORD_1
	v_cndmask_b32_e64 v38, v48, v38, s12
	v_and_b32_e32 v39, 7, v39
	v_lshl_add_u32 v38, v38, 23, 0x3b800000
	v_cndmask_b32_e64 v3, v3, v39, s12
	v_and_b32_e32 v39, 0x80000000, v49
	v_lshlrev_b32_e32 v3, 20, v3
	v_or3_b32 v3, v39, v38, v3
.LBB6_4853:                             ;   in Loop: Header=BB6_4561 Depth=2
	s_or_b32 exec_lo, exec_lo, s28
	v_add_f32_e32 v3, v2, v3
	v_and_b32_e32 v2, 0x7f800000, v3
	v_cmp_ne_u32_e64 s12, 0x7f800000, v2
	v_mov_b32_e32 v2, 0x80
	s_and_saveexec_b32 s28, s12
	s_cbranch_execz .LBB6_4861
; %bb.4854:                             ;   in Loop: Header=BB6_4561 Depth=2
	v_mov_b32_e32 v2, 0
	s_mov_b32 s29, exec_lo
	v_cmpx_ne_u32_e32 0, v3
	s_cbranch_execz .LBB6_4860
; %bb.4855:                             ;   in Loop: Header=BB6_4561 Depth=2
	v_bfe_u32 v2, v3, 23, 8
	v_and_b32_e32 v38, 0x7fffff, v3
	v_sub_nc_u32_e32 v39, 0x78, v2
	v_cmp_gt_u32_e64 s12, 0x79, v2
	v_or_b32_e32 v48, 0x800000, v38
	v_cndmask_b32_e64 v39, 0, v39, s12
	v_cmp_eq_u32_e64 s12, 0, v2
	v_add_nc_u32_e32 v2, 0xffffff89, v2
	v_cndmask_b32_e64 v39, v39, 0x77, s12
	v_cndmask_b32_e64 v38, v48, v38, s12
	;; [unrolled: 1-line block ×3, first 2 shown]
	v_lshl_add_u32 v48, 0x100000, v39, -1
	v_lshrrev_b32_e32 v49, v39, v38
	v_lshlrev_b32_e64 v51, v39, 0x80000
	v_add_nc_u32_e32 v39, v39, v2
	v_and_b32_e32 v38, v48, v38
	v_bfe_u32 v50, v49, 20, 1
	v_cmp_eq_u32_e64 s13, v38, v51
	v_add_nc_u32_e32 v48, -1, v50
	v_cndmask_b32_e64 v38, 0, v48, s13
	v_lshrrev_b32_e32 v48, 23, v49
	s_mov_b32 s13, exec_lo
	v_add_nc_u32_e32 v38, v38, v49
	v_xor_b32_e32 v48, 1, v48
	v_and_b32_e32 v2, 0xfffff, v38
	v_add_nc_u32_e32 v38, v2, v49
                                        ; implicit-def: $vgpr2
	v_cmpx_ne_u32_e64 v39, v48
	s_xor_b32 s13, exec_lo, s13
; %bb.4856:                             ;   in Loop: Header=BB6_4561 Depth=2
	v_cmp_lt_u32_e64 s12, 0xffffff, v38
	v_sub_nc_u32_e32 v2, v39, v48
	v_cndmask_b32_e64 v39, 0, 1, s12
	v_add_co_ci_u32_e64 v2, null, 0, v2, s12
	v_lshrrev_b32_e32 v38, v39, v38
; %bb.4857:                             ;   in Loop: Header=BB6_4561 Depth=2
	s_andn2_saveexec_b32 s12, s13
; %bb.4858:                             ;   in Loop: Header=BB6_4561 Depth=2
	v_bfe_u32 v2, v38, 23, 1
; %bb.4859:                             ;   in Loop: Header=BB6_4561 Depth=2
	s_or_b32 exec_lo, exec_lo, s12
	v_lshrrev_b32_e32 v38, 20, v38
	v_min_i32_e32 v39, 15, v2
	v_cmp_gt_i32_e64 s12, 16, v2
	v_and_b32_sdwa v3, v3, v119 dst_sel:DWORD dst_unused:UNUSED_PAD src0_sel:BYTE_3 src1_sel:DWORD
	v_lshlrev_b32_e32 v39, 3, v39
	v_cndmask_b32_e64 v38, 7, v38, s12
	v_and_b32_e32 v39, 0xf8, v39
	v_and_b32_e32 v48, 7, v38
	v_or_b32_e32 v2, v2, v38
	v_or3_b32 v3, v39, v3, v48
	v_cmp_ne_u32_e64 s12, 0, v2
	v_cndmask_b32_e64 v2, 0, v3, s12
.LBB6_4860:                             ;   in Loop: Header=BB6_4561 Depth=2
	s_or_b32 exec_lo, exec_lo, s29
.LBB6_4861:                             ;   in Loop: Header=BB6_4561 Depth=2
	s_or_b32 exec_lo, exec_lo, s28
	v_cmp_gt_i16_sdwa s13, v17, v115 src0_sel:BYTE_3 src1_sel:DWORD
	s_mov_b32 s12, 0
	s_and_saveexec_b32 s28, s13
	s_xor_b32 s13, exec_lo, s28
	s_cbranch_execz .LBB6_4939
; %bb.4862:                             ;   in Loop: Header=BB6_4561 Depth=2
	v_cmp_eq_u16_sdwa s29, v17, v119 src0_sel:BYTE_3 src1_sel:DWORD
	s_mov_b32 s12, -1
	s_and_saveexec_b32 s28, s29
; %bb.4863:                             ;   in Loop: Header=BB6_4561 Depth=2
	s_xor_b32 s12, exec_lo, -1
; %bb.4864:                             ;   in Loop: Header=BB6_4561 Depth=2
	s_or_b32 exec_lo, exec_lo, s28
	s_and_b32 s12, s12, exec_lo
	s_or_saveexec_b32 s13, s13
	v_mov_b32_e32 v3, 0x7f800001
	s_xor_b32 exec_lo, exec_lo, s13
	s_cbranch_execnz .LBB6_4940
.LBB6_4865:                             ;   in Loop: Header=BB6_4561 Depth=2
	s_or_b32 exec_lo, exec_lo, s13
	s_and_saveexec_b32 s13, s12
	s_cbranch_execz .LBB6_4867
.LBB6_4866:                             ;   in Loop: Header=BB6_4561 Depth=2
	v_bfe_u32 v3, v17, 24, 3
	v_bfe_u32 v48, v17, 27, 4
	v_ffbh_u32_e32 v38, v3
	v_cmp_eq_u32_e64 s12, 0, v48
	v_min_u32_e32 v38, 32, v38
	v_subrev_nc_u32_e32 v39, 28, v38
	v_sub_nc_u32_e32 v38, 29, v38
	v_lshlrev_b32_sdwa v39, v39, v17 dst_sel:DWORD dst_unused:UNUSED_PAD src0_sel:DWORD src1_sel:BYTE_3
	v_cndmask_b32_e64 v38, v48, v38, s12
	v_and_b32_e32 v17, 0x80000000, v17
	v_and_b32_e32 v39, 7, v39
	v_lshl_add_u32 v38, v38, 23, 0x3b800000
	v_cndmask_b32_e64 v3, v3, v39, s12
	v_lshlrev_b32_e32 v3, 20, v3
	v_or3_b32 v3, v17, v38, v3
.LBB6_4867:                             ;   in Loop: Header=BB6_4561 Depth=2
	s_or_b32 exec_lo, exec_lo, s13
	v_cmp_gt_i16_sdwa s13, v13, v115 src0_sel:BYTE_3 src1_sel:DWORD
	s_mov_b32 s12, 0
	s_and_saveexec_b32 s28, s13
	s_xor_b32 s13, exec_lo, s28
	s_cbranch_execz .LBB6_4941
; %bb.4868:                             ;   in Loop: Header=BB6_4561 Depth=2
	v_cmp_eq_u16_sdwa s29, v13, v119 src0_sel:BYTE_3 src1_sel:DWORD
	s_mov_b32 s12, -1
	s_and_saveexec_b32 s28, s29
; %bb.4869:                             ;   in Loop: Header=BB6_4561 Depth=2
	s_xor_b32 s12, exec_lo, -1
; %bb.4870:                             ;   in Loop: Header=BB6_4561 Depth=2
	s_or_b32 exec_lo, exec_lo, s28
	s_and_b32 s12, s12, exec_lo
	s_or_saveexec_b32 s13, s13
	v_mov_b32_e32 v17, 0x7f800001
	s_xor_b32 exec_lo, exec_lo, s13
	s_cbranch_execnz .LBB6_4942
.LBB6_4871:                             ;   in Loop: Header=BB6_4561 Depth=2
	s_or_b32 exec_lo, exec_lo, s13
	s_and_saveexec_b32 s13, s12
	s_cbranch_execz .LBB6_4873
.LBB6_4872:                             ;   in Loop: Header=BB6_4561 Depth=2
	v_and_b32_sdwa v17, v13, v57 dst_sel:DWORD dst_unused:UNUSED_PAD src0_sel:BYTE_3 src1_sel:DWORD
	v_bfe_u32 v48, v13, 27, 4
	v_ffbh_u32_e32 v38, v17
	v_cmp_eq_u32_e64 s12, 0, v48
	v_min_u32_e32 v38, 32, v38
	v_subrev_nc_u32_e32 v39, 28, v38
	v_sub_nc_u32_e32 v38, 29, v38
	v_lshlrev_b32_sdwa v39, v39, v13 dst_sel:DWORD dst_unused:UNUSED_PAD src0_sel:DWORD src1_sel:BYTE_3
	v_cndmask_b32_e64 v38, v48, v38, s12
	v_and_b32_e32 v13, 0x80000000, v13
	v_and_b32_e32 v39, 7, v39
	v_lshl_add_u32 v38, v38, 23, 0x3b800000
	v_cndmask_b32_e64 v17, v17, v39, s12
	v_lshlrev_b32_e32 v17, 20, v17
	v_or3_b32 v17, v13, v38, v17
.LBB6_4873:                             ;   in Loop: Header=BB6_4561 Depth=2
	s_or_b32 exec_lo, exec_lo, s13
	v_add_f32_e32 v3, v3, v17
	v_and_b32_e32 v13, 0x7f800000, v3
	v_cmp_ne_u32_e64 s12, 0x7f800000, v13
	v_mov_b32_e32 v13, 0x8000
	s_and_saveexec_b32 s28, s12
	s_cbranch_execz .LBB6_4560
; %bb.4874:                             ;   in Loop: Header=BB6_4561 Depth=2
	v_mov_b32_e32 v13, 0
	s_mov_b32 s29, exec_lo
	v_cmpx_ne_u32_e32 0, v3
	s_cbranch_execz .LBB6_4559
; %bb.4875:                             ;   in Loop: Header=BB6_4561 Depth=2
	v_bfe_u32 v13, v3, 23, 8
	v_and_b32_e32 v17, 0x7fffff, v3
	v_sub_nc_u32_e32 v38, 0x78, v13
	v_cmp_gt_u32_e64 s12, 0x79, v13
	v_or_b32_e32 v39, 0x800000, v17
	v_cndmask_b32_e64 v38, 0, v38, s12
	v_cmp_eq_u32_e64 s12, 0, v13
	v_add_nc_u32_e32 v13, 0xffffff89, v13
	v_cndmask_b32_e64 v38, v38, 0x77, s12
	v_cndmask_b32_e64 v17, v39, v17, s12
	;; [unrolled: 1-line block ×3, first 2 shown]
	v_lshl_add_u32 v39, 0x100000, v38, -1
	v_lshrrev_b32_e32 v48, v38, v17
	v_lshlrev_b32_e64 v50, v38, 0x80000
	v_add_nc_u32_e32 v38, v38, v13
	v_and_b32_e32 v17, v39, v17
	v_bfe_u32 v49, v48, 20, 1
	v_cmp_eq_u32_e64 s13, v17, v50
	v_add_nc_u32_e32 v39, -1, v49
	v_cndmask_b32_e64 v17, 0, v39, s13
	v_lshrrev_b32_e32 v39, 23, v48
	s_mov_b32 s13, exec_lo
	v_add_nc_u32_e32 v17, v17, v48
	v_xor_b32_e32 v39, 1, v39
	v_and_b32_e32 v13, 0xfffff, v17
	v_add_nc_u32_e32 v17, v13, v48
                                        ; implicit-def: $vgpr13
	v_cmpx_ne_u32_e64 v38, v39
	s_xor_b32 s13, exec_lo, s13
; %bb.4876:                             ;   in Loop: Header=BB6_4561 Depth=2
	v_cmp_lt_u32_e64 s12, 0xffffff, v17
	v_sub_nc_u32_e32 v13, v38, v39
	v_cndmask_b32_e64 v38, 0, 1, s12
	v_add_co_ci_u32_e64 v13, null, 0, v13, s12
	v_lshrrev_b32_e32 v17, v38, v17
; %bb.4877:                             ;   in Loop: Header=BB6_4561 Depth=2
	s_andn2_saveexec_b32 s12, s13
	s_cbranch_execz .LBB6_4558
; %bb.4878:                             ;   in Loop: Header=BB6_4561 Depth=2
	v_bfe_u32 v13, v17, 23, 1
	s_branch .LBB6_4558
.LBB6_4879:                             ;   in Loop: Header=BB6_4561 Depth=2
	s_or_saveexec_b32 s13, s13
	v_mov_b32_e32 v2, 0x7f800001
	s_xor_b32 exec_lo, exec_lo, s13
	s_cbranch_execz .LBB6_4565
.LBB6_4880:                             ;   in Loop: Header=BB6_4561 Depth=2
	v_cmp_ne_u16_sdwa s28, v14, v30 src0_sel:BYTE_0 src1_sel:DWORD
	v_mov_b32_e32 v2, 0
	s_andn2_b32 s12, s12, exec_lo
	s_and_b32 s28, s28, exec_lo
	s_or_b32 s12, s12, s28
	s_or_b32 exec_lo, exec_lo, s13
	s_and_saveexec_b32 s13, s12
	s_cbranch_execnz .LBB6_4566
	s_branch .LBB6_4567
.LBB6_4881:                             ;   in Loop: Header=BB6_4561 Depth=2
	s_or_saveexec_b32 s13, s13
	v_mov_b32_e32 v3, 0x7f800001
	s_xor_b32 exec_lo, exec_lo, s13
	s_cbranch_execz .LBB6_4571
.LBB6_4882:                             ;   in Loop: Header=BB6_4561 Depth=2
	v_cmp_ne_u16_sdwa s28, v10, v30 src0_sel:BYTE_0 src1_sel:DWORD
	v_mov_b32_e32 v3, 0
	s_andn2_b32 s12, s12, exec_lo
	s_and_b32 s28, s28, exec_lo
	s_or_b32 s12, s12, s28
	s_or_b32 exec_lo, exec_lo, s13
	s_and_saveexec_b32 s13, s12
	s_cbranch_execnz .LBB6_4572
	s_branch .LBB6_4573
.LBB6_4883:                             ;   in Loop: Header=BB6_4561 Depth=2
	s_or_saveexec_b32 s13, s13
	v_mov_b32_e32 v2, 0x7f800001
	s_xor_b32 exec_lo, exec_lo, s13
	s_cbranch_execz .LBB6_4585
.LBB6_4884:                             ;   in Loop: Header=BB6_4561 Depth=2
	v_cmp_ne_u16_sdwa s28, v14, v30 src0_sel:BYTE_1 src1_sel:DWORD
	v_mov_b32_e32 v2, 0
	s_andn2_b32 s12, s12, exec_lo
	s_and_b32 s28, s28, exec_lo
	s_or_b32 s12, s12, s28
	s_or_b32 exec_lo, exec_lo, s13
	s_and_saveexec_b32 s13, s12
	s_cbranch_execnz .LBB6_4586
	s_branch .LBB6_4587
.LBB6_4885:                             ;   in Loop: Header=BB6_4561 Depth=2
	s_or_saveexec_b32 s13, s13
	v_mov_b32_e32 v3, 0x7f800001
	s_xor_b32 exec_lo, exec_lo, s13
	s_cbranch_execz .LBB6_4591
.LBB6_4886:                             ;   in Loop: Header=BB6_4561 Depth=2
	v_cmp_ne_u16_sdwa s28, v10, v30 src0_sel:BYTE_1 src1_sel:DWORD
	v_mov_b32_e32 v3, 0
	s_andn2_b32 s12, s12, exec_lo
	s_and_b32 s28, s28, exec_lo
	s_or_b32 s12, s12, s28
	s_or_b32 exec_lo, exec_lo, s13
	s_and_saveexec_b32 s13, s12
	s_cbranch_execnz .LBB6_4592
	s_branch .LBB6_4593
.LBB6_4887:                             ;   in Loop: Header=BB6_4561 Depth=2
	s_or_saveexec_b32 s28, s28
	v_mov_b32_e32 v2, 0x7f800001
	s_xor_b32 exec_lo, exec_lo, s28
	s_cbranch_execz .LBB6_4605
.LBB6_4888:                             ;   in Loop: Header=BB6_4561 Depth=2
	v_cmp_ne_u16_e64 s12, 0, v3
	v_mov_b32_e32 v2, 0
	s_andn2_b32 s13, s13, exec_lo
	s_and_b32 s12, s12, exec_lo
	s_or_b32 s13, s13, s12
	s_or_b32 exec_lo, exec_lo, s28
	s_and_saveexec_b32 s28, s13
	s_cbranch_execnz .LBB6_4606
	s_branch .LBB6_4607
.LBB6_4889:                             ;   in Loop: Header=BB6_4561 Depth=2
	s_or_saveexec_b32 s28, s28
	v_mov_b32_e32 v3, 0x7f800001
	s_xor_b32 exec_lo, exec_lo, s28
	s_cbranch_execz .LBB6_4611
.LBB6_4890:                             ;   in Loop: Header=BB6_4561 Depth=2
	v_cmp_ne_u16_e64 s12, 0, v32
	v_mov_b32_e32 v3, 0
	s_andn2_b32 s13, s13, exec_lo
	s_and_b32 s12, s12, exec_lo
	s_or_b32 s13, s13, s12
	s_or_b32 exec_lo, exec_lo, s28
	s_and_saveexec_b32 s28, s13
	s_cbranch_execnz .LBB6_4612
	s_branch .LBB6_4613
.LBB6_4891:                             ;   in Loop: Header=BB6_4561 Depth=2
	s_or_saveexec_b32 s13, s13
	v_mov_b32_e32 v2, 0x7f800001
	s_xor_b32 exec_lo, exec_lo, s13
	s_cbranch_execz .LBB6_4625
.LBB6_4892:                             ;   in Loop: Header=BB6_4561 Depth=2
	v_cmp_ne_u16_sdwa s28, v14, v30 src0_sel:BYTE_3 src1_sel:DWORD
	v_mov_b32_e32 v2, 0
	s_andn2_b32 s12, s12, exec_lo
	s_and_b32 s28, s28, exec_lo
	s_or_b32 s12, s12, s28
	s_or_b32 exec_lo, exec_lo, s13
	s_and_saveexec_b32 s13, s12
	s_cbranch_execnz .LBB6_4626
	s_branch .LBB6_4627
.LBB6_4893:                             ;   in Loop: Header=BB6_4561 Depth=2
	s_or_saveexec_b32 s13, s13
	v_mov_b32_e32 v3, 0x7f800001
	s_xor_b32 exec_lo, exec_lo, s13
	s_cbranch_execz .LBB6_4631
.LBB6_4894:                             ;   in Loop: Header=BB6_4561 Depth=2
	v_cmp_ne_u16_sdwa s28, v10, v30 src0_sel:BYTE_3 src1_sel:DWORD
	v_mov_b32_e32 v3, 0
	s_andn2_b32 s12, s12, exec_lo
	s_and_b32 s28, s28, exec_lo
	s_or_b32 s12, s12, s28
	s_or_b32 exec_lo, exec_lo, s13
	s_and_saveexec_b32 s13, s12
	s_cbranch_execnz .LBB6_4632
	s_branch .LBB6_4633
.LBB6_4895:                             ;   in Loop: Header=BB6_4561 Depth=2
	s_or_saveexec_b32 s13, s13
	v_mov_b32_e32 v2, 0x7f800001
	s_xor_b32 exec_lo, exec_lo, s13
	s_cbranch_execz .LBB6_4645
.LBB6_4896:                             ;   in Loop: Header=BB6_4561 Depth=2
	v_cmp_ne_u16_sdwa s28, v15, v30 src0_sel:BYTE_0 src1_sel:DWORD
	v_mov_b32_e32 v2, 0
	s_andn2_b32 s12, s12, exec_lo
	s_and_b32 s28, s28, exec_lo
	s_or_b32 s12, s12, s28
	s_or_b32 exec_lo, exec_lo, s13
	s_and_saveexec_b32 s13, s12
	s_cbranch_execnz .LBB6_4646
	s_branch .LBB6_4647
.LBB6_4897:                             ;   in Loop: Header=BB6_4561 Depth=2
	s_or_saveexec_b32 s13, s13
	v_mov_b32_e32 v3, 0x7f800001
	s_xor_b32 exec_lo, exec_lo, s13
	s_cbranch_execz .LBB6_4651
.LBB6_4898:                             ;   in Loop: Header=BB6_4561 Depth=2
	v_cmp_ne_u16_sdwa s28, v11, v30 src0_sel:BYTE_0 src1_sel:DWORD
	v_mov_b32_e32 v3, 0
	s_andn2_b32 s12, s12, exec_lo
	s_and_b32 s28, s28, exec_lo
	s_or_b32 s12, s12, s28
	s_or_b32 exec_lo, exec_lo, s13
	s_and_saveexec_b32 s13, s12
	s_cbranch_execnz .LBB6_4652
	s_branch .LBB6_4653
.LBB6_4899:                             ;   in Loop: Header=BB6_4561 Depth=2
	s_or_saveexec_b32 s13, s13
	v_mov_b32_e32 v2, 0x7f800001
	s_xor_b32 exec_lo, exec_lo, s13
	s_cbranch_execz .LBB6_4665
.LBB6_4900:                             ;   in Loop: Header=BB6_4561 Depth=2
	v_cmp_ne_u16_sdwa s28, v15, v30 src0_sel:BYTE_1 src1_sel:DWORD
	v_mov_b32_e32 v2, 0
	s_andn2_b32 s12, s12, exec_lo
	s_and_b32 s28, s28, exec_lo
	s_or_b32 s12, s12, s28
	s_or_b32 exec_lo, exec_lo, s13
	s_and_saveexec_b32 s13, s12
	s_cbranch_execnz .LBB6_4666
	s_branch .LBB6_4667
.LBB6_4901:                             ;   in Loop: Header=BB6_4561 Depth=2
	s_or_saveexec_b32 s13, s13
	v_mov_b32_e32 v3, 0x7f800001
	s_xor_b32 exec_lo, exec_lo, s13
	s_cbranch_execz .LBB6_4671
.LBB6_4902:                             ;   in Loop: Header=BB6_4561 Depth=2
	v_cmp_ne_u16_sdwa s28, v11, v30 src0_sel:BYTE_1 src1_sel:DWORD
	v_mov_b32_e32 v3, 0
	s_andn2_b32 s12, s12, exec_lo
	s_and_b32 s28, s28, exec_lo
	s_or_b32 s12, s12, s28
	s_or_b32 exec_lo, exec_lo, s13
	s_and_saveexec_b32 s13, s12
	s_cbranch_execnz .LBB6_4672
	s_branch .LBB6_4673
.LBB6_4903:                             ;   in Loop: Header=BB6_4561 Depth=2
	s_or_saveexec_b32 s28, s28
	v_mov_b32_e32 v2, 0x7f800001
	s_xor_b32 exec_lo, exec_lo, s28
	s_cbranch_execz .LBB6_4685
.LBB6_4904:                             ;   in Loop: Header=BB6_4561 Depth=2
	v_cmp_ne_u16_e64 s12, 0, v3
	v_mov_b32_e32 v2, 0
	s_andn2_b32 s13, s13, exec_lo
	s_and_b32 s12, s12, exec_lo
	s_or_b32 s13, s13, s12
	s_or_b32 exec_lo, exec_lo, s28
	s_and_saveexec_b32 s28, s13
	s_cbranch_execnz .LBB6_4686
	s_branch .LBB6_4687
.LBB6_4905:                             ;   in Loop: Header=BB6_4561 Depth=2
	s_or_saveexec_b32 s28, s28
	v_mov_b32_e32 v3, 0x7f800001
	s_xor_b32 exec_lo, exec_lo, s28
	s_cbranch_execz .LBB6_4691
.LBB6_4906:                             ;   in Loop: Header=BB6_4561 Depth=2
	v_cmp_ne_u16_e64 s12, 0, v34
	v_mov_b32_e32 v3, 0
	s_andn2_b32 s13, s13, exec_lo
	s_and_b32 s12, s12, exec_lo
	s_or_b32 s13, s13, s12
	s_or_b32 exec_lo, exec_lo, s28
	s_and_saveexec_b32 s28, s13
	s_cbranch_execnz .LBB6_4692
	s_branch .LBB6_4693
.LBB6_4907:                             ;   in Loop: Header=BB6_4561 Depth=2
	s_or_saveexec_b32 s13, s13
	v_mov_b32_e32 v2, 0x7f800001
	s_xor_b32 exec_lo, exec_lo, s13
	s_cbranch_execz .LBB6_4705
.LBB6_4908:                             ;   in Loop: Header=BB6_4561 Depth=2
	v_cmp_ne_u16_sdwa s28, v15, v30 src0_sel:BYTE_3 src1_sel:DWORD
	v_mov_b32_e32 v2, 0
	s_andn2_b32 s12, s12, exec_lo
	s_and_b32 s28, s28, exec_lo
	s_or_b32 s12, s12, s28
	s_or_b32 exec_lo, exec_lo, s13
	s_and_saveexec_b32 s13, s12
	s_cbranch_execnz .LBB6_4706
	s_branch .LBB6_4707
.LBB6_4909:                             ;   in Loop: Header=BB6_4561 Depth=2
	s_or_saveexec_b32 s13, s13
	v_mov_b32_e32 v3, 0x7f800001
	s_xor_b32 exec_lo, exec_lo, s13
	s_cbranch_execz .LBB6_4711
.LBB6_4910:                             ;   in Loop: Header=BB6_4561 Depth=2
	v_cmp_ne_u16_sdwa s28, v11, v30 src0_sel:BYTE_3 src1_sel:DWORD
	v_mov_b32_e32 v3, 0
	s_andn2_b32 s12, s12, exec_lo
	s_and_b32 s28, s28, exec_lo
	s_or_b32 s12, s12, s28
	s_or_b32 exec_lo, exec_lo, s13
	s_and_saveexec_b32 s13, s12
	s_cbranch_execnz .LBB6_4712
	s_branch .LBB6_4713
.LBB6_4911:                             ;   in Loop: Header=BB6_4561 Depth=2
	s_or_saveexec_b32 s13, s13
	v_mov_b32_e32 v2, 0x7f800001
	s_xor_b32 exec_lo, exec_lo, s13
	s_cbranch_execz .LBB6_4725
.LBB6_4912:                             ;   in Loop: Header=BB6_4561 Depth=2
	v_cmp_ne_u16_sdwa s28, v16, v30 src0_sel:BYTE_0 src1_sel:DWORD
	v_mov_b32_e32 v2, 0
	s_andn2_b32 s12, s12, exec_lo
	s_and_b32 s28, s28, exec_lo
	s_or_b32 s12, s12, s28
	s_or_b32 exec_lo, exec_lo, s13
	s_and_saveexec_b32 s13, s12
	s_cbranch_execnz .LBB6_4726
	s_branch .LBB6_4727
.LBB6_4913:                             ;   in Loop: Header=BB6_4561 Depth=2
	s_or_saveexec_b32 s13, s13
	v_mov_b32_e32 v3, 0x7f800001
	s_xor_b32 exec_lo, exec_lo, s13
	s_cbranch_execz .LBB6_4731
.LBB6_4914:                             ;   in Loop: Header=BB6_4561 Depth=2
	v_cmp_ne_u16_sdwa s28, v12, v30 src0_sel:BYTE_0 src1_sel:DWORD
	v_mov_b32_e32 v3, 0
	s_andn2_b32 s12, s12, exec_lo
	s_and_b32 s28, s28, exec_lo
	s_or_b32 s12, s12, s28
	s_or_b32 exec_lo, exec_lo, s13
	s_and_saveexec_b32 s13, s12
	s_cbranch_execnz .LBB6_4732
	s_branch .LBB6_4733
.LBB6_4915:                             ;   in Loop: Header=BB6_4561 Depth=2
	s_or_saveexec_b32 s13, s13
	v_mov_b32_e32 v2, 0x7f800001
	s_xor_b32 exec_lo, exec_lo, s13
	s_cbranch_execz .LBB6_4745
.LBB6_4916:                             ;   in Loop: Header=BB6_4561 Depth=2
	v_cmp_ne_u16_sdwa s28, v16, v30 src0_sel:BYTE_1 src1_sel:DWORD
	v_mov_b32_e32 v2, 0
	s_andn2_b32 s12, s12, exec_lo
	s_and_b32 s28, s28, exec_lo
	s_or_b32 s12, s12, s28
	s_or_b32 exec_lo, exec_lo, s13
	s_and_saveexec_b32 s13, s12
	s_cbranch_execnz .LBB6_4746
	s_branch .LBB6_4747
.LBB6_4917:                             ;   in Loop: Header=BB6_4561 Depth=2
	s_or_saveexec_b32 s13, s13
	v_mov_b32_e32 v3, 0x7f800001
	s_xor_b32 exec_lo, exec_lo, s13
	s_cbranch_execz .LBB6_4751
.LBB6_4918:                             ;   in Loop: Header=BB6_4561 Depth=2
	v_cmp_ne_u16_sdwa s28, v12, v30 src0_sel:BYTE_1 src1_sel:DWORD
	v_mov_b32_e32 v3, 0
	s_andn2_b32 s12, s12, exec_lo
	s_and_b32 s28, s28, exec_lo
	s_or_b32 s12, s12, s28
	s_or_b32 exec_lo, exec_lo, s13
	s_and_saveexec_b32 s13, s12
	s_cbranch_execnz .LBB6_4752
	s_branch .LBB6_4753
.LBB6_4919:                             ;   in Loop: Header=BB6_4561 Depth=2
	s_or_saveexec_b32 s28, s28
	v_mov_b32_e32 v2, 0x7f800001
	s_xor_b32 exec_lo, exec_lo, s28
	s_cbranch_execz .LBB6_4765
.LBB6_4920:                             ;   in Loop: Header=BB6_4561 Depth=2
	v_cmp_ne_u16_e64 s12, 0, v3
	v_mov_b32_e32 v2, 0
	s_andn2_b32 s13, s13, exec_lo
	s_and_b32 s12, s12, exec_lo
	s_or_b32 s13, s13, s12
	s_or_b32 exec_lo, exec_lo, s28
	s_and_saveexec_b32 s28, s13
	s_cbranch_execnz .LBB6_4766
	s_branch .LBB6_4767
.LBB6_4921:                             ;   in Loop: Header=BB6_4561 Depth=2
	s_or_saveexec_b32 s28, s28
	v_mov_b32_e32 v3, 0x7f800001
	s_xor_b32 exec_lo, exec_lo, s28
	s_cbranch_execz .LBB6_4771
.LBB6_4922:                             ;   in Loop: Header=BB6_4561 Depth=2
	v_cmp_ne_u16_e64 s12, 0, v36
	v_mov_b32_e32 v3, 0
	s_andn2_b32 s13, s13, exec_lo
	s_and_b32 s12, s12, exec_lo
	s_or_b32 s13, s13, s12
	s_or_b32 exec_lo, exec_lo, s28
	s_and_saveexec_b32 s28, s13
	s_cbranch_execnz .LBB6_4772
	s_branch .LBB6_4773
.LBB6_4923:                             ;   in Loop: Header=BB6_4561 Depth=2
	s_or_saveexec_b32 s13, s13
	v_mov_b32_e32 v2, 0x7f800001
	s_xor_b32 exec_lo, exec_lo, s13
	s_cbranch_execz .LBB6_4785
.LBB6_4924:                             ;   in Loop: Header=BB6_4561 Depth=2
	v_cmp_ne_u16_sdwa s28, v16, v30 src0_sel:BYTE_3 src1_sel:DWORD
	v_mov_b32_e32 v2, 0
	s_andn2_b32 s12, s12, exec_lo
	s_and_b32 s28, s28, exec_lo
	s_or_b32 s12, s12, s28
	s_or_b32 exec_lo, exec_lo, s13
	s_and_saveexec_b32 s13, s12
	s_cbranch_execnz .LBB6_4786
	s_branch .LBB6_4787
.LBB6_4925:                             ;   in Loop: Header=BB6_4561 Depth=2
	s_or_saveexec_b32 s13, s13
	v_mov_b32_e32 v3, 0x7f800001
	s_xor_b32 exec_lo, exec_lo, s13
	s_cbranch_execz .LBB6_4791
.LBB6_4926:                             ;   in Loop: Header=BB6_4561 Depth=2
	v_cmp_ne_u16_sdwa s28, v12, v30 src0_sel:BYTE_3 src1_sel:DWORD
	v_mov_b32_e32 v3, 0
	s_andn2_b32 s12, s12, exec_lo
	s_and_b32 s28, s28, exec_lo
	s_or_b32 s12, s12, s28
	s_or_b32 exec_lo, exec_lo, s13
	s_and_saveexec_b32 s13, s12
	s_cbranch_execnz .LBB6_4792
	s_branch .LBB6_4793
.LBB6_4927:                             ;   in Loop: Header=BB6_4561 Depth=2
	s_or_saveexec_b32 s13, s13
	v_mov_b32_e32 v2, 0x7f800001
	s_xor_b32 exec_lo, exec_lo, s13
	s_cbranch_execz .LBB6_4805
.LBB6_4928:                             ;   in Loop: Header=BB6_4561 Depth=2
	v_cmp_ne_u16_sdwa s28, v17, v30 src0_sel:BYTE_0 src1_sel:DWORD
	v_mov_b32_e32 v2, 0
	s_andn2_b32 s12, s12, exec_lo
	s_and_b32 s28, s28, exec_lo
	s_or_b32 s12, s12, s28
	s_or_b32 exec_lo, exec_lo, s13
	s_and_saveexec_b32 s13, s12
	s_cbranch_execnz .LBB6_4806
	s_branch .LBB6_4807
.LBB6_4929:                             ;   in Loop: Header=BB6_4561 Depth=2
	s_or_saveexec_b32 s13, s13
	v_mov_b32_e32 v3, 0x7f800001
	s_xor_b32 exec_lo, exec_lo, s13
	s_cbranch_execz .LBB6_4811
.LBB6_4930:                             ;   in Loop: Header=BB6_4561 Depth=2
	v_cmp_ne_u16_sdwa s28, v13, v30 src0_sel:BYTE_0 src1_sel:DWORD
	v_mov_b32_e32 v3, 0
	s_andn2_b32 s12, s12, exec_lo
	s_and_b32 s28, s28, exec_lo
	s_or_b32 s12, s12, s28
	s_or_b32 exec_lo, exec_lo, s13
	s_and_saveexec_b32 s13, s12
	s_cbranch_execnz .LBB6_4812
	s_branch .LBB6_4813
.LBB6_4931:                             ;   in Loop: Header=BB6_4561 Depth=2
	s_or_saveexec_b32 s13, s13
	v_mov_b32_e32 v2, 0x7f800001
	s_xor_b32 exec_lo, exec_lo, s13
	s_cbranch_execz .LBB6_4825
.LBB6_4932:                             ;   in Loop: Header=BB6_4561 Depth=2
	v_cmp_ne_u16_sdwa s28, v17, v30 src0_sel:BYTE_1 src1_sel:DWORD
	v_mov_b32_e32 v2, 0
	s_andn2_b32 s12, s12, exec_lo
	s_and_b32 s28, s28, exec_lo
	s_or_b32 s12, s12, s28
	s_or_b32 exec_lo, exec_lo, s13
	s_and_saveexec_b32 s13, s12
	s_cbranch_execnz .LBB6_4826
	s_branch .LBB6_4827
.LBB6_4933:                             ;   in Loop: Header=BB6_4561 Depth=2
	s_or_saveexec_b32 s13, s13
	v_mov_b32_e32 v3, 0x7f800001
	s_xor_b32 exec_lo, exec_lo, s13
	s_cbranch_execz .LBB6_4831
.LBB6_4934:                             ;   in Loop: Header=BB6_4561 Depth=2
	v_cmp_ne_u16_sdwa s28, v13, v30 src0_sel:BYTE_1 src1_sel:DWORD
	v_mov_b32_e32 v3, 0
	s_andn2_b32 s12, s12, exec_lo
	s_and_b32 s28, s28, exec_lo
	s_or_b32 s12, s12, s28
	s_or_b32 exec_lo, exec_lo, s13
	s_and_saveexec_b32 s13, s12
	s_cbranch_execnz .LBB6_4832
	s_branch .LBB6_4833
.LBB6_4935:                             ;   in Loop: Header=BB6_4561 Depth=2
	s_or_saveexec_b32 s28, s28
	v_mov_b32_e32 v2, 0x7f800001
	s_xor_b32 exec_lo, exec_lo, s28
	s_cbranch_execz .LBB6_4845
.LBB6_4936:                             ;   in Loop: Header=BB6_4561 Depth=2
	v_cmp_ne_u16_e64 s12, 0, v3
	v_mov_b32_e32 v2, 0
	s_andn2_b32 s13, s13, exec_lo
	s_and_b32 s12, s12, exec_lo
	s_or_b32 s13, s13, s12
	s_or_b32 exec_lo, exec_lo, s28
	s_and_saveexec_b32 s28, s13
	s_cbranch_execnz .LBB6_4846
	s_branch .LBB6_4847
.LBB6_4937:                             ;   in Loop: Header=BB6_4561 Depth=2
	s_or_saveexec_b32 s28, s28
	v_mov_b32_e32 v3, 0x7f800001
	s_xor_b32 exec_lo, exec_lo, s28
	s_cbranch_execz .LBB6_4851
.LBB6_4938:                             ;   in Loop: Header=BB6_4561 Depth=2
	v_cmp_ne_u16_e64 s12, 0, v38
	v_mov_b32_e32 v3, 0
	s_andn2_b32 s13, s13, exec_lo
	s_and_b32 s12, s12, exec_lo
	s_or_b32 s13, s13, s12
	s_or_b32 exec_lo, exec_lo, s28
	s_and_saveexec_b32 s28, s13
	s_cbranch_execnz .LBB6_4852
	s_branch .LBB6_4853
.LBB6_4939:                             ;   in Loop: Header=BB6_4561 Depth=2
	s_or_saveexec_b32 s13, s13
	v_mov_b32_e32 v3, 0x7f800001
	s_xor_b32 exec_lo, exec_lo, s13
	s_cbranch_execz .LBB6_4865
.LBB6_4940:                             ;   in Loop: Header=BB6_4561 Depth=2
	v_cmp_ne_u16_sdwa s28, v17, v30 src0_sel:BYTE_3 src1_sel:DWORD
	v_mov_b32_e32 v3, 0
	s_andn2_b32 s12, s12, exec_lo
	s_and_b32 s28, s28, exec_lo
	s_or_b32 s12, s12, s28
	s_or_b32 exec_lo, exec_lo, s13
	s_and_saveexec_b32 s13, s12
	s_cbranch_execnz .LBB6_4866
	s_branch .LBB6_4867
.LBB6_4941:                             ;   in Loop: Header=BB6_4561 Depth=2
	s_or_saveexec_b32 s13, s13
	v_mov_b32_e32 v17, 0x7f800001
	s_xor_b32 exec_lo, exec_lo, s13
	s_cbranch_execz .LBB6_4871
.LBB6_4942:                             ;   in Loop: Header=BB6_4561 Depth=2
	v_cmp_ne_u16_sdwa s28, v13, v30 src0_sel:BYTE_3 src1_sel:DWORD
	v_mov_b32_e32 v17, 0
	s_andn2_b32 s12, s12, exec_lo
	s_and_b32 s28, s28, exec_lo
	s_or_b32 s12, s12, s28
	s_or_b32 exec_lo, exec_lo, s13
	s_and_saveexec_b32 s13, s12
	s_cbranch_execnz .LBB6_4872
	s_branch .LBB6_4873
.LBB6_4943:                             ;   in Loop: Header=BB6_2943 Depth=1
	s_or_b32 exec_lo, exec_lo, s27
.LBB6_4944:                             ;   in Loop: Header=BB6_2943 Depth=1
	s_or_b32 exec_lo, exec_lo, s26
	v_and_b32_e32 v2, 15, v59
	v_mov_b32_e32 v16, 0
	s_mov_b32 s13, 0
	s_mov_b32 s26, exec_lo
                                        ; implicit-def: $vgpr18
	v_cndmask_b32_e32 v17, v26, v2, vcc_lo
                                        ; implicit-def: $vgpr2
	v_cmpx_ne_u32_e32 0, v17
	s_cbranch_execz .LBB6_4946
; %bb.4945:                             ;   in Loop: Header=BB6_2943 Depth=1
	v_cmp_lt_i32_e64 s12, 0, v25
	v_and_b32_e32 v3, 0x1f0, v59
	s_mov_b32 s13, exec_lo
	v_cndmask_b32_e64 v2, 0, v87, s12
	v_cndmask_b32_e32 v3, 0, v3, vcc_lo
	v_sub_nc_u32_e32 v2, v2, v25
	v_and_or_b32 v16, 0x3ffffe00, v59, v3
	v_lshl_add_u32 v18, v2, 5, v24
	v_ashrrev_i32_e32 v2, 31, v18
	v_lshrrev_b32_e32 v2, 27, v2
	v_add_nc_u32_e32 v2, v18, v2
	v_ashrrev_i32_e32 v2, 5, v2
.LBB6_4946:                             ;   in Loop: Header=BB6_2943 Depth=1
	s_or_b32 exec_lo, exec_lo, s26
	s_and_b32 s12, s13, exec_lo
.LBB6_4947:                             ;   in Loop: Header=BB6_2943 Depth=1
	s_or_b32 exec_lo, exec_lo, s25
	s_and_saveexec_b32 s13, s12
	s_cbranch_execz .LBB6_5748
.LBB6_4948:                             ;   in Loop: Header=BB6_2943 Depth=1
	v_lshrrev_b32_e32 v3, 10, v17
	s_mov_b32 s25, exec_lo
	v_sub_nc_u32_e32 v19, v3, v2
	v_ashrrev_i32_e32 v3, 31, v18
	v_lshrrev_b32_e32 v20, 27, v3
	v_cmpx_lt_i32_e32 0, v19
	s_cbranch_execz .LBB6_5720
; %bb.4949:                             ;   in Loop: Header=BB6_2943 Depth=1
	v_add_nc_u32_e32 v3, v18, v20
	v_lshlrev_b32_e32 v11, 10, v2
	s_trap 2
	v_add_co_u32 v21, vcc_lo, 0x3e0, v96
	v_and_b32_e32 v10, 0xffffffe0, v3
	ds_read_b64 v[2:3], v0
	v_add_co_ci_u32_e64 v22, null, 0, v97, vcc_lo
	s_mov_b32 s26, 0
	v_sub_nc_u32_e32 v10, v18, v10
	v_add3_u32 v14, v16, v10, v11
	v_ashrrev_i32_e32 v15, 31, v14
	v_add_co_u32 v10, vcc_lo, v14, v85
	v_add_co_ci_u32_e64 v11, null, v15, v86, vcc_lo
	s_waitcnt lgkmcnt(0)
	v_add_co_u32 v12, vcc_lo, v2, v14
	v_add_co_ci_u32_e64 v13, null, v3, v15, vcc_lo
	v_add_co_u32 v14, vcc_lo, v21, v14
	v_add_co_ci_u32_e64 v15, null, v22, v15, vcc_lo
	s_branch .LBB6_4953
.LBB6_4950:                             ;   in Loop: Header=BB6_4953 Depth=2
	s_or_b32 exec_lo, exec_lo, s12
	v_lshrrev_b32_e32 v21, 20, v21
	v_cmp_gt_i32_e32 vcc_lo, 16, v2
	v_min_i32_e32 v22, 15, v2
	v_and_b32_sdwa v3, v3, v119 dst_sel:DWORD dst_unused:UNUSED_PAD src0_sel:BYTE_3 src1_sel:DWORD
	v_cndmask_b32_e32 v21, 7, v21, vcc_lo
	v_lshlrev_b32_e32 v22, 3, v22
	v_and_b32_e32 v25, 7, v21
	v_or_b32_e32 v2, v2, v21
	v_or3_b32 v3, v22, v3, v25
	v_cmp_ne_u32_e32 vcc_lo, 0, v2
	v_cndmask_b32_e32 v2, 0, v3, vcc_lo
.LBB6_4951:                             ;   in Loop: Header=BB6_4953 Depth=2
	s_or_b32 exec_lo, exec_lo, s28
.LBB6_4952:                             ;   in Loop: Header=BB6_4953 Depth=2
	s_or_b32 exec_lo, exec_lo, s27
	v_add_co_u32 v21, vcc_lo, 0xfffffc20, v14
	v_add_co_ci_u32_e64 v22, null, -1, v15, vcc_lo
	v_sub_nc_u32_e32 v19, v19, v87
	flat_store_byte v[21:22], v23 glc slc
	v_add_co_u32 v21, vcc_lo, 0xfffffc40, v14
	v_add_co_ci_u32_e64 v22, null, -1, v15, vcc_lo
	v_add_co_u32 v93, vcc_lo, 0xfffffc60, v14
	v_add_co_ci_u32_e64 v94, null, -1, v15, vcc_lo
	v_add_co_u32 v103, vcc_lo, 0xfffffc80, v14
	v_add_co_ci_u32_e64 v104, null, -1, v15, vcc_lo
	v_add_co_u32 v105, vcc_lo, 0xfffffca0, v14
	v_add_co_ci_u32_e64 v106, null, -1, v15, vcc_lo
	v_add_co_u32 v107, vcc_lo, 0xfffffcc0, v14
	v_add_co_ci_u32_e64 v108, null, -1, v15, vcc_lo
	flat_store_byte v[21:22], v26 glc slc
	flat_store_byte v[93:94], v32 glc slc
	flat_store_byte v[103:104], v36 glc slc
	flat_store_byte v[105:106], v39 glc slc
	flat_store_byte v[107:108], v50 glc slc
	v_add_co_u32 v21, vcc_lo, 0xfffffce0, v14
	v_add_co_ci_u32_e64 v22, null, -1, v15, vcc_lo
	v_add_co_u32 v25, vcc_lo, 0xfffffd00, v14
	v_add_co_ci_u32_e64 v26, null, -1, v15, vcc_lo
	v_add_co_u32 v32, vcc_lo, 0xfffffd20, v14
	v_add_co_ci_u32_e64 v33, null, -1, v15, vcc_lo
	v_add_co_u32 v35, vcc_lo, 0xfffffd40, v14
	v_add_co_ci_u32_e64 v36, null, -1, v15, vcc_lo
	v_add_co_u32 v38, vcc_lo, 0xfffffd60, v14
	v_add_co_ci_u32_e64 v39, null, -1, v15, vcc_lo
	flat_store_byte v[21:22], v86 glc slc
	flat_store_byte v[25:26], v98 glc slc
	flat_store_byte v[32:33], v101 glc slc
	flat_store_byte v[35:36], v60 glc slc
	;; [unrolled: 15-line block ×5, first 2 shown]
	flat_store_byte v[38:39], v48 glc slc
	v_add_co_u32 v21, vcc_lo, 0xffffff60, v14
	v_add_co_ci_u32_e64 v22, null, -1, v15, vcc_lo
	v_add_co_u32 v25, vcc_lo, 0xffffff80, v14
	v_add_co_ci_u32_e64 v26, null, -1, v15, vcc_lo
	;; [unrolled: 2-line block ×5, first 2 shown]
	v_add_co_u32 v10, vcc_lo, v10, v45
	v_add_co_ci_u32_e64 v11, null, 0, v11, vcc_lo
	v_add_co_u32 v12, vcc_lo, v12, v45
	flat_store_byte v[21:22], v37 glc slc
	flat_store_byte v[25:26], v34 glc slc
	;; [unrolled: 1-line block ×6, first 2 shown]
	v_add_co_ci_u32_e64 v13, null, 0, v13, vcc_lo
	v_cmp_gt_i32_e32 vcc_lo, 1, v19
	v_add_co_u32 v14, s12, v14, v45
	v_add_co_ci_u32_e64 v15, null, 0, v15, s12
	s_or_b32 s26, vcc_lo, s26
	s_andn2_b32 exec_lo, exec_lo, s26
	s_cbranch_execz .LBB6_5719
.LBB6_4953:                             ;   Parent Loop BB6_2943 Depth=1
                                        ; =>  This Inner Loop Header: Depth=2
	s_clause 0x1f
	flat_load_ubyte v3, v[10:11] slc
	flat_load_ubyte v123, v[10:11] offset:32 slc
	flat_load_ubyte v122, v[10:11] offset:64 slc
	;; [unrolled: 1-line block ×31, first 2 shown]
	s_clause 0x1f
	flat_load_ubyte v2, v[12:13] slc
	flat_load_ubyte v26, v[12:13] offset:32 slc
	flat_load_ubyte v32, v[12:13] offset:64 slc
	flat_load_ubyte v36, v[12:13] offset:96 slc
	flat_load_ubyte v39, v[12:13] offset:128 slc
	flat_load_ubyte v50, v[12:13] offset:160 slc
	flat_load_ubyte v86, v[12:13] offset:192 slc
	flat_load_ubyte v98, v[12:13] offset:224 slc
	flat_load_ubyte v101, v[12:13] offset:256 slc
	flat_load_ubyte v60, v[12:13] offset:288 slc
	flat_load_ubyte v63, v[12:13] offset:320 slc
	flat_load_ubyte v73, v[12:13] offset:352 slc
	flat_load_ubyte v76, v[12:13] offset:384 slc
	flat_load_ubyte v79, v[12:13] offset:416 slc
	flat_load_ubyte v90, v[12:13] offset:448 slc
	flat_load_ubyte v92, v[12:13] offset:480 slc
	flat_load_ubyte v89, v[12:13] offset:512 slc
	flat_load_ubyte v78, v[12:13] offset:544 slc
	flat_load_ubyte v75, v[12:13] offset:576 slc
	flat_load_ubyte v72, v[12:13] offset:608 slc
	flat_load_ubyte v61, v[12:13] offset:640 slc
	flat_load_ubyte v102, v[12:13] offset:672 slc
	flat_load_ubyte v99, v[12:13] offset:704 slc
	flat_load_ubyte v96, v[12:13] offset:736 slc
	flat_load_ubyte v51, v[12:13] offset:768 slc
	flat_load_ubyte v48, v[12:13] offset:800 slc
	flat_load_ubyte v37, v[12:13] offset:832 slc
	flat_load_ubyte v34, v[12:13] offset:864 slc
	flat_load_ubyte v29, v[12:13] offset:896 slc
	flat_load_ubyte v27, v[12:13] offset:928 slc
	flat_load_ubyte v24, v[12:13] offset:960 slc
	flat_load_ubyte v21, v[12:13] offset:992 slc
	s_mov_b32 s27, 0
	s_mov_b32 s12, exec_lo
	s_waitcnt vmcnt(62) lgkmcnt(62)
	v_cmpx_lt_i16_e32 0x7f, v3
	s_xor_b32 s12, exec_lo, s12
	s_cbranch_execz .LBB6_5591
; %bb.4954:                             ;   in Loop: Header=BB6_4953 Depth=2
	s_mov_b32 s27, -1
	s_mov_b32 s28, exec_lo
	v_cmpx_eq_u16_e32 0x80, v3
; %bb.4955:                             ;   in Loop: Header=BB6_4953 Depth=2
	s_xor_b32 s27, exec_lo, -1
; %bb.4956:                             ;   in Loop: Header=BB6_4953 Depth=2
	s_or_b32 exec_lo, exec_lo, s28
	s_and_b32 s27, s27, exec_lo
	s_or_saveexec_b32 s12, s12
	v_mov_b32_e32 v23, 0x7f800001
	s_xor_b32 exec_lo, exec_lo, s12
	s_cbranch_execnz .LBB6_5592
.LBB6_4957:                             ;   in Loop: Header=BB6_4953 Depth=2
	s_or_b32 exec_lo, exec_lo, s12
	s_and_saveexec_b32 s12, s27
	s_cbranch_execz .LBB6_4959
.LBB6_4958:                             ;   in Loop: Header=BB6_4953 Depth=2
	v_and_b32_e32 v23, 0xffff, v3
	v_lshlrev_b32_e32 v3, 24, v3
	v_and_b32_e32 v113, 7, v23
	v_bfe_u32 v125, v23, 3, 4
	v_and_b32_e32 v3, 0x80000000, v3
	v_ffbh_u32_e32 v116, v113
	v_cmp_eq_u32_e32 vcc_lo, 0, v125
	v_min_u32_e32 v116, 32, v116
	v_subrev_nc_u32_e32 v124, 28, v116
	v_sub_nc_u32_e32 v116, 29, v116
	v_lshlrev_b32_e32 v23, v124, v23
	v_cndmask_b32_e32 v116, v125, v116, vcc_lo
	v_and_b32_e32 v23, 7, v23
	v_cndmask_b32_e32 v23, v113, v23, vcc_lo
	v_lshl_add_u32 v113, v116, 23, 0x3b800000
	v_lshlrev_b32_e32 v23, 20, v23
	v_or3_b32 v23, v3, v113, v23
.LBB6_4959:                             ;   in Loop: Header=BB6_4953 Depth=2
	s_or_b32 exec_lo, exec_lo, s12
	s_waitcnt vmcnt(31) lgkmcnt(31)
	v_cmp_gt_i16_sdwa s12, v2, v115 src0_sel:BYTE_0 src1_sel:DWORD
	s_mov_b32 s27, 0
	s_and_saveexec_b32 s28, s12
	s_xor_b32 s12, exec_lo, s28
	s_cbranch_execz .LBB6_5593
; %bb.4960:                             ;   in Loop: Header=BB6_4953 Depth=2
	v_cmp_eq_u16_sdwa s29, v2, v119 src0_sel:BYTE_0 src1_sel:DWORD
	s_mov_b32 s27, -1
	s_and_saveexec_b32 s28, s29
; %bb.4961:                             ;   in Loop: Header=BB6_4953 Depth=2
	s_xor_b32 s27, exec_lo, -1
; %bb.4962:                             ;   in Loop: Header=BB6_4953 Depth=2
	s_or_b32 exec_lo, exec_lo, s28
	s_and_b32 s27, s27, exec_lo
	s_or_saveexec_b32 s12, s12
	v_mov_b32_e32 v3, 0x7f800001
	s_xor_b32 exec_lo, exec_lo, s12
	s_cbranch_execnz .LBB6_5594
.LBB6_4963:                             ;   in Loop: Header=BB6_4953 Depth=2
	s_or_b32 exec_lo, exec_lo, s12
	s_and_saveexec_b32 s12, s27
	s_cbranch_execz .LBB6_4965
.LBB6_4964:                             ;   in Loop: Header=BB6_4953 Depth=2
	v_and_b32_e32 v3, 7, v2
	v_lshrrev_b16 v116, 3, v2
	v_ffbh_u32_e32 v113, v3
	v_and_b32_e32 v116, 15, v116
	v_min_u32_e32 v113, 32, v113
	v_cmp_eq_u32_e32 vcc_lo, 0, v116
	v_subrev_nc_u32_e32 v124, 28, v113
	v_sub_nc_u32_e32 v113, 29, v113
	v_lshlrev_b32_e32 v124, v124, v2
	v_lshlrev_b32_e32 v2, 24, v2
	v_cndmask_b32_e32 v113, v116, v113, vcc_lo
	v_and_b32_e32 v124, 7, v124
	v_and_b32_e32 v2, 0x80000000, v2
	v_lshl_add_u32 v113, v113, 23, 0x3b800000
	v_cndmask_b32_e32 v3, v3, v124, vcc_lo
	v_lshlrev_b32_e32 v3, 20, v3
	v_or3_b32 v3, v2, v113, v3
.LBB6_4965:                             ;   in Loop: Header=BB6_4953 Depth=2
	s_or_b32 exec_lo, exec_lo, s12
	v_add_f32_e32 v2, v23, v3
	v_mov_b32_e32 v23, 0x80
	s_mov_b32 s27, exec_lo
	v_and_b32_e32 v3, 0x7f800000, v2
	v_cmpx_ne_u32_e32 0x7f800000, v3
	s_cbranch_execz .LBB6_4973
; %bb.4966:                             ;   in Loop: Header=BB6_4953 Depth=2
	v_mov_b32_e32 v23, 0
	s_mov_b32 s28, exec_lo
	v_cmpx_ne_u32_e32 0, v2
	s_cbranch_execz .LBB6_4972
; %bb.4967:                             ;   in Loop: Header=BB6_4953 Depth=2
	v_bfe_u32 v23, v2, 23, 8
	v_and_b32_e32 v3, 0x7fffff, v2
                                        ; implicit-def: $vgpr125
	v_cmp_gt_u32_e64 s12, 0x79, v23
	v_sub_nc_u32_e32 v113, 0x78, v23
	v_cmp_eq_u32_e32 vcc_lo, 0, v23
	v_or_b32_e32 v116, 0x800000, v3
	v_cndmask_b32_e64 v113, 0, v113, s12
	v_cndmask_b32_e32 v3, v116, v3, vcc_lo
	v_cndmask_b32_e64 v113, v113, 0x77, vcc_lo
	v_lshl_add_u32 v116, 0x100000, v113, -1
	v_lshlrev_b32_e64 v124, v113, 0x80000
	v_and_b32_e32 v116, v116, v3
	v_cmp_eq_u32_e64 s12, v116, v124
	v_lshrrev_b32_e32 v116, v113, v3
	v_add_nc_u32_e32 v3, 0xffffff89, v23
	v_lshrrev_b32_e32 v23, 23, v116
	v_cndmask_b32_e64 v3, v3, 0xffffff8a, vcc_lo
	v_xor_b32_e32 v23, 1, v23
	v_add_nc_u32_e32 v3, v113, v3
	v_bfe_u32 v113, v116, 20, 1
	v_add_nc_u32_e32 v113, -1, v113
	v_cndmask_b32_e64 v113, 0, v113, s12
	s_mov_b32 s12, exec_lo
	v_add_nc_u32_e32 v113, v113, v116
	v_and_b32_e32 v113, 0xfffff, v113
	v_add_nc_u32_e32 v124, v113, v116
	v_cmpx_ne_u32_e64 v3, v23
	s_xor_b32 s12, exec_lo, s12
; %bb.4968:                             ;   in Loop: Header=BB6_4953 Depth=2
	v_cmp_lt_u32_e32 vcc_lo, 0xffffff, v124
	v_sub_nc_u32_e32 v3, v3, v23
	v_cndmask_b32_e64 v23, 0, 1, vcc_lo
	v_add_co_ci_u32_e64 v125, null, 0, v3, vcc_lo
	v_lshrrev_b32_e32 v124, v23, v124
; %bb.4969:                             ;   in Loop: Header=BB6_4953 Depth=2
	s_andn2_saveexec_b32 s12, s12
; %bb.4970:                             ;   in Loop: Header=BB6_4953 Depth=2
	v_bfe_u32 v125, v124, 23, 1
; %bb.4971:                             ;   in Loop: Header=BB6_4953 Depth=2
	s_or_b32 exec_lo, exec_lo, s12
	v_lshrrev_b32_e32 v3, 20, v124
	v_cmp_gt_i32_e32 vcc_lo, 16, v125
	v_min_i32_e32 v23, 15, v125
	v_and_b32_sdwa v2, v2, v119 dst_sel:DWORD dst_unused:UNUSED_PAD src0_sel:BYTE_3 src1_sel:DWORD
	v_cndmask_b32_e32 v3, 7, v3, vcc_lo
	v_lshlrev_b32_e32 v23, 3, v23
	v_or_b32_e32 v113, v125, v3
	v_and_b32_e32 v3, 7, v3
	v_cmp_ne_u32_e32 vcc_lo, 0, v113
	v_or3_b32 v2, v23, v2, v3
	v_cndmask_b32_e32 v23, 0, v2, vcc_lo
.LBB6_4972:                             ;   in Loop: Header=BB6_4953 Depth=2
	s_or_b32 exec_lo, exec_lo, s28
.LBB6_4973:                             ;   in Loop: Header=BB6_4953 Depth=2
	s_or_b32 exec_lo, exec_lo, s27
	v_cmp_gt_i16_sdwa s27, v123, v115 src0_sel:BYTE_0 src1_sel:DWORD
	s_mov_b32 s12, 0
	s_and_saveexec_b32 s28, s27
	s_xor_b32 s27, exec_lo, s28
	s_cbranch_execz .LBB6_5595
; %bb.4974:                             ;   in Loop: Header=BB6_4953 Depth=2
	v_cmp_eq_u16_sdwa s29, v123, v119 src0_sel:BYTE_0 src1_sel:DWORD
	s_mov_b32 s12, -1
	s_and_saveexec_b32 s28, s29
; %bb.4975:                             ;   in Loop: Header=BB6_4953 Depth=2
	s_xor_b32 s12, exec_lo, -1
; %bb.4976:                             ;   in Loop: Header=BB6_4953 Depth=2
	s_or_b32 exec_lo, exec_lo, s28
	s_and_b32 s12, s12, exec_lo
	s_or_saveexec_b32 s27, s27
	v_mov_b32_e32 v2, 0x7f800001
	s_xor_b32 exec_lo, exec_lo, s27
	s_cbranch_execnz .LBB6_5596
.LBB6_4977:                             ;   in Loop: Header=BB6_4953 Depth=2
	s_or_b32 exec_lo, exec_lo, s27
	s_and_saveexec_b32 s27, s12
	s_cbranch_execz .LBB6_4979
.LBB6_4978:                             ;   in Loop: Header=BB6_4953 Depth=2
	v_and_b32_e32 v2, 7, v123
	v_lshrrev_b16 v113, 3, v123
	v_ffbh_u32_e32 v3, v2
	v_and_b32_e32 v113, 15, v113
	v_min_u32_e32 v3, 32, v3
	v_cmp_eq_u32_e32 vcc_lo, 0, v113
	v_subrev_nc_u32_e32 v116, 28, v3
	v_sub_nc_u32_e32 v3, 29, v3
	v_lshlrev_b32_e32 v116, v116, v123
	v_lshlrev_b32_e32 v123, 24, v123
	v_cndmask_b32_e32 v3, v113, v3, vcc_lo
	v_and_b32_e32 v116, 7, v116
	v_and_b32_e32 v113, 0x80000000, v123
	v_lshl_add_u32 v3, v3, 23, 0x3b800000
	v_cndmask_b32_e32 v2, v2, v116, vcc_lo
	v_lshlrev_b32_e32 v2, 20, v2
	v_or3_b32 v2, v113, v3, v2
.LBB6_4979:                             ;   in Loop: Header=BB6_4953 Depth=2
	s_or_b32 exec_lo, exec_lo, s27
	s_waitcnt vmcnt(30) lgkmcnt(30)
	v_cmp_gt_i16_sdwa s27, v26, v115 src0_sel:BYTE_0 src1_sel:DWORD
	s_mov_b32 s12, 0
	s_and_saveexec_b32 s28, s27
	s_xor_b32 s27, exec_lo, s28
	s_cbranch_execz .LBB6_5597
; %bb.4980:                             ;   in Loop: Header=BB6_4953 Depth=2
	v_cmp_eq_u16_sdwa s29, v26, v119 src0_sel:BYTE_0 src1_sel:DWORD
	s_mov_b32 s12, -1
	s_and_saveexec_b32 s28, s29
; %bb.4981:                             ;   in Loop: Header=BB6_4953 Depth=2
	s_xor_b32 s12, exec_lo, -1
; %bb.4982:                             ;   in Loop: Header=BB6_4953 Depth=2
	s_or_b32 exec_lo, exec_lo, s28
	s_and_b32 s12, s12, exec_lo
	s_or_saveexec_b32 s27, s27
	v_mov_b32_e32 v3, 0x7f800001
	s_xor_b32 exec_lo, exec_lo, s27
	s_cbranch_execnz .LBB6_5598
.LBB6_4983:                             ;   in Loop: Header=BB6_4953 Depth=2
	s_or_b32 exec_lo, exec_lo, s27
	s_and_saveexec_b32 s27, s12
	s_cbranch_execz .LBB6_4985
.LBB6_4984:                             ;   in Loop: Header=BB6_4953 Depth=2
	v_and_b32_e32 v3, 7, v26
	v_lshrrev_b16 v116, 3, v26
	v_ffbh_u32_e32 v113, v3
	v_and_b32_e32 v116, 15, v116
	v_min_u32_e32 v113, 32, v113
	v_cmp_eq_u32_e32 vcc_lo, 0, v116
	v_subrev_nc_u32_e32 v123, 28, v113
	v_sub_nc_u32_e32 v113, 29, v113
	v_lshlrev_b32_e32 v123, v123, v26
	v_lshlrev_b32_e32 v26, 24, v26
	v_cndmask_b32_e32 v113, v116, v113, vcc_lo
	v_and_b32_e32 v123, 7, v123
	v_and_b32_e32 v26, 0x80000000, v26
	v_lshl_add_u32 v113, v113, 23, 0x3b800000
	v_cndmask_b32_e32 v3, v3, v123, vcc_lo
	v_lshlrev_b32_e32 v3, 20, v3
	v_or3_b32 v3, v26, v113, v3
.LBB6_4985:                             ;   in Loop: Header=BB6_4953 Depth=2
	s_or_b32 exec_lo, exec_lo, s27
	v_add_f32_e32 v2, v2, v3
	v_mov_b32_e32 v26, 0x80
	s_mov_b32 s27, exec_lo
	v_and_b32_e32 v3, 0x7f800000, v2
	v_cmpx_ne_u32_e32 0x7f800000, v3
	s_cbranch_execz .LBB6_4993
; %bb.4986:                             ;   in Loop: Header=BB6_4953 Depth=2
	v_mov_b32_e32 v26, 0
	s_mov_b32 s28, exec_lo
	v_cmpx_ne_u32_e32 0, v2
	s_cbranch_execz .LBB6_4992
; %bb.4987:                             ;   in Loop: Header=BB6_4953 Depth=2
	v_bfe_u32 v26, v2, 23, 8
	v_and_b32_e32 v3, 0x7fffff, v2
	v_cmp_gt_u32_e64 s12, 0x79, v26
	v_sub_nc_u32_e32 v113, 0x78, v26
	v_cmp_eq_u32_e32 vcc_lo, 0, v26
	v_or_b32_e32 v116, 0x800000, v3
	v_cndmask_b32_e64 v113, 0, v113, s12
	v_cndmask_b32_e32 v3, v116, v3, vcc_lo
	v_cndmask_b32_e64 v113, v113, 0x77, vcc_lo
	v_lshl_add_u32 v116, 0x100000, v113, -1
	v_lshlrev_b32_e64 v123, v113, 0x80000
	v_and_b32_e32 v116, v116, v3
	v_cmp_eq_u32_e64 s12, v116, v123
	v_lshrrev_b32_e32 v116, v113, v3
	v_add_nc_u32_e32 v3, 0xffffff89, v26
	v_lshrrev_b32_e32 v26, 23, v116
	v_cndmask_b32_e64 v3, v3, 0xffffff8a, vcc_lo
	v_xor_b32_e32 v26, 1, v26
	v_add_nc_u32_e32 v3, v113, v3
	v_bfe_u32 v113, v116, 20, 1
	v_add_nc_u32_e32 v113, -1, v113
	v_cndmask_b32_e64 v113, 0, v113, s12
	s_mov_b32 s12, exec_lo
	v_add_nc_u32_e32 v113, v113, v116
	v_and_b32_e32 v113, 0xfffff, v113
	v_add_nc_u32_e32 v116, v113, v116
                                        ; implicit-def: $vgpr113
	v_cmpx_ne_u32_e64 v3, v26
	s_xor_b32 s12, exec_lo, s12
; %bb.4988:                             ;   in Loop: Header=BB6_4953 Depth=2
	v_cmp_lt_u32_e32 vcc_lo, 0xffffff, v116
	v_sub_nc_u32_e32 v3, v3, v26
	v_cndmask_b32_e64 v26, 0, 1, vcc_lo
	v_add_co_ci_u32_e64 v113, null, 0, v3, vcc_lo
	v_lshrrev_b32_e32 v116, v26, v116
; %bb.4989:                             ;   in Loop: Header=BB6_4953 Depth=2
	s_andn2_saveexec_b32 s12, s12
; %bb.4990:                             ;   in Loop: Header=BB6_4953 Depth=2
	v_bfe_u32 v113, v116, 23, 1
; %bb.4991:                             ;   in Loop: Header=BB6_4953 Depth=2
	s_or_b32 exec_lo, exec_lo, s12
	v_lshrrev_b32_e32 v3, 20, v116
	v_cmp_gt_i32_e32 vcc_lo, 16, v113
	v_min_i32_e32 v26, 15, v113
	v_and_b32_sdwa v2, v2, v119 dst_sel:DWORD dst_unused:UNUSED_PAD src0_sel:BYTE_3 src1_sel:DWORD
	v_cndmask_b32_e32 v3, 7, v3, vcc_lo
	v_lshlrev_b32_e32 v26, 3, v26
	v_and_b32_e32 v116, 7, v3
	v_or_b32_e32 v3, v113, v3
	v_or3_b32 v2, v26, v2, v116
	v_cmp_ne_u32_e32 vcc_lo, 0, v3
	v_cndmask_b32_e32 v26, 0, v2, vcc_lo
.LBB6_4992:                             ;   in Loop: Header=BB6_4953 Depth=2
	s_or_b32 exec_lo, exec_lo, s28
.LBB6_4993:                             ;   in Loop: Header=BB6_4953 Depth=2
	s_or_b32 exec_lo, exec_lo, s27
	v_cmp_gt_i16_sdwa s27, v122, v115 src0_sel:BYTE_0 src1_sel:DWORD
	s_mov_b32 s12, 0
	s_and_saveexec_b32 s28, s27
	s_xor_b32 s27, exec_lo, s28
	s_cbranch_execz .LBB6_5599
; %bb.4994:                             ;   in Loop: Header=BB6_4953 Depth=2
	v_cmp_eq_u16_sdwa s29, v122, v119 src0_sel:BYTE_0 src1_sel:DWORD
	s_mov_b32 s12, -1
	s_and_saveexec_b32 s28, s29
; %bb.4995:                             ;   in Loop: Header=BB6_4953 Depth=2
	s_xor_b32 s12, exec_lo, -1
; %bb.4996:                             ;   in Loop: Header=BB6_4953 Depth=2
	s_or_b32 exec_lo, exec_lo, s28
	s_and_b32 s12, s12, exec_lo
	s_or_saveexec_b32 s27, s27
	v_mov_b32_e32 v2, 0x7f800001
	s_xor_b32 exec_lo, exec_lo, s27
	s_cbranch_execnz .LBB6_5600
.LBB6_4997:                             ;   in Loop: Header=BB6_4953 Depth=2
	s_or_b32 exec_lo, exec_lo, s27
	s_and_saveexec_b32 s27, s12
	s_cbranch_execz .LBB6_4999
.LBB6_4998:                             ;   in Loop: Header=BB6_4953 Depth=2
	v_and_b32_e32 v2, 7, v122
	v_lshrrev_b16 v113, 3, v122
	v_ffbh_u32_e32 v3, v2
	v_and_b32_e32 v113, 15, v113
	v_min_u32_e32 v3, 32, v3
	v_cmp_eq_u32_e32 vcc_lo, 0, v113
	v_subrev_nc_u32_e32 v116, 28, v3
	v_sub_nc_u32_e32 v3, 29, v3
	v_lshlrev_b32_e32 v116, v116, v122
	v_lshlrev_b32_e32 v122, 24, v122
	v_cndmask_b32_e32 v3, v113, v3, vcc_lo
	v_and_b32_e32 v116, 7, v116
	v_and_b32_e32 v113, 0x80000000, v122
	v_lshl_add_u32 v3, v3, 23, 0x3b800000
	v_cndmask_b32_e32 v2, v2, v116, vcc_lo
	v_lshlrev_b32_e32 v2, 20, v2
	v_or3_b32 v2, v113, v3, v2
.LBB6_4999:                             ;   in Loop: Header=BB6_4953 Depth=2
	s_or_b32 exec_lo, exec_lo, s27
	s_waitcnt vmcnt(29) lgkmcnt(29)
	v_cmp_gt_i16_sdwa s27, v32, v115 src0_sel:BYTE_0 src1_sel:DWORD
	s_mov_b32 s12, 0
	s_and_saveexec_b32 s28, s27
	s_xor_b32 s27, exec_lo, s28
	s_cbranch_execz .LBB6_5601
; %bb.5000:                             ;   in Loop: Header=BB6_4953 Depth=2
	v_cmp_eq_u16_sdwa s29, v32, v119 src0_sel:BYTE_0 src1_sel:DWORD
	s_mov_b32 s12, -1
	s_and_saveexec_b32 s28, s29
; %bb.5001:                             ;   in Loop: Header=BB6_4953 Depth=2
	s_xor_b32 s12, exec_lo, -1
; %bb.5002:                             ;   in Loop: Header=BB6_4953 Depth=2
	s_or_b32 exec_lo, exec_lo, s28
	s_and_b32 s12, s12, exec_lo
	s_or_saveexec_b32 s27, s27
	v_mov_b32_e32 v3, 0x7f800001
	s_xor_b32 exec_lo, exec_lo, s27
	s_cbranch_execnz .LBB6_5602
.LBB6_5003:                             ;   in Loop: Header=BB6_4953 Depth=2
	s_or_b32 exec_lo, exec_lo, s27
	s_and_saveexec_b32 s27, s12
	s_cbranch_execz .LBB6_5005
.LBB6_5004:                             ;   in Loop: Header=BB6_4953 Depth=2
	v_and_b32_e32 v3, 7, v32
	v_lshrrev_b16 v116, 3, v32
	v_ffbh_u32_e32 v113, v3
	v_and_b32_e32 v116, 15, v116
	v_min_u32_e32 v113, 32, v113
	v_cmp_eq_u32_e32 vcc_lo, 0, v116
	v_subrev_nc_u32_e32 v122, 28, v113
	v_sub_nc_u32_e32 v113, 29, v113
	v_lshlrev_b32_e32 v122, v122, v32
	v_lshlrev_b32_e32 v32, 24, v32
	v_cndmask_b32_e32 v113, v116, v113, vcc_lo
	v_and_b32_e32 v122, 7, v122
	v_and_b32_e32 v32, 0x80000000, v32
	v_lshl_add_u32 v113, v113, 23, 0x3b800000
	v_cndmask_b32_e32 v3, v3, v122, vcc_lo
	v_lshlrev_b32_e32 v3, 20, v3
	v_or3_b32 v3, v32, v113, v3
.LBB6_5005:                             ;   in Loop: Header=BB6_4953 Depth=2
	s_or_b32 exec_lo, exec_lo, s27
	v_add_f32_e32 v2, v2, v3
	v_mov_b32_e32 v32, 0x80
	s_mov_b32 s27, exec_lo
	v_and_b32_e32 v3, 0x7f800000, v2
	v_cmpx_ne_u32_e32 0x7f800000, v3
	s_cbranch_execz .LBB6_5013
; %bb.5006:                             ;   in Loop: Header=BB6_4953 Depth=2
	v_mov_b32_e32 v32, 0
	s_mov_b32 s28, exec_lo
	v_cmpx_ne_u32_e32 0, v2
	s_cbranch_execz .LBB6_5012
; %bb.5007:                             ;   in Loop: Header=BB6_4953 Depth=2
	v_bfe_u32 v32, v2, 23, 8
	v_and_b32_e32 v3, 0x7fffff, v2
	v_cmp_gt_u32_e64 s12, 0x79, v32
	v_sub_nc_u32_e32 v113, 0x78, v32
	v_cmp_eq_u32_e32 vcc_lo, 0, v32
	v_or_b32_e32 v116, 0x800000, v3
	v_cndmask_b32_e64 v113, 0, v113, s12
	v_cndmask_b32_e32 v3, v116, v3, vcc_lo
	v_cndmask_b32_e64 v113, v113, 0x77, vcc_lo
	v_lshl_add_u32 v116, 0x100000, v113, -1
	v_lshlrev_b32_e64 v122, v113, 0x80000
	v_and_b32_e32 v116, v116, v3
	v_cmp_eq_u32_e64 s12, v116, v122
	v_lshrrev_b32_e32 v116, v113, v3
	v_add_nc_u32_e32 v3, 0xffffff89, v32
	v_lshrrev_b32_e32 v32, 23, v116
	v_cndmask_b32_e64 v3, v3, 0xffffff8a, vcc_lo
	v_xor_b32_e32 v32, 1, v32
	v_add_nc_u32_e32 v3, v113, v3
	v_bfe_u32 v113, v116, 20, 1
	v_add_nc_u32_e32 v113, -1, v113
	v_cndmask_b32_e64 v113, 0, v113, s12
	s_mov_b32 s12, exec_lo
	v_add_nc_u32_e32 v113, v113, v116
	v_and_b32_e32 v113, 0xfffff, v113
	v_add_nc_u32_e32 v116, v113, v116
                                        ; implicit-def: $vgpr113
	v_cmpx_ne_u32_e64 v3, v32
	s_xor_b32 s12, exec_lo, s12
; %bb.5008:                             ;   in Loop: Header=BB6_4953 Depth=2
	v_cmp_lt_u32_e32 vcc_lo, 0xffffff, v116
	v_sub_nc_u32_e32 v3, v3, v32
	v_cndmask_b32_e64 v32, 0, 1, vcc_lo
	v_add_co_ci_u32_e64 v113, null, 0, v3, vcc_lo
	v_lshrrev_b32_e32 v116, v32, v116
; %bb.5009:                             ;   in Loop: Header=BB6_4953 Depth=2
	s_andn2_saveexec_b32 s12, s12
; %bb.5010:                             ;   in Loop: Header=BB6_4953 Depth=2
	v_bfe_u32 v113, v116, 23, 1
; %bb.5011:                             ;   in Loop: Header=BB6_4953 Depth=2
	s_or_b32 exec_lo, exec_lo, s12
	v_lshrrev_b32_e32 v3, 20, v116
	v_cmp_gt_i32_e32 vcc_lo, 16, v113
	v_min_i32_e32 v32, 15, v113
	v_and_b32_sdwa v2, v2, v119 dst_sel:DWORD dst_unused:UNUSED_PAD src0_sel:BYTE_3 src1_sel:DWORD
	v_cndmask_b32_e32 v3, 7, v3, vcc_lo
	v_lshlrev_b32_e32 v32, 3, v32
	v_and_b32_e32 v116, 7, v3
	v_or_b32_e32 v3, v113, v3
	v_or3_b32 v2, v32, v2, v116
	v_cmp_ne_u32_e32 vcc_lo, 0, v3
	v_cndmask_b32_e32 v32, 0, v2, vcc_lo
.LBB6_5012:                             ;   in Loop: Header=BB6_4953 Depth=2
	s_or_b32 exec_lo, exec_lo, s28
.LBB6_5013:                             ;   in Loop: Header=BB6_4953 Depth=2
	s_or_b32 exec_lo, exec_lo, s27
	v_cmp_gt_i16_sdwa s27, v121, v115 src0_sel:BYTE_0 src1_sel:DWORD
	s_mov_b32 s12, 0
	s_and_saveexec_b32 s28, s27
	s_xor_b32 s27, exec_lo, s28
	s_cbranch_execz .LBB6_5603
; %bb.5014:                             ;   in Loop: Header=BB6_4953 Depth=2
	v_cmp_eq_u16_sdwa s29, v121, v119 src0_sel:BYTE_0 src1_sel:DWORD
	s_mov_b32 s12, -1
	s_and_saveexec_b32 s28, s29
; %bb.5015:                             ;   in Loop: Header=BB6_4953 Depth=2
	s_xor_b32 s12, exec_lo, -1
; %bb.5016:                             ;   in Loop: Header=BB6_4953 Depth=2
	s_or_b32 exec_lo, exec_lo, s28
	s_and_b32 s12, s12, exec_lo
	s_or_saveexec_b32 s27, s27
	v_mov_b32_e32 v2, 0x7f800001
	s_xor_b32 exec_lo, exec_lo, s27
	s_cbranch_execnz .LBB6_5604
.LBB6_5017:                             ;   in Loop: Header=BB6_4953 Depth=2
	s_or_b32 exec_lo, exec_lo, s27
	s_and_saveexec_b32 s27, s12
	s_cbranch_execz .LBB6_5019
.LBB6_5018:                             ;   in Loop: Header=BB6_4953 Depth=2
	v_and_b32_e32 v2, 7, v121
	v_lshrrev_b16 v113, 3, v121
	v_ffbh_u32_e32 v3, v2
	v_and_b32_e32 v113, 15, v113
	v_min_u32_e32 v3, 32, v3
	v_cmp_eq_u32_e32 vcc_lo, 0, v113
	v_subrev_nc_u32_e32 v116, 28, v3
	v_sub_nc_u32_e32 v3, 29, v3
	v_lshlrev_b32_e32 v116, v116, v121
	v_lshlrev_b32_e32 v121, 24, v121
	v_cndmask_b32_e32 v3, v113, v3, vcc_lo
	v_and_b32_e32 v116, 7, v116
	v_and_b32_e32 v113, 0x80000000, v121
	v_lshl_add_u32 v3, v3, 23, 0x3b800000
	v_cndmask_b32_e32 v2, v2, v116, vcc_lo
	v_lshlrev_b32_e32 v2, 20, v2
	v_or3_b32 v2, v113, v3, v2
.LBB6_5019:                             ;   in Loop: Header=BB6_4953 Depth=2
	s_or_b32 exec_lo, exec_lo, s27
	s_waitcnt vmcnt(28) lgkmcnt(28)
	v_cmp_gt_i16_sdwa s27, v36, v115 src0_sel:BYTE_0 src1_sel:DWORD
	s_mov_b32 s12, 0
	s_and_saveexec_b32 s28, s27
	s_xor_b32 s27, exec_lo, s28
	s_cbranch_execz .LBB6_5605
; %bb.5020:                             ;   in Loop: Header=BB6_4953 Depth=2
	v_cmp_eq_u16_sdwa s29, v36, v119 src0_sel:BYTE_0 src1_sel:DWORD
	s_mov_b32 s12, -1
	s_and_saveexec_b32 s28, s29
; %bb.5021:                             ;   in Loop: Header=BB6_4953 Depth=2
	s_xor_b32 s12, exec_lo, -1
; %bb.5022:                             ;   in Loop: Header=BB6_4953 Depth=2
	s_or_b32 exec_lo, exec_lo, s28
	s_and_b32 s12, s12, exec_lo
	s_or_saveexec_b32 s27, s27
	v_mov_b32_e32 v3, 0x7f800001
	s_xor_b32 exec_lo, exec_lo, s27
	s_cbranch_execnz .LBB6_5606
.LBB6_5023:                             ;   in Loop: Header=BB6_4953 Depth=2
	s_or_b32 exec_lo, exec_lo, s27
	s_and_saveexec_b32 s27, s12
	s_cbranch_execz .LBB6_5025
.LBB6_5024:                             ;   in Loop: Header=BB6_4953 Depth=2
	v_and_b32_e32 v3, 7, v36
	v_lshrrev_b16 v116, 3, v36
	v_ffbh_u32_e32 v113, v3
	v_and_b32_e32 v116, 15, v116
	v_min_u32_e32 v113, 32, v113
	v_cmp_eq_u32_e32 vcc_lo, 0, v116
	v_subrev_nc_u32_e32 v121, 28, v113
	v_sub_nc_u32_e32 v113, 29, v113
	v_lshlrev_b32_e32 v121, v121, v36
	v_lshlrev_b32_e32 v36, 24, v36
	v_cndmask_b32_e32 v113, v116, v113, vcc_lo
	v_and_b32_e32 v121, 7, v121
	v_and_b32_e32 v36, 0x80000000, v36
	v_lshl_add_u32 v113, v113, 23, 0x3b800000
	v_cndmask_b32_e32 v3, v3, v121, vcc_lo
	v_lshlrev_b32_e32 v3, 20, v3
	v_or3_b32 v3, v36, v113, v3
.LBB6_5025:                             ;   in Loop: Header=BB6_4953 Depth=2
	s_or_b32 exec_lo, exec_lo, s27
	v_add_f32_e32 v2, v2, v3
	v_mov_b32_e32 v36, 0x80
	s_mov_b32 s27, exec_lo
	v_and_b32_e32 v3, 0x7f800000, v2
	v_cmpx_ne_u32_e32 0x7f800000, v3
	s_cbranch_execz .LBB6_5033
; %bb.5026:                             ;   in Loop: Header=BB6_4953 Depth=2
	v_mov_b32_e32 v36, 0
	s_mov_b32 s28, exec_lo
	v_cmpx_ne_u32_e32 0, v2
	s_cbranch_execz .LBB6_5032
; %bb.5027:                             ;   in Loop: Header=BB6_4953 Depth=2
	v_bfe_u32 v36, v2, 23, 8
	v_and_b32_e32 v3, 0x7fffff, v2
	v_cmp_gt_u32_e64 s12, 0x79, v36
	v_sub_nc_u32_e32 v113, 0x78, v36
	v_cmp_eq_u32_e32 vcc_lo, 0, v36
	v_or_b32_e32 v116, 0x800000, v3
	v_cndmask_b32_e64 v113, 0, v113, s12
	v_cndmask_b32_e32 v3, v116, v3, vcc_lo
	v_cndmask_b32_e64 v113, v113, 0x77, vcc_lo
	v_lshl_add_u32 v116, 0x100000, v113, -1
	v_lshlrev_b32_e64 v121, v113, 0x80000
	v_and_b32_e32 v116, v116, v3
	v_cmp_eq_u32_e64 s12, v116, v121
	v_lshrrev_b32_e32 v116, v113, v3
	v_add_nc_u32_e32 v3, 0xffffff89, v36
	v_lshrrev_b32_e32 v36, 23, v116
	v_cndmask_b32_e64 v3, v3, 0xffffff8a, vcc_lo
	v_xor_b32_e32 v36, 1, v36
	v_add_nc_u32_e32 v3, v113, v3
	v_bfe_u32 v113, v116, 20, 1
	v_add_nc_u32_e32 v113, -1, v113
	v_cndmask_b32_e64 v113, 0, v113, s12
	s_mov_b32 s12, exec_lo
	v_add_nc_u32_e32 v113, v113, v116
	v_and_b32_e32 v113, 0xfffff, v113
	v_add_nc_u32_e32 v116, v113, v116
                                        ; implicit-def: $vgpr113
	v_cmpx_ne_u32_e64 v3, v36
	s_xor_b32 s12, exec_lo, s12
; %bb.5028:                             ;   in Loop: Header=BB6_4953 Depth=2
	v_cmp_lt_u32_e32 vcc_lo, 0xffffff, v116
	v_sub_nc_u32_e32 v3, v3, v36
	v_cndmask_b32_e64 v36, 0, 1, vcc_lo
	v_add_co_ci_u32_e64 v113, null, 0, v3, vcc_lo
	v_lshrrev_b32_e32 v116, v36, v116
; %bb.5029:                             ;   in Loop: Header=BB6_4953 Depth=2
	s_andn2_saveexec_b32 s12, s12
; %bb.5030:                             ;   in Loop: Header=BB6_4953 Depth=2
	v_bfe_u32 v113, v116, 23, 1
; %bb.5031:                             ;   in Loop: Header=BB6_4953 Depth=2
	s_or_b32 exec_lo, exec_lo, s12
	v_lshrrev_b32_e32 v3, 20, v116
	v_cmp_gt_i32_e32 vcc_lo, 16, v113
	v_min_i32_e32 v36, 15, v113
	v_and_b32_sdwa v2, v2, v119 dst_sel:DWORD dst_unused:UNUSED_PAD src0_sel:BYTE_3 src1_sel:DWORD
	v_cndmask_b32_e32 v3, 7, v3, vcc_lo
	v_lshlrev_b32_e32 v36, 3, v36
	v_and_b32_e32 v116, 7, v3
	v_or_b32_e32 v3, v113, v3
	v_or3_b32 v2, v36, v2, v116
	v_cmp_ne_u32_e32 vcc_lo, 0, v3
	v_cndmask_b32_e32 v36, 0, v2, vcc_lo
.LBB6_5032:                             ;   in Loop: Header=BB6_4953 Depth=2
	s_or_b32 exec_lo, exec_lo, s28
.LBB6_5033:                             ;   in Loop: Header=BB6_4953 Depth=2
	s_or_b32 exec_lo, exec_lo, s27
	v_cmp_gt_i16_sdwa s27, v120, v115 src0_sel:BYTE_0 src1_sel:DWORD
	s_mov_b32 s12, 0
	s_and_saveexec_b32 s28, s27
	s_xor_b32 s27, exec_lo, s28
	s_cbranch_execz .LBB6_5607
; %bb.5034:                             ;   in Loop: Header=BB6_4953 Depth=2
	v_cmp_eq_u16_sdwa s29, v120, v119 src0_sel:BYTE_0 src1_sel:DWORD
	s_mov_b32 s12, -1
	s_and_saveexec_b32 s28, s29
; %bb.5035:                             ;   in Loop: Header=BB6_4953 Depth=2
	s_xor_b32 s12, exec_lo, -1
; %bb.5036:                             ;   in Loop: Header=BB6_4953 Depth=2
	s_or_b32 exec_lo, exec_lo, s28
	s_and_b32 s12, s12, exec_lo
	s_or_saveexec_b32 s27, s27
	v_mov_b32_e32 v2, 0x7f800001
	s_xor_b32 exec_lo, exec_lo, s27
	s_cbranch_execnz .LBB6_5608
.LBB6_5037:                             ;   in Loop: Header=BB6_4953 Depth=2
	s_or_b32 exec_lo, exec_lo, s27
	s_and_saveexec_b32 s27, s12
	s_cbranch_execz .LBB6_5039
.LBB6_5038:                             ;   in Loop: Header=BB6_4953 Depth=2
	v_and_b32_e32 v2, 7, v120
	v_lshrrev_b16 v113, 3, v120
	v_ffbh_u32_e32 v3, v2
	v_and_b32_e32 v113, 15, v113
	v_min_u32_e32 v3, 32, v3
	v_cmp_eq_u32_e32 vcc_lo, 0, v113
	v_subrev_nc_u32_e32 v116, 28, v3
	v_sub_nc_u32_e32 v3, 29, v3
	v_lshlrev_b32_e32 v116, v116, v120
	v_lshlrev_b32_e32 v120, 24, v120
	v_cndmask_b32_e32 v3, v113, v3, vcc_lo
	v_and_b32_e32 v116, 7, v116
	v_and_b32_e32 v113, 0x80000000, v120
	v_lshl_add_u32 v3, v3, 23, 0x3b800000
	v_cndmask_b32_e32 v2, v2, v116, vcc_lo
	v_lshlrev_b32_e32 v2, 20, v2
	v_or3_b32 v2, v113, v3, v2
.LBB6_5039:                             ;   in Loop: Header=BB6_4953 Depth=2
	s_or_b32 exec_lo, exec_lo, s27
	s_waitcnt vmcnt(27) lgkmcnt(27)
	v_cmp_gt_i16_sdwa s27, v39, v115 src0_sel:BYTE_0 src1_sel:DWORD
	s_mov_b32 s12, 0
	s_and_saveexec_b32 s28, s27
	s_xor_b32 s27, exec_lo, s28
	s_cbranch_execz .LBB6_5609
; %bb.5040:                             ;   in Loop: Header=BB6_4953 Depth=2
	v_cmp_eq_u16_sdwa s29, v39, v119 src0_sel:BYTE_0 src1_sel:DWORD
	s_mov_b32 s12, -1
	s_and_saveexec_b32 s28, s29
; %bb.5041:                             ;   in Loop: Header=BB6_4953 Depth=2
	s_xor_b32 s12, exec_lo, -1
; %bb.5042:                             ;   in Loop: Header=BB6_4953 Depth=2
	s_or_b32 exec_lo, exec_lo, s28
	s_and_b32 s12, s12, exec_lo
	s_or_saveexec_b32 s27, s27
	v_mov_b32_e32 v3, 0x7f800001
	s_xor_b32 exec_lo, exec_lo, s27
	s_cbranch_execnz .LBB6_5610
.LBB6_5043:                             ;   in Loop: Header=BB6_4953 Depth=2
	s_or_b32 exec_lo, exec_lo, s27
	s_and_saveexec_b32 s27, s12
	s_cbranch_execz .LBB6_5045
.LBB6_5044:                             ;   in Loop: Header=BB6_4953 Depth=2
	v_and_b32_e32 v3, 7, v39
	v_lshrrev_b16 v116, 3, v39
	v_ffbh_u32_e32 v113, v3
	v_and_b32_e32 v116, 15, v116
	v_min_u32_e32 v113, 32, v113
	v_cmp_eq_u32_e32 vcc_lo, 0, v116
	v_subrev_nc_u32_e32 v120, 28, v113
	v_sub_nc_u32_e32 v113, 29, v113
	v_lshlrev_b32_e32 v120, v120, v39
	v_lshlrev_b32_e32 v39, 24, v39
	v_cndmask_b32_e32 v113, v116, v113, vcc_lo
	v_and_b32_e32 v120, 7, v120
	v_and_b32_e32 v39, 0x80000000, v39
	v_lshl_add_u32 v113, v113, 23, 0x3b800000
	v_cndmask_b32_e32 v3, v3, v120, vcc_lo
	v_lshlrev_b32_e32 v3, 20, v3
	v_or3_b32 v3, v39, v113, v3
.LBB6_5045:                             ;   in Loop: Header=BB6_4953 Depth=2
	s_or_b32 exec_lo, exec_lo, s27
	v_add_f32_e32 v2, v2, v3
	v_mov_b32_e32 v39, 0x80
	s_mov_b32 s27, exec_lo
	v_and_b32_e32 v3, 0x7f800000, v2
	v_cmpx_ne_u32_e32 0x7f800000, v3
	s_cbranch_execz .LBB6_5053
; %bb.5046:                             ;   in Loop: Header=BB6_4953 Depth=2
	v_mov_b32_e32 v39, 0
	s_mov_b32 s28, exec_lo
	v_cmpx_ne_u32_e32 0, v2
	s_cbranch_execz .LBB6_5052
; %bb.5047:                             ;   in Loop: Header=BB6_4953 Depth=2
	v_bfe_u32 v3, v2, 23, 8
	v_and_b32_e32 v39, 0x7fffff, v2
	v_sub_nc_u32_e32 v113, 0x78, v3
	v_cmp_gt_u32_e32 vcc_lo, 0x79, v3
	v_or_b32_e32 v116, 0x800000, v39
	v_cndmask_b32_e32 v113, 0, v113, vcc_lo
	v_cmp_eq_u32_e32 vcc_lo, 0, v3
	v_add_nc_u32_e32 v3, 0xffffff89, v3
	v_cndmask_b32_e64 v113, v113, 0x77, vcc_lo
	v_cndmask_b32_e32 v39, v116, v39, vcc_lo
	v_cndmask_b32_e64 v3, v3, 0xffffff8a, vcc_lo
	v_lshl_add_u32 v116, 0x100000, v113, -1
	v_lshrrev_b32_e32 v120, v113, v39
	v_lshlrev_b32_e64 v122, v113, 0x80000
	v_add_nc_u32_e32 v113, v113, v3
	v_and_b32_e32 v39, v116, v39
	v_bfe_u32 v121, v120, 20, 1
	v_cmp_eq_u32_e64 s12, v39, v122
	v_add_nc_u32_e32 v116, -1, v121
	v_cndmask_b32_e64 v39, 0, v116, s12
	v_lshrrev_b32_e32 v116, 23, v120
	s_mov_b32 s12, exec_lo
	v_add_nc_u32_e32 v39, v39, v120
	v_xor_b32_e32 v116, 1, v116
	v_and_b32_e32 v3, 0xfffff, v39
	v_add_nc_u32_e32 v39, v3, v120
                                        ; implicit-def: $vgpr3
	v_cmpx_ne_u32_e64 v113, v116
	s_xor_b32 s12, exec_lo, s12
; %bb.5048:                             ;   in Loop: Header=BB6_4953 Depth=2
	v_cmp_lt_u32_e32 vcc_lo, 0xffffff, v39
	v_sub_nc_u32_e32 v3, v113, v116
	v_cndmask_b32_e64 v113, 0, 1, vcc_lo
	v_add_co_ci_u32_e64 v3, null, 0, v3, vcc_lo
	v_lshrrev_b32_e32 v39, v113, v39
; %bb.5049:                             ;   in Loop: Header=BB6_4953 Depth=2
	s_andn2_saveexec_b32 s12, s12
; %bb.5050:                             ;   in Loop: Header=BB6_4953 Depth=2
	v_bfe_u32 v3, v39, 23, 1
; %bb.5051:                             ;   in Loop: Header=BB6_4953 Depth=2
	s_or_b32 exec_lo, exec_lo, s12
	v_lshrrev_b32_e32 v39, 20, v39
	v_cmp_gt_i32_e32 vcc_lo, 16, v3
	v_min_i32_e32 v113, 15, v3
	v_and_b32_sdwa v2, v2, v119 dst_sel:DWORD dst_unused:UNUSED_PAD src0_sel:BYTE_3 src1_sel:DWORD
	v_cndmask_b32_e32 v39, 7, v39, vcc_lo
	v_lshlrev_b32_e32 v113, 3, v113
	v_and_b32_e32 v116, 7, v39
	v_or_b32_e32 v3, v3, v39
	v_or3_b32 v2, v113, v2, v116
	v_cmp_ne_u32_e32 vcc_lo, 0, v3
	v_cndmask_b32_e32 v39, 0, v2, vcc_lo
.LBB6_5052:                             ;   in Loop: Header=BB6_4953 Depth=2
	s_or_b32 exec_lo, exec_lo, s28
.LBB6_5053:                             ;   in Loop: Header=BB6_4953 Depth=2
	s_or_b32 exec_lo, exec_lo, s27
	v_cmp_gt_i16_sdwa s27, v111, v115 src0_sel:BYTE_0 src1_sel:DWORD
	s_mov_b32 s12, 0
	s_and_saveexec_b32 s28, s27
	s_xor_b32 s27, exec_lo, s28
	s_cbranch_execz .LBB6_5611
; %bb.5054:                             ;   in Loop: Header=BB6_4953 Depth=2
	v_cmp_eq_u16_sdwa s29, v111, v119 src0_sel:BYTE_0 src1_sel:DWORD
	s_mov_b32 s12, -1
	s_and_saveexec_b32 s28, s29
; %bb.5055:                             ;   in Loop: Header=BB6_4953 Depth=2
	s_xor_b32 s12, exec_lo, -1
; %bb.5056:                             ;   in Loop: Header=BB6_4953 Depth=2
	s_or_b32 exec_lo, exec_lo, s28
	s_and_b32 s12, s12, exec_lo
	s_or_saveexec_b32 s27, s27
	v_mov_b32_e32 v2, 0x7f800001
	s_xor_b32 exec_lo, exec_lo, s27
	s_cbranch_execnz .LBB6_5612
.LBB6_5057:                             ;   in Loop: Header=BB6_4953 Depth=2
	s_or_b32 exec_lo, exec_lo, s27
	s_and_saveexec_b32 s27, s12
	s_cbranch_execz .LBB6_5059
.LBB6_5058:                             ;   in Loop: Header=BB6_4953 Depth=2
	v_and_b32_e32 v2, 7, v111
	v_lshrrev_b16 v113, 3, v111
	v_ffbh_u32_e32 v3, v2
	v_and_b32_e32 v113, 15, v113
	v_min_u32_e32 v3, 32, v3
	v_cmp_eq_u32_e32 vcc_lo, 0, v113
	v_subrev_nc_u32_e32 v116, 28, v3
	v_sub_nc_u32_e32 v3, 29, v3
	v_lshlrev_b32_e32 v116, v116, v111
	v_lshlrev_b32_e32 v111, 24, v111
	v_cndmask_b32_e32 v3, v113, v3, vcc_lo
	v_and_b32_e32 v116, 7, v116
	v_and_b32_e32 v113, 0x80000000, v111
	v_lshl_add_u32 v3, v3, 23, 0x3b800000
	v_cndmask_b32_e32 v2, v2, v116, vcc_lo
	v_lshlrev_b32_e32 v2, 20, v2
	v_or3_b32 v2, v113, v3, v2
.LBB6_5059:                             ;   in Loop: Header=BB6_4953 Depth=2
	s_or_b32 exec_lo, exec_lo, s27
	s_waitcnt vmcnt(26) lgkmcnt(26)
	v_cmp_gt_i16_sdwa s27, v50, v115 src0_sel:BYTE_0 src1_sel:DWORD
	s_mov_b32 s12, 0
	s_and_saveexec_b32 s28, s27
	s_xor_b32 s27, exec_lo, s28
	s_cbranch_execz .LBB6_5613
; %bb.5060:                             ;   in Loop: Header=BB6_4953 Depth=2
	v_cmp_eq_u16_sdwa s29, v50, v119 src0_sel:BYTE_0 src1_sel:DWORD
	s_mov_b32 s12, -1
	s_and_saveexec_b32 s28, s29
; %bb.5061:                             ;   in Loop: Header=BB6_4953 Depth=2
	s_xor_b32 s12, exec_lo, -1
; %bb.5062:                             ;   in Loop: Header=BB6_4953 Depth=2
	s_or_b32 exec_lo, exec_lo, s28
	s_and_b32 s12, s12, exec_lo
	s_or_saveexec_b32 s27, s27
	v_mov_b32_e32 v3, 0x7f800001
	s_xor_b32 exec_lo, exec_lo, s27
	s_cbranch_execnz .LBB6_5614
.LBB6_5063:                             ;   in Loop: Header=BB6_4953 Depth=2
	s_or_b32 exec_lo, exec_lo, s27
	s_and_saveexec_b32 s27, s12
	s_cbranch_execz .LBB6_5065
.LBB6_5064:                             ;   in Loop: Header=BB6_4953 Depth=2
	v_and_b32_e32 v3, 7, v50
	v_lshrrev_b16 v116, 3, v50
	v_ffbh_u32_e32 v113, v3
	v_and_b32_e32 v116, 15, v116
	v_min_u32_e32 v113, 32, v113
	v_cmp_eq_u32_e32 vcc_lo, 0, v116
	v_subrev_nc_u32_e32 v111, 28, v113
	v_sub_nc_u32_e32 v113, 29, v113
	v_lshlrev_b32_e32 v111, v111, v50
	v_lshlrev_b32_e32 v50, 24, v50
	v_cndmask_b32_e32 v113, v116, v113, vcc_lo
	v_and_b32_e32 v111, 7, v111
	v_and_b32_e32 v50, 0x80000000, v50
	v_lshl_add_u32 v113, v113, 23, 0x3b800000
	v_cndmask_b32_e32 v3, v3, v111, vcc_lo
	v_lshlrev_b32_e32 v3, 20, v3
	v_or3_b32 v3, v50, v113, v3
.LBB6_5065:                             ;   in Loop: Header=BB6_4953 Depth=2
	s_or_b32 exec_lo, exec_lo, s27
	v_add_f32_e32 v2, v2, v3
	v_mov_b32_e32 v50, 0x80
	s_mov_b32 s27, exec_lo
	v_and_b32_e32 v3, 0x7f800000, v2
	v_cmpx_ne_u32_e32 0x7f800000, v3
	s_cbranch_execz .LBB6_5073
; %bb.5066:                             ;   in Loop: Header=BB6_4953 Depth=2
	v_mov_b32_e32 v50, 0
	s_mov_b32 s28, exec_lo
	v_cmpx_ne_u32_e32 0, v2
	s_cbranch_execz .LBB6_5072
; %bb.5067:                             ;   in Loop: Header=BB6_4953 Depth=2
	v_bfe_u32 v3, v2, 23, 8
	v_and_b32_e32 v50, 0x7fffff, v2
	v_sub_nc_u32_e32 v113, 0x78, v3
	v_cmp_gt_u32_e32 vcc_lo, 0x79, v3
	v_or_b32_e32 v116, 0x800000, v50
	v_cndmask_b32_e32 v113, 0, v113, vcc_lo
	v_cmp_eq_u32_e32 vcc_lo, 0, v3
	v_add_nc_u32_e32 v3, 0xffffff89, v3
	v_cndmask_b32_e64 v113, v113, 0x77, vcc_lo
	v_cndmask_b32_e32 v50, v116, v50, vcc_lo
	v_cndmask_b32_e64 v3, v3, 0xffffff8a, vcc_lo
	v_lshl_add_u32 v116, 0x100000, v113, -1
	v_lshrrev_b32_e32 v111, v113, v50
	v_lshlrev_b32_e64 v121, v113, 0x80000
	v_add_nc_u32_e32 v113, v113, v3
	v_and_b32_e32 v50, v116, v50
	v_bfe_u32 v120, v111, 20, 1
	v_cmp_eq_u32_e64 s12, v50, v121
	v_add_nc_u32_e32 v116, -1, v120
	v_cndmask_b32_e64 v50, 0, v116, s12
	v_lshrrev_b32_e32 v116, 23, v111
	s_mov_b32 s12, exec_lo
	v_add_nc_u32_e32 v50, v50, v111
	v_xor_b32_e32 v116, 1, v116
	v_and_b32_e32 v3, 0xfffff, v50
	v_add_nc_u32_e32 v50, v3, v111
                                        ; implicit-def: $vgpr3
	v_cmpx_ne_u32_e64 v113, v116
	s_xor_b32 s12, exec_lo, s12
; %bb.5068:                             ;   in Loop: Header=BB6_4953 Depth=2
	v_cmp_lt_u32_e32 vcc_lo, 0xffffff, v50
	v_sub_nc_u32_e32 v3, v113, v116
	v_cndmask_b32_e64 v113, 0, 1, vcc_lo
	v_add_co_ci_u32_e64 v3, null, 0, v3, vcc_lo
	v_lshrrev_b32_e32 v50, v113, v50
; %bb.5069:                             ;   in Loop: Header=BB6_4953 Depth=2
	s_andn2_saveexec_b32 s12, s12
; %bb.5070:                             ;   in Loop: Header=BB6_4953 Depth=2
	v_bfe_u32 v3, v50, 23, 1
; %bb.5071:                             ;   in Loop: Header=BB6_4953 Depth=2
	s_or_b32 exec_lo, exec_lo, s12
	v_lshrrev_b32_e32 v50, 20, v50
	v_cmp_gt_i32_e32 vcc_lo, 16, v3
	v_min_i32_e32 v113, 15, v3
	v_and_b32_sdwa v2, v2, v119 dst_sel:DWORD dst_unused:UNUSED_PAD src0_sel:BYTE_3 src1_sel:DWORD
	v_cndmask_b32_e32 v50, 7, v50, vcc_lo
	v_lshlrev_b32_e32 v113, 3, v113
	v_and_b32_e32 v116, 7, v50
	v_or_b32_e32 v3, v3, v50
	v_or3_b32 v2, v113, v2, v116
	v_cmp_ne_u32_e32 vcc_lo, 0, v3
	v_cndmask_b32_e32 v50, 0, v2, vcc_lo
.LBB6_5072:                             ;   in Loop: Header=BB6_4953 Depth=2
	s_or_b32 exec_lo, exec_lo, s28
.LBB6_5073:                             ;   in Loop: Header=BB6_4953 Depth=2
	s_or_b32 exec_lo, exec_lo, s27
	v_cmp_gt_i16_sdwa s27, v110, v115 src0_sel:BYTE_0 src1_sel:DWORD
	s_mov_b32 s12, 0
	s_and_saveexec_b32 s28, s27
	s_xor_b32 s27, exec_lo, s28
	s_cbranch_execz .LBB6_5615
; %bb.5074:                             ;   in Loop: Header=BB6_4953 Depth=2
	v_cmp_eq_u16_sdwa s29, v110, v119 src0_sel:BYTE_0 src1_sel:DWORD
	s_mov_b32 s12, -1
	s_and_saveexec_b32 s28, s29
; %bb.5075:                             ;   in Loop: Header=BB6_4953 Depth=2
	s_xor_b32 s12, exec_lo, -1
; %bb.5076:                             ;   in Loop: Header=BB6_4953 Depth=2
	s_or_b32 exec_lo, exec_lo, s28
	s_and_b32 s12, s12, exec_lo
	s_or_saveexec_b32 s27, s27
	v_mov_b32_e32 v2, 0x7f800001
	s_xor_b32 exec_lo, exec_lo, s27
	s_cbranch_execnz .LBB6_5616
.LBB6_5077:                             ;   in Loop: Header=BB6_4953 Depth=2
	s_or_b32 exec_lo, exec_lo, s27
	s_and_saveexec_b32 s27, s12
	s_cbranch_execz .LBB6_5079
.LBB6_5078:                             ;   in Loop: Header=BB6_4953 Depth=2
	v_and_b32_e32 v2, 7, v110
	v_lshrrev_b16 v113, 3, v110
	v_ffbh_u32_e32 v3, v2
	v_and_b32_e32 v113, 15, v113
	v_min_u32_e32 v3, 32, v3
	v_cmp_eq_u32_e32 vcc_lo, 0, v113
	v_subrev_nc_u32_e32 v116, 28, v3
	v_sub_nc_u32_e32 v3, 29, v3
	v_lshlrev_b32_e32 v116, v116, v110
	v_lshlrev_b32_e32 v110, 24, v110
	v_cndmask_b32_e32 v3, v113, v3, vcc_lo
	v_and_b32_e32 v116, 7, v116
	v_and_b32_e32 v113, 0x80000000, v110
	v_lshl_add_u32 v3, v3, 23, 0x3b800000
	v_cndmask_b32_e32 v2, v2, v116, vcc_lo
	v_lshlrev_b32_e32 v2, 20, v2
	v_or3_b32 v2, v113, v3, v2
.LBB6_5079:                             ;   in Loop: Header=BB6_4953 Depth=2
	s_or_b32 exec_lo, exec_lo, s27
	s_waitcnt vmcnt(25) lgkmcnt(25)
	v_cmp_gt_i16_sdwa s27, v86, v115 src0_sel:BYTE_0 src1_sel:DWORD
	s_mov_b32 s12, 0
	s_and_saveexec_b32 s28, s27
	s_xor_b32 s27, exec_lo, s28
	s_cbranch_execz .LBB6_5617
; %bb.5080:                             ;   in Loop: Header=BB6_4953 Depth=2
	v_cmp_eq_u16_sdwa s29, v86, v119 src0_sel:BYTE_0 src1_sel:DWORD
	s_mov_b32 s12, -1
	s_and_saveexec_b32 s28, s29
; %bb.5081:                             ;   in Loop: Header=BB6_4953 Depth=2
	s_xor_b32 s12, exec_lo, -1
; %bb.5082:                             ;   in Loop: Header=BB6_4953 Depth=2
	s_or_b32 exec_lo, exec_lo, s28
	s_and_b32 s12, s12, exec_lo
	s_or_saveexec_b32 s27, s27
	v_mov_b32_e32 v3, 0x7f800001
	s_xor_b32 exec_lo, exec_lo, s27
	s_cbranch_execnz .LBB6_5618
.LBB6_5083:                             ;   in Loop: Header=BB6_4953 Depth=2
	s_or_b32 exec_lo, exec_lo, s27
	s_and_saveexec_b32 s27, s12
	s_cbranch_execz .LBB6_5085
.LBB6_5084:                             ;   in Loop: Header=BB6_4953 Depth=2
	v_and_b32_e32 v3, 7, v86
	v_lshrrev_b16 v116, 3, v86
	v_ffbh_u32_e32 v113, v3
	v_and_b32_e32 v116, 15, v116
	v_min_u32_e32 v113, 32, v113
	v_cmp_eq_u32_e32 vcc_lo, 0, v116
	v_subrev_nc_u32_e32 v110, 28, v113
	v_sub_nc_u32_e32 v113, 29, v113
	v_lshlrev_b32_e32 v110, v110, v86
	v_lshlrev_b32_e32 v86, 24, v86
	v_cndmask_b32_e32 v113, v116, v113, vcc_lo
	v_and_b32_e32 v110, 7, v110
	v_and_b32_e32 v86, 0x80000000, v86
	v_lshl_add_u32 v113, v113, 23, 0x3b800000
	v_cndmask_b32_e32 v3, v3, v110, vcc_lo
	v_lshlrev_b32_e32 v3, 20, v3
	v_or3_b32 v3, v86, v113, v3
.LBB6_5085:                             ;   in Loop: Header=BB6_4953 Depth=2
	s_or_b32 exec_lo, exec_lo, s27
	v_add_f32_e32 v2, v2, v3
	v_mov_b32_e32 v86, 0x80
	s_mov_b32 s27, exec_lo
	v_and_b32_e32 v3, 0x7f800000, v2
	v_cmpx_ne_u32_e32 0x7f800000, v3
	s_cbranch_execz .LBB6_5093
; %bb.5086:                             ;   in Loop: Header=BB6_4953 Depth=2
	v_mov_b32_e32 v86, 0
	s_mov_b32 s28, exec_lo
	v_cmpx_ne_u32_e32 0, v2
	s_cbranch_execz .LBB6_5092
; %bb.5087:                             ;   in Loop: Header=BB6_4953 Depth=2
	v_bfe_u32 v3, v2, 23, 8
	v_and_b32_e32 v86, 0x7fffff, v2
	v_sub_nc_u32_e32 v113, 0x78, v3
	v_cmp_gt_u32_e32 vcc_lo, 0x79, v3
	v_or_b32_e32 v116, 0x800000, v86
	v_cndmask_b32_e32 v113, 0, v113, vcc_lo
	v_cmp_eq_u32_e32 vcc_lo, 0, v3
	v_add_nc_u32_e32 v3, 0xffffff89, v3
	v_cndmask_b32_e64 v113, v113, 0x77, vcc_lo
	v_cndmask_b32_e32 v86, v116, v86, vcc_lo
	v_cndmask_b32_e64 v3, v3, 0xffffff8a, vcc_lo
	v_lshl_add_u32 v116, 0x100000, v113, -1
	v_lshrrev_b32_e32 v110, v113, v86
	v_lshlrev_b32_e64 v120, v113, 0x80000
	v_add_nc_u32_e32 v113, v113, v3
	v_and_b32_e32 v86, v116, v86
	v_bfe_u32 v111, v110, 20, 1
	v_cmp_eq_u32_e64 s12, v86, v120
	v_add_nc_u32_e32 v116, -1, v111
	v_cndmask_b32_e64 v86, 0, v116, s12
	v_lshrrev_b32_e32 v116, 23, v110
	s_mov_b32 s12, exec_lo
	v_add_nc_u32_e32 v86, v86, v110
	v_xor_b32_e32 v116, 1, v116
	v_and_b32_e32 v3, 0xfffff, v86
	v_add_nc_u32_e32 v86, v3, v110
                                        ; implicit-def: $vgpr3
	v_cmpx_ne_u32_e64 v113, v116
	s_xor_b32 s12, exec_lo, s12
; %bb.5088:                             ;   in Loop: Header=BB6_4953 Depth=2
	v_cmp_lt_u32_e32 vcc_lo, 0xffffff, v86
	v_sub_nc_u32_e32 v3, v113, v116
	v_cndmask_b32_e64 v113, 0, 1, vcc_lo
	v_add_co_ci_u32_e64 v3, null, 0, v3, vcc_lo
	v_lshrrev_b32_e32 v86, v113, v86
; %bb.5089:                             ;   in Loop: Header=BB6_4953 Depth=2
	s_andn2_saveexec_b32 s12, s12
; %bb.5090:                             ;   in Loop: Header=BB6_4953 Depth=2
	v_bfe_u32 v3, v86, 23, 1
; %bb.5091:                             ;   in Loop: Header=BB6_4953 Depth=2
	s_or_b32 exec_lo, exec_lo, s12
	v_lshrrev_b32_e32 v86, 20, v86
	v_cmp_gt_i32_e32 vcc_lo, 16, v3
	v_min_i32_e32 v113, 15, v3
	v_and_b32_sdwa v2, v2, v119 dst_sel:DWORD dst_unused:UNUSED_PAD src0_sel:BYTE_3 src1_sel:DWORD
	v_cndmask_b32_e32 v86, 7, v86, vcc_lo
	v_lshlrev_b32_e32 v113, 3, v113
	v_and_b32_e32 v116, 7, v86
	v_or_b32_e32 v3, v3, v86
	v_or3_b32 v2, v113, v2, v116
	v_cmp_ne_u32_e32 vcc_lo, 0, v3
	v_cndmask_b32_e32 v86, 0, v2, vcc_lo
.LBB6_5092:                             ;   in Loop: Header=BB6_4953 Depth=2
	s_or_b32 exec_lo, exec_lo, s28
.LBB6_5093:                             ;   in Loop: Header=BB6_4953 Depth=2
	s_or_b32 exec_lo, exec_lo, s27
	v_cmp_gt_i16_sdwa s27, v109, v115 src0_sel:BYTE_0 src1_sel:DWORD
	s_mov_b32 s12, 0
	s_and_saveexec_b32 s28, s27
	s_xor_b32 s27, exec_lo, s28
	s_cbranch_execz .LBB6_5619
; %bb.5094:                             ;   in Loop: Header=BB6_4953 Depth=2
	v_cmp_eq_u16_sdwa s29, v109, v119 src0_sel:BYTE_0 src1_sel:DWORD
	s_mov_b32 s12, -1
	s_and_saveexec_b32 s28, s29
; %bb.5095:                             ;   in Loop: Header=BB6_4953 Depth=2
	s_xor_b32 s12, exec_lo, -1
; %bb.5096:                             ;   in Loop: Header=BB6_4953 Depth=2
	s_or_b32 exec_lo, exec_lo, s28
	s_and_b32 s12, s12, exec_lo
	s_or_saveexec_b32 s27, s27
	v_mov_b32_e32 v2, 0x7f800001
	s_xor_b32 exec_lo, exec_lo, s27
	s_cbranch_execnz .LBB6_5620
.LBB6_5097:                             ;   in Loop: Header=BB6_4953 Depth=2
	s_or_b32 exec_lo, exec_lo, s27
	s_and_saveexec_b32 s27, s12
	s_cbranch_execz .LBB6_5099
.LBB6_5098:                             ;   in Loop: Header=BB6_4953 Depth=2
	v_and_b32_e32 v2, 7, v109
	v_lshrrev_b16 v113, 3, v109
	v_ffbh_u32_e32 v3, v2
	v_and_b32_e32 v113, 15, v113
	v_min_u32_e32 v3, 32, v3
	v_cmp_eq_u32_e32 vcc_lo, 0, v113
	v_subrev_nc_u32_e32 v116, 28, v3
	v_sub_nc_u32_e32 v3, 29, v3
	v_lshlrev_b32_e32 v116, v116, v109
	v_lshlrev_b32_e32 v109, 24, v109
	v_cndmask_b32_e32 v3, v113, v3, vcc_lo
	v_and_b32_e32 v116, 7, v116
	v_and_b32_e32 v113, 0x80000000, v109
	v_lshl_add_u32 v3, v3, 23, 0x3b800000
	v_cndmask_b32_e32 v2, v2, v116, vcc_lo
	v_lshlrev_b32_e32 v2, 20, v2
	v_or3_b32 v2, v113, v3, v2
.LBB6_5099:                             ;   in Loop: Header=BB6_4953 Depth=2
	s_or_b32 exec_lo, exec_lo, s27
	s_waitcnt vmcnt(24) lgkmcnt(24)
	v_cmp_gt_i16_sdwa s27, v98, v115 src0_sel:BYTE_0 src1_sel:DWORD
	s_mov_b32 s12, 0
	s_and_saveexec_b32 s28, s27
	s_xor_b32 s27, exec_lo, s28
	s_cbranch_execz .LBB6_5621
; %bb.5100:                             ;   in Loop: Header=BB6_4953 Depth=2
	v_cmp_eq_u16_sdwa s29, v98, v119 src0_sel:BYTE_0 src1_sel:DWORD
	s_mov_b32 s12, -1
	s_and_saveexec_b32 s28, s29
; %bb.5101:                             ;   in Loop: Header=BB6_4953 Depth=2
	s_xor_b32 s12, exec_lo, -1
; %bb.5102:                             ;   in Loop: Header=BB6_4953 Depth=2
	s_or_b32 exec_lo, exec_lo, s28
	s_and_b32 s12, s12, exec_lo
	s_or_saveexec_b32 s27, s27
	v_mov_b32_e32 v3, 0x7f800001
	s_xor_b32 exec_lo, exec_lo, s27
	s_cbranch_execnz .LBB6_5622
.LBB6_5103:                             ;   in Loop: Header=BB6_4953 Depth=2
	s_or_b32 exec_lo, exec_lo, s27
	s_and_saveexec_b32 s27, s12
	s_cbranch_execz .LBB6_5105
.LBB6_5104:                             ;   in Loop: Header=BB6_4953 Depth=2
	v_and_b32_e32 v3, 7, v98
	v_lshrrev_b16 v116, 3, v98
	v_ffbh_u32_e32 v113, v3
	v_and_b32_e32 v116, 15, v116
	v_min_u32_e32 v113, 32, v113
	v_cmp_eq_u32_e32 vcc_lo, 0, v116
	v_subrev_nc_u32_e32 v109, 28, v113
	v_sub_nc_u32_e32 v113, 29, v113
	v_lshlrev_b32_e32 v109, v109, v98
	v_lshlrev_b32_e32 v98, 24, v98
	v_cndmask_b32_e32 v113, v116, v113, vcc_lo
	v_and_b32_e32 v109, 7, v109
	v_and_b32_e32 v98, 0x80000000, v98
	v_lshl_add_u32 v113, v113, 23, 0x3b800000
	v_cndmask_b32_e32 v3, v3, v109, vcc_lo
	v_lshlrev_b32_e32 v3, 20, v3
	v_or3_b32 v3, v98, v113, v3
.LBB6_5105:                             ;   in Loop: Header=BB6_4953 Depth=2
	s_or_b32 exec_lo, exec_lo, s27
	v_add_f32_e32 v2, v2, v3
	v_mov_b32_e32 v98, 0x80
	s_mov_b32 s27, exec_lo
	v_and_b32_e32 v3, 0x7f800000, v2
	v_cmpx_ne_u32_e32 0x7f800000, v3
	s_cbranch_execz .LBB6_5113
; %bb.5106:                             ;   in Loop: Header=BB6_4953 Depth=2
	v_mov_b32_e32 v98, 0
	s_mov_b32 s28, exec_lo
	v_cmpx_ne_u32_e32 0, v2
	s_cbranch_execz .LBB6_5112
; %bb.5107:                             ;   in Loop: Header=BB6_4953 Depth=2
	v_bfe_u32 v3, v2, 23, 8
	v_and_b32_e32 v98, 0x7fffff, v2
	v_sub_nc_u32_e32 v113, 0x78, v3
	v_cmp_gt_u32_e32 vcc_lo, 0x79, v3
	v_or_b32_e32 v116, 0x800000, v98
	v_cndmask_b32_e32 v113, 0, v113, vcc_lo
	v_cmp_eq_u32_e32 vcc_lo, 0, v3
	v_add_nc_u32_e32 v3, 0xffffff89, v3
	v_cndmask_b32_e64 v113, v113, 0x77, vcc_lo
	v_cndmask_b32_e32 v98, v116, v98, vcc_lo
	v_cndmask_b32_e64 v3, v3, 0xffffff8a, vcc_lo
	v_lshl_add_u32 v116, 0x100000, v113, -1
	v_lshrrev_b32_e32 v109, v113, v98
	v_lshlrev_b32_e64 v111, v113, 0x80000
	v_add_nc_u32_e32 v113, v113, v3
	v_and_b32_e32 v98, v116, v98
	v_bfe_u32 v110, v109, 20, 1
	v_cmp_eq_u32_e64 s12, v98, v111
	v_add_nc_u32_e32 v116, -1, v110
	v_cndmask_b32_e64 v98, 0, v116, s12
	v_lshrrev_b32_e32 v116, 23, v109
	s_mov_b32 s12, exec_lo
	v_add_nc_u32_e32 v98, v98, v109
	v_xor_b32_e32 v116, 1, v116
	v_and_b32_e32 v3, 0xfffff, v98
	v_add_nc_u32_e32 v98, v3, v109
                                        ; implicit-def: $vgpr3
	v_cmpx_ne_u32_e64 v113, v116
	s_xor_b32 s12, exec_lo, s12
; %bb.5108:                             ;   in Loop: Header=BB6_4953 Depth=2
	v_cmp_lt_u32_e32 vcc_lo, 0xffffff, v98
	v_sub_nc_u32_e32 v3, v113, v116
	v_cndmask_b32_e64 v113, 0, 1, vcc_lo
	v_add_co_ci_u32_e64 v3, null, 0, v3, vcc_lo
	v_lshrrev_b32_e32 v98, v113, v98
; %bb.5109:                             ;   in Loop: Header=BB6_4953 Depth=2
	s_andn2_saveexec_b32 s12, s12
; %bb.5110:                             ;   in Loop: Header=BB6_4953 Depth=2
	v_bfe_u32 v3, v98, 23, 1
; %bb.5111:                             ;   in Loop: Header=BB6_4953 Depth=2
	s_or_b32 exec_lo, exec_lo, s12
	v_lshrrev_b32_e32 v98, 20, v98
	v_cmp_gt_i32_e32 vcc_lo, 16, v3
	v_min_i32_e32 v113, 15, v3
	v_and_b32_sdwa v2, v2, v119 dst_sel:DWORD dst_unused:UNUSED_PAD src0_sel:BYTE_3 src1_sel:DWORD
	v_cndmask_b32_e32 v98, 7, v98, vcc_lo
	v_lshlrev_b32_e32 v113, 3, v113
	v_and_b32_e32 v116, 7, v98
	v_or_b32_e32 v3, v3, v98
	v_or3_b32 v2, v113, v2, v116
	v_cmp_ne_u32_e32 vcc_lo, 0, v3
	v_cndmask_b32_e32 v98, 0, v2, vcc_lo
.LBB6_5112:                             ;   in Loop: Header=BB6_4953 Depth=2
	s_or_b32 exec_lo, exec_lo, s28
.LBB6_5113:                             ;   in Loop: Header=BB6_4953 Depth=2
	s_or_b32 exec_lo, exec_lo, s27
	v_cmp_gt_i16_sdwa s27, v108, v115 src0_sel:BYTE_0 src1_sel:DWORD
	s_mov_b32 s12, 0
	s_and_saveexec_b32 s28, s27
	s_xor_b32 s27, exec_lo, s28
	s_cbranch_execz .LBB6_5623
; %bb.5114:                             ;   in Loop: Header=BB6_4953 Depth=2
	v_cmp_eq_u16_sdwa s29, v108, v119 src0_sel:BYTE_0 src1_sel:DWORD
	s_mov_b32 s12, -1
	s_and_saveexec_b32 s28, s29
; %bb.5115:                             ;   in Loop: Header=BB6_4953 Depth=2
	s_xor_b32 s12, exec_lo, -1
; %bb.5116:                             ;   in Loop: Header=BB6_4953 Depth=2
	s_or_b32 exec_lo, exec_lo, s28
	s_and_b32 s12, s12, exec_lo
	s_or_saveexec_b32 s27, s27
	v_mov_b32_e32 v2, 0x7f800001
	s_xor_b32 exec_lo, exec_lo, s27
	s_cbranch_execnz .LBB6_5624
.LBB6_5117:                             ;   in Loop: Header=BB6_4953 Depth=2
	s_or_b32 exec_lo, exec_lo, s27
	s_and_saveexec_b32 s27, s12
	s_cbranch_execz .LBB6_5119
.LBB6_5118:                             ;   in Loop: Header=BB6_4953 Depth=2
	v_and_b32_e32 v2, 7, v108
	v_lshrrev_b16 v113, 3, v108
	v_ffbh_u32_e32 v3, v2
	v_and_b32_e32 v113, 15, v113
	v_min_u32_e32 v3, 32, v3
	v_cmp_eq_u32_e32 vcc_lo, 0, v113
	v_subrev_nc_u32_e32 v116, 28, v3
	v_sub_nc_u32_e32 v3, 29, v3
	v_lshlrev_b32_e32 v116, v116, v108
	v_lshlrev_b32_e32 v108, 24, v108
	v_cndmask_b32_e32 v3, v113, v3, vcc_lo
	v_and_b32_e32 v116, 7, v116
	v_and_b32_e32 v113, 0x80000000, v108
	v_lshl_add_u32 v3, v3, 23, 0x3b800000
	v_cndmask_b32_e32 v2, v2, v116, vcc_lo
	v_lshlrev_b32_e32 v2, 20, v2
	v_or3_b32 v2, v113, v3, v2
.LBB6_5119:                             ;   in Loop: Header=BB6_4953 Depth=2
	s_or_b32 exec_lo, exec_lo, s27
	s_waitcnt vmcnt(23) lgkmcnt(23)
	v_cmp_gt_i16_sdwa s27, v101, v115 src0_sel:BYTE_0 src1_sel:DWORD
	s_mov_b32 s12, 0
	s_and_saveexec_b32 s28, s27
	s_xor_b32 s27, exec_lo, s28
	s_cbranch_execz .LBB6_5625
; %bb.5120:                             ;   in Loop: Header=BB6_4953 Depth=2
	v_cmp_eq_u16_sdwa s29, v101, v119 src0_sel:BYTE_0 src1_sel:DWORD
	s_mov_b32 s12, -1
	s_and_saveexec_b32 s28, s29
; %bb.5121:                             ;   in Loop: Header=BB6_4953 Depth=2
	s_xor_b32 s12, exec_lo, -1
; %bb.5122:                             ;   in Loop: Header=BB6_4953 Depth=2
	s_or_b32 exec_lo, exec_lo, s28
	s_and_b32 s12, s12, exec_lo
	s_or_saveexec_b32 s27, s27
	v_mov_b32_e32 v3, 0x7f800001
	s_xor_b32 exec_lo, exec_lo, s27
	s_cbranch_execnz .LBB6_5626
.LBB6_5123:                             ;   in Loop: Header=BB6_4953 Depth=2
	s_or_b32 exec_lo, exec_lo, s27
	s_and_saveexec_b32 s27, s12
	s_cbranch_execz .LBB6_5125
.LBB6_5124:                             ;   in Loop: Header=BB6_4953 Depth=2
	v_and_b32_e32 v3, 7, v101
	v_lshrrev_b16 v116, 3, v101
	v_ffbh_u32_e32 v113, v3
	v_and_b32_e32 v116, 15, v116
	v_min_u32_e32 v113, 32, v113
	v_cmp_eq_u32_e32 vcc_lo, 0, v116
	v_subrev_nc_u32_e32 v108, 28, v113
	v_sub_nc_u32_e32 v113, 29, v113
	v_lshlrev_b32_e32 v108, v108, v101
	v_lshlrev_b32_e32 v101, 24, v101
	v_cndmask_b32_e32 v113, v116, v113, vcc_lo
	v_and_b32_e32 v108, 7, v108
	v_and_b32_e32 v101, 0x80000000, v101
	v_lshl_add_u32 v113, v113, 23, 0x3b800000
	v_cndmask_b32_e32 v3, v3, v108, vcc_lo
	v_lshlrev_b32_e32 v3, 20, v3
	v_or3_b32 v3, v101, v113, v3
.LBB6_5125:                             ;   in Loop: Header=BB6_4953 Depth=2
	s_or_b32 exec_lo, exec_lo, s27
	v_add_f32_e32 v2, v2, v3
	v_mov_b32_e32 v101, 0x80
	s_mov_b32 s27, exec_lo
	v_and_b32_e32 v3, 0x7f800000, v2
	v_cmpx_ne_u32_e32 0x7f800000, v3
	s_cbranch_execz .LBB6_5133
; %bb.5126:                             ;   in Loop: Header=BB6_4953 Depth=2
	v_mov_b32_e32 v101, 0
	s_mov_b32 s28, exec_lo
	v_cmpx_ne_u32_e32 0, v2
	s_cbranch_execz .LBB6_5132
; %bb.5127:                             ;   in Loop: Header=BB6_4953 Depth=2
	v_bfe_u32 v3, v2, 23, 8
	v_and_b32_e32 v101, 0x7fffff, v2
	v_sub_nc_u32_e32 v113, 0x78, v3
	v_cmp_gt_u32_e32 vcc_lo, 0x79, v3
	v_or_b32_e32 v116, 0x800000, v101
	v_cndmask_b32_e32 v113, 0, v113, vcc_lo
	v_cmp_eq_u32_e32 vcc_lo, 0, v3
	v_add_nc_u32_e32 v3, 0xffffff89, v3
	v_cndmask_b32_e64 v113, v113, 0x77, vcc_lo
	v_cndmask_b32_e32 v101, v116, v101, vcc_lo
	v_cndmask_b32_e64 v3, v3, 0xffffff8a, vcc_lo
	v_lshl_add_u32 v116, 0x100000, v113, -1
	v_lshrrev_b32_e32 v108, v113, v101
	v_lshlrev_b32_e64 v110, v113, 0x80000
	v_add_nc_u32_e32 v113, v113, v3
	v_and_b32_e32 v101, v116, v101
	v_bfe_u32 v109, v108, 20, 1
	v_cmp_eq_u32_e64 s12, v101, v110
	v_add_nc_u32_e32 v116, -1, v109
	v_cndmask_b32_e64 v101, 0, v116, s12
	v_lshrrev_b32_e32 v116, 23, v108
	s_mov_b32 s12, exec_lo
	v_add_nc_u32_e32 v101, v101, v108
	v_xor_b32_e32 v116, 1, v116
	v_and_b32_e32 v3, 0xfffff, v101
	v_add_nc_u32_e32 v101, v3, v108
                                        ; implicit-def: $vgpr3
	v_cmpx_ne_u32_e64 v113, v116
	s_xor_b32 s12, exec_lo, s12
; %bb.5128:                             ;   in Loop: Header=BB6_4953 Depth=2
	v_cmp_lt_u32_e32 vcc_lo, 0xffffff, v101
	v_sub_nc_u32_e32 v3, v113, v116
	v_cndmask_b32_e64 v113, 0, 1, vcc_lo
	v_add_co_ci_u32_e64 v3, null, 0, v3, vcc_lo
	v_lshrrev_b32_e32 v101, v113, v101
; %bb.5129:                             ;   in Loop: Header=BB6_4953 Depth=2
	s_andn2_saveexec_b32 s12, s12
; %bb.5130:                             ;   in Loop: Header=BB6_4953 Depth=2
	v_bfe_u32 v3, v101, 23, 1
; %bb.5131:                             ;   in Loop: Header=BB6_4953 Depth=2
	s_or_b32 exec_lo, exec_lo, s12
	v_lshrrev_b32_e32 v101, 20, v101
	v_cmp_gt_i32_e32 vcc_lo, 16, v3
	v_min_i32_e32 v113, 15, v3
	v_and_b32_sdwa v2, v2, v119 dst_sel:DWORD dst_unused:UNUSED_PAD src0_sel:BYTE_3 src1_sel:DWORD
	v_cndmask_b32_e32 v101, 7, v101, vcc_lo
	v_lshlrev_b32_e32 v113, 3, v113
	v_and_b32_e32 v116, 7, v101
	v_or_b32_e32 v3, v3, v101
	v_or3_b32 v2, v113, v2, v116
	v_cmp_ne_u32_e32 vcc_lo, 0, v3
	v_cndmask_b32_e32 v101, 0, v2, vcc_lo
.LBB6_5132:                             ;   in Loop: Header=BB6_4953 Depth=2
	s_or_b32 exec_lo, exec_lo, s28
.LBB6_5133:                             ;   in Loop: Header=BB6_4953 Depth=2
	s_or_b32 exec_lo, exec_lo, s27
	v_cmp_gt_i16_sdwa s27, v107, v115 src0_sel:BYTE_0 src1_sel:DWORD
	s_mov_b32 s12, 0
	s_and_saveexec_b32 s28, s27
	s_xor_b32 s27, exec_lo, s28
	s_cbranch_execz .LBB6_5627
; %bb.5134:                             ;   in Loop: Header=BB6_4953 Depth=2
	v_cmp_eq_u16_sdwa s29, v107, v119 src0_sel:BYTE_0 src1_sel:DWORD
	s_mov_b32 s12, -1
	s_and_saveexec_b32 s28, s29
; %bb.5135:                             ;   in Loop: Header=BB6_4953 Depth=2
	s_xor_b32 s12, exec_lo, -1
; %bb.5136:                             ;   in Loop: Header=BB6_4953 Depth=2
	s_or_b32 exec_lo, exec_lo, s28
	s_and_b32 s12, s12, exec_lo
	s_or_saveexec_b32 s27, s27
	v_mov_b32_e32 v2, 0x7f800001
	s_xor_b32 exec_lo, exec_lo, s27
	s_cbranch_execnz .LBB6_5628
.LBB6_5137:                             ;   in Loop: Header=BB6_4953 Depth=2
	s_or_b32 exec_lo, exec_lo, s27
	s_and_saveexec_b32 s27, s12
	s_cbranch_execz .LBB6_5139
.LBB6_5138:                             ;   in Loop: Header=BB6_4953 Depth=2
	v_and_b32_e32 v2, 7, v107
	v_lshrrev_b16 v113, 3, v107
	v_ffbh_u32_e32 v3, v2
	v_and_b32_e32 v113, 15, v113
	v_min_u32_e32 v3, 32, v3
	v_cmp_eq_u32_e32 vcc_lo, 0, v113
	v_subrev_nc_u32_e32 v116, 28, v3
	v_sub_nc_u32_e32 v3, 29, v3
	v_lshlrev_b32_e32 v116, v116, v107
	v_lshlrev_b32_e32 v107, 24, v107
	v_cndmask_b32_e32 v3, v113, v3, vcc_lo
	v_and_b32_e32 v116, 7, v116
	v_and_b32_e32 v113, 0x80000000, v107
	v_lshl_add_u32 v3, v3, 23, 0x3b800000
	v_cndmask_b32_e32 v2, v2, v116, vcc_lo
	v_lshlrev_b32_e32 v2, 20, v2
	v_or3_b32 v2, v113, v3, v2
.LBB6_5139:                             ;   in Loop: Header=BB6_4953 Depth=2
	s_or_b32 exec_lo, exec_lo, s27
	s_waitcnt vmcnt(22) lgkmcnt(22)
	v_cmp_gt_i16_sdwa s27, v60, v115 src0_sel:BYTE_0 src1_sel:DWORD
	s_mov_b32 s12, 0
	s_and_saveexec_b32 s28, s27
	s_xor_b32 s27, exec_lo, s28
	s_cbranch_execz .LBB6_5629
; %bb.5140:                             ;   in Loop: Header=BB6_4953 Depth=2
	v_cmp_eq_u16_sdwa s29, v60, v119 src0_sel:BYTE_0 src1_sel:DWORD
	s_mov_b32 s12, -1
	s_and_saveexec_b32 s28, s29
; %bb.5141:                             ;   in Loop: Header=BB6_4953 Depth=2
	s_xor_b32 s12, exec_lo, -1
; %bb.5142:                             ;   in Loop: Header=BB6_4953 Depth=2
	s_or_b32 exec_lo, exec_lo, s28
	s_and_b32 s12, s12, exec_lo
	s_or_saveexec_b32 s27, s27
	v_mov_b32_e32 v3, 0x7f800001
	s_xor_b32 exec_lo, exec_lo, s27
	s_cbranch_execnz .LBB6_5630
.LBB6_5143:                             ;   in Loop: Header=BB6_4953 Depth=2
	s_or_b32 exec_lo, exec_lo, s27
	s_and_saveexec_b32 s27, s12
	s_cbranch_execz .LBB6_5145
.LBB6_5144:                             ;   in Loop: Header=BB6_4953 Depth=2
	v_and_b32_e32 v3, 7, v60
	v_lshrrev_b16 v116, 3, v60
	v_ffbh_u32_e32 v113, v3
	v_and_b32_e32 v116, 15, v116
	v_min_u32_e32 v113, 32, v113
	v_cmp_eq_u32_e32 vcc_lo, 0, v116
	v_subrev_nc_u32_e32 v107, 28, v113
	v_sub_nc_u32_e32 v113, 29, v113
	v_lshlrev_b32_e32 v107, v107, v60
	v_lshlrev_b32_e32 v60, 24, v60
	v_cndmask_b32_e32 v113, v116, v113, vcc_lo
	v_and_b32_e32 v107, 7, v107
	v_and_b32_e32 v116, 0x80000000, v60
	v_lshl_add_u32 v113, v113, 23, 0x3b800000
	v_cndmask_b32_e32 v3, v3, v107, vcc_lo
	v_lshlrev_b32_e32 v3, 20, v3
	v_or3_b32 v3, v116, v113, v3
.LBB6_5145:                             ;   in Loop: Header=BB6_4953 Depth=2
	s_or_b32 exec_lo, exec_lo, s27
	v_add_f32_e32 v2, v2, v3
	v_mov_b32_e32 v60, 0x80
	s_mov_b32 s27, exec_lo
	v_and_b32_e32 v3, 0x7f800000, v2
	v_cmpx_ne_u32_e32 0x7f800000, v3
	s_cbranch_execz .LBB6_5153
; %bb.5146:                             ;   in Loop: Header=BB6_4953 Depth=2
	v_mov_b32_e32 v60, 0
	s_mov_b32 s28, exec_lo
	v_cmpx_ne_u32_e32 0, v2
	s_cbranch_execz .LBB6_5152
; %bb.5147:                             ;   in Loop: Header=BB6_4953 Depth=2
	v_bfe_u32 v3, v2, 23, 8
	v_and_b32_e32 v113, 0x7fffff, v2
	v_sub_nc_u32_e32 v116, 0x78, v3
	v_cmp_gt_u32_e32 vcc_lo, 0x79, v3
	v_or_b32_e32 v60, 0x800000, v113
	v_cndmask_b32_e32 v116, 0, v116, vcc_lo
	v_cmp_eq_u32_e32 vcc_lo, 0, v3
	v_add_nc_u32_e32 v3, 0xffffff89, v3
	v_cndmask_b32_e64 v116, v116, 0x77, vcc_lo
	v_cndmask_b32_e32 v113, v60, v113, vcc_lo
	v_cndmask_b32_e64 v3, v3, 0xffffff8a, vcc_lo
	v_lshl_add_u32 v60, 0x100000, v116, -1
	v_lshrrev_b32_e32 v107, v116, v113
	v_lshlrev_b32_e64 v109, v116, 0x80000
	v_add_nc_u32_e32 v116, v116, v3
	v_and_b32_e32 v113, v60, v113
	v_bfe_u32 v108, v107, 20, 1
	v_cmp_eq_u32_e64 s12, v113, v109
	v_add_nc_u32_e32 v60, -1, v108
	v_cndmask_b32_e64 v113, 0, v60, s12
	v_lshrrev_b32_e32 v60, 23, v107
	s_mov_b32 s12, exec_lo
	v_add_nc_u32_e32 v113, v113, v107
	v_xor_b32_e32 v60, 1, v60
	v_and_b32_e32 v3, 0xfffff, v113
	v_add_nc_u32_e32 v113, v3, v107
                                        ; implicit-def: $vgpr3
	v_cmpx_ne_u32_e64 v116, v60
	s_xor_b32 s12, exec_lo, s12
; %bb.5148:                             ;   in Loop: Header=BB6_4953 Depth=2
	v_cmp_lt_u32_e32 vcc_lo, 0xffffff, v113
	v_sub_nc_u32_e32 v3, v116, v60
	v_cndmask_b32_e64 v116, 0, 1, vcc_lo
	v_add_co_ci_u32_e64 v3, null, 0, v3, vcc_lo
	v_lshrrev_b32_e32 v113, v116, v113
; %bb.5149:                             ;   in Loop: Header=BB6_4953 Depth=2
	s_andn2_saveexec_b32 s12, s12
; %bb.5150:                             ;   in Loop: Header=BB6_4953 Depth=2
	v_bfe_u32 v3, v113, 23, 1
; %bb.5151:                             ;   in Loop: Header=BB6_4953 Depth=2
	s_or_b32 exec_lo, exec_lo, s12
	v_lshrrev_b32_e32 v113, 20, v113
	v_cmp_gt_i32_e32 vcc_lo, 16, v3
	v_min_i32_e32 v116, 15, v3
	v_and_b32_sdwa v2, v2, v119 dst_sel:DWORD dst_unused:UNUSED_PAD src0_sel:BYTE_3 src1_sel:DWORD
	v_cndmask_b32_e32 v113, 7, v113, vcc_lo
	v_lshlrev_b32_e32 v116, 3, v116
	v_and_b32_e32 v60, 7, v113
	v_or_b32_e32 v3, v3, v113
	v_or3_b32 v2, v116, v2, v60
	v_cmp_ne_u32_e32 vcc_lo, 0, v3
	v_cndmask_b32_e32 v60, 0, v2, vcc_lo
.LBB6_5152:                             ;   in Loop: Header=BB6_4953 Depth=2
	s_or_b32 exec_lo, exec_lo, s28
.LBB6_5153:                             ;   in Loop: Header=BB6_4953 Depth=2
	s_or_b32 exec_lo, exec_lo, s27
	v_cmp_gt_i16_sdwa s27, v106, v115 src0_sel:BYTE_0 src1_sel:DWORD
	s_mov_b32 s12, 0
	s_and_saveexec_b32 s28, s27
	s_xor_b32 s27, exec_lo, s28
	s_cbranch_execz .LBB6_5631
; %bb.5154:                             ;   in Loop: Header=BB6_4953 Depth=2
	v_cmp_eq_u16_sdwa s29, v106, v119 src0_sel:BYTE_0 src1_sel:DWORD
	s_mov_b32 s12, -1
	s_and_saveexec_b32 s28, s29
; %bb.5155:                             ;   in Loop: Header=BB6_4953 Depth=2
	s_xor_b32 s12, exec_lo, -1
; %bb.5156:                             ;   in Loop: Header=BB6_4953 Depth=2
	s_or_b32 exec_lo, exec_lo, s28
	s_and_b32 s12, s12, exec_lo
	s_or_saveexec_b32 s27, s27
	v_mov_b32_e32 v2, 0x7f800001
	s_xor_b32 exec_lo, exec_lo, s27
	s_cbranch_execnz .LBB6_5632
.LBB6_5157:                             ;   in Loop: Header=BB6_4953 Depth=2
	s_or_b32 exec_lo, exec_lo, s27
	s_and_saveexec_b32 s27, s12
	s_cbranch_execz .LBB6_5159
.LBB6_5158:                             ;   in Loop: Header=BB6_4953 Depth=2
	v_and_b32_e32 v2, 7, v106
	v_lshrrev_b16 v113, 3, v106
	v_ffbh_u32_e32 v3, v2
	v_and_b32_e32 v113, 15, v113
	v_min_u32_e32 v3, 32, v3
	v_cmp_eq_u32_e32 vcc_lo, 0, v113
	v_subrev_nc_u32_e32 v116, 28, v3
	v_sub_nc_u32_e32 v3, 29, v3
	v_lshlrev_b32_e32 v116, v116, v106
	v_lshlrev_b32_e32 v106, 24, v106
	v_cndmask_b32_e32 v3, v113, v3, vcc_lo
	v_and_b32_e32 v116, 7, v116
	v_and_b32_e32 v113, 0x80000000, v106
	v_lshl_add_u32 v3, v3, 23, 0x3b800000
	v_cndmask_b32_e32 v2, v2, v116, vcc_lo
	v_lshlrev_b32_e32 v2, 20, v2
	v_or3_b32 v2, v113, v3, v2
.LBB6_5159:                             ;   in Loop: Header=BB6_4953 Depth=2
	s_or_b32 exec_lo, exec_lo, s27
	s_waitcnt vmcnt(21) lgkmcnt(21)
	v_cmp_gt_i16_sdwa s27, v63, v115 src0_sel:BYTE_0 src1_sel:DWORD
	s_mov_b32 s12, 0
	s_and_saveexec_b32 s28, s27
	s_xor_b32 s27, exec_lo, s28
	s_cbranch_execz .LBB6_5633
; %bb.5160:                             ;   in Loop: Header=BB6_4953 Depth=2
	v_cmp_eq_u16_sdwa s29, v63, v119 src0_sel:BYTE_0 src1_sel:DWORD
	s_mov_b32 s12, -1
	s_and_saveexec_b32 s28, s29
; %bb.5161:                             ;   in Loop: Header=BB6_4953 Depth=2
	s_xor_b32 s12, exec_lo, -1
; %bb.5162:                             ;   in Loop: Header=BB6_4953 Depth=2
	s_or_b32 exec_lo, exec_lo, s28
	s_and_b32 s12, s12, exec_lo
	s_or_saveexec_b32 s27, s27
	v_mov_b32_e32 v3, 0x7f800001
	s_xor_b32 exec_lo, exec_lo, s27
	s_cbranch_execnz .LBB6_5634
.LBB6_5163:                             ;   in Loop: Header=BB6_4953 Depth=2
	s_or_b32 exec_lo, exec_lo, s27
	s_and_saveexec_b32 s27, s12
	s_cbranch_execz .LBB6_5165
.LBB6_5164:                             ;   in Loop: Header=BB6_4953 Depth=2
	v_and_b32_e32 v3, 7, v63
	v_lshrrev_b16 v116, 3, v63
	v_ffbh_u32_e32 v113, v3
	v_and_b32_e32 v116, 15, v116
	v_min_u32_e32 v113, 32, v113
	v_cmp_eq_u32_e32 vcc_lo, 0, v116
	v_subrev_nc_u32_e32 v106, 28, v113
	v_sub_nc_u32_e32 v113, 29, v113
	v_lshlrev_b32_e32 v106, v106, v63
	v_lshlrev_b32_e32 v63, 24, v63
	v_cndmask_b32_e32 v113, v116, v113, vcc_lo
	v_and_b32_e32 v106, 7, v106
	v_and_b32_e32 v116, 0x80000000, v63
	v_lshl_add_u32 v113, v113, 23, 0x3b800000
	v_cndmask_b32_e32 v3, v3, v106, vcc_lo
	v_lshlrev_b32_e32 v3, 20, v3
	v_or3_b32 v3, v116, v113, v3
.LBB6_5165:                             ;   in Loop: Header=BB6_4953 Depth=2
	s_or_b32 exec_lo, exec_lo, s27
	v_add_f32_e32 v2, v2, v3
	v_mov_b32_e32 v63, 0x80
	s_mov_b32 s27, exec_lo
	v_and_b32_e32 v3, 0x7f800000, v2
	v_cmpx_ne_u32_e32 0x7f800000, v3
	s_cbranch_execz .LBB6_5173
; %bb.5166:                             ;   in Loop: Header=BB6_4953 Depth=2
	v_mov_b32_e32 v63, 0
	s_mov_b32 s28, exec_lo
	v_cmpx_ne_u32_e32 0, v2
	s_cbranch_execz .LBB6_5172
; %bb.5167:                             ;   in Loop: Header=BB6_4953 Depth=2
	v_bfe_u32 v3, v2, 23, 8
	v_and_b32_e32 v113, 0x7fffff, v2
	v_sub_nc_u32_e32 v116, 0x78, v3
	v_cmp_gt_u32_e32 vcc_lo, 0x79, v3
	v_or_b32_e32 v63, 0x800000, v113
	v_cndmask_b32_e32 v116, 0, v116, vcc_lo
	v_cmp_eq_u32_e32 vcc_lo, 0, v3
	v_add_nc_u32_e32 v3, 0xffffff89, v3
	v_cndmask_b32_e64 v116, v116, 0x77, vcc_lo
	v_cndmask_b32_e32 v113, v63, v113, vcc_lo
	v_cndmask_b32_e64 v3, v3, 0xffffff8a, vcc_lo
	v_lshl_add_u32 v63, 0x100000, v116, -1
	v_lshrrev_b32_e32 v106, v116, v113
	v_lshlrev_b32_e64 v108, v116, 0x80000
	v_add_nc_u32_e32 v116, v116, v3
	v_and_b32_e32 v113, v63, v113
	v_bfe_u32 v107, v106, 20, 1
	v_cmp_eq_u32_e64 s12, v113, v108
	v_add_nc_u32_e32 v63, -1, v107
	v_cndmask_b32_e64 v113, 0, v63, s12
	v_lshrrev_b32_e32 v63, 23, v106
	s_mov_b32 s12, exec_lo
	v_add_nc_u32_e32 v113, v113, v106
	v_xor_b32_e32 v63, 1, v63
	v_and_b32_e32 v3, 0xfffff, v113
	v_add_nc_u32_e32 v113, v3, v106
                                        ; implicit-def: $vgpr3
	v_cmpx_ne_u32_e64 v116, v63
	s_xor_b32 s12, exec_lo, s12
; %bb.5168:                             ;   in Loop: Header=BB6_4953 Depth=2
	v_cmp_lt_u32_e32 vcc_lo, 0xffffff, v113
	v_sub_nc_u32_e32 v3, v116, v63
	v_cndmask_b32_e64 v116, 0, 1, vcc_lo
	v_add_co_ci_u32_e64 v3, null, 0, v3, vcc_lo
	v_lshrrev_b32_e32 v113, v116, v113
; %bb.5169:                             ;   in Loop: Header=BB6_4953 Depth=2
	s_andn2_saveexec_b32 s12, s12
; %bb.5170:                             ;   in Loop: Header=BB6_4953 Depth=2
	v_bfe_u32 v3, v113, 23, 1
; %bb.5171:                             ;   in Loop: Header=BB6_4953 Depth=2
	s_or_b32 exec_lo, exec_lo, s12
	v_lshrrev_b32_e32 v113, 20, v113
	v_cmp_gt_i32_e32 vcc_lo, 16, v3
	v_min_i32_e32 v116, 15, v3
	v_and_b32_sdwa v2, v2, v119 dst_sel:DWORD dst_unused:UNUSED_PAD src0_sel:BYTE_3 src1_sel:DWORD
	v_cndmask_b32_e32 v113, 7, v113, vcc_lo
	v_lshlrev_b32_e32 v116, 3, v116
	v_and_b32_e32 v63, 7, v113
	v_or_b32_e32 v3, v3, v113
	v_or3_b32 v2, v116, v2, v63
	v_cmp_ne_u32_e32 vcc_lo, 0, v3
	v_cndmask_b32_e32 v63, 0, v2, vcc_lo
.LBB6_5172:                             ;   in Loop: Header=BB6_4953 Depth=2
	s_or_b32 exec_lo, exec_lo, s28
.LBB6_5173:                             ;   in Loop: Header=BB6_4953 Depth=2
	s_or_b32 exec_lo, exec_lo, s27
	v_cmp_gt_i16_sdwa s27, v105, v115 src0_sel:BYTE_0 src1_sel:DWORD
	s_mov_b32 s12, 0
	s_and_saveexec_b32 s28, s27
	s_xor_b32 s27, exec_lo, s28
	s_cbranch_execz .LBB6_5635
; %bb.5174:                             ;   in Loop: Header=BB6_4953 Depth=2
	v_cmp_eq_u16_sdwa s29, v105, v119 src0_sel:BYTE_0 src1_sel:DWORD
	s_mov_b32 s12, -1
	s_and_saveexec_b32 s28, s29
; %bb.5175:                             ;   in Loop: Header=BB6_4953 Depth=2
	s_xor_b32 s12, exec_lo, -1
; %bb.5176:                             ;   in Loop: Header=BB6_4953 Depth=2
	s_or_b32 exec_lo, exec_lo, s28
	s_and_b32 s12, s12, exec_lo
	s_or_saveexec_b32 s27, s27
	v_mov_b32_e32 v2, 0x7f800001
	s_xor_b32 exec_lo, exec_lo, s27
	s_cbranch_execnz .LBB6_5636
.LBB6_5177:                             ;   in Loop: Header=BB6_4953 Depth=2
	s_or_b32 exec_lo, exec_lo, s27
	s_and_saveexec_b32 s27, s12
	s_cbranch_execz .LBB6_5179
.LBB6_5178:                             ;   in Loop: Header=BB6_4953 Depth=2
	v_and_b32_e32 v2, 7, v105
	v_lshrrev_b16 v113, 3, v105
	v_ffbh_u32_e32 v3, v2
	v_and_b32_e32 v113, 15, v113
	v_min_u32_e32 v3, 32, v3
	v_cmp_eq_u32_e32 vcc_lo, 0, v113
	v_subrev_nc_u32_e32 v116, 28, v3
	v_sub_nc_u32_e32 v3, 29, v3
	v_lshlrev_b32_e32 v116, v116, v105
	v_lshlrev_b32_e32 v105, 24, v105
	v_cndmask_b32_e32 v3, v113, v3, vcc_lo
	v_and_b32_e32 v116, 7, v116
	v_and_b32_e32 v113, 0x80000000, v105
	v_lshl_add_u32 v3, v3, 23, 0x3b800000
	v_cndmask_b32_e32 v2, v2, v116, vcc_lo
	v_lshlrev_b32_e32 v2, 20, v2
	v_or3_b32 v2, v113, v3, v2
.LBB6_5179:                             ;   in Loop: Header=BB6_4953 Depth=2
	s_or_b32 exec_lo, exec_lo, s27
	s_waitcnt vmcnt(20) lgkmcnt(20)
	v_cmp_gt_i16_sdwa s27, v73, v115 src0_sel:BYTE_0 src1_sel:DWORD
	s_mov_b32 s12, 0
	s_and_saveexec_b32 s28, s27
	s_xor_b32 s27, exec_lo, s28
	s_cbranch_execz .LBB6_5637
; %bb.5180:                             ;   in Loop: Header=BB6_4953 Depth=2
	v_cmp_eq_u16_sdwa s29, v73, v119 src0_sel:BYTE_0 src1_sel:DWORD
	s_mov_b32 s12, -1
	s_and_saveexec_b32 s28, s29
; %bb.5181:                             ;   in Loop: Header=BB6_4953 Depth=2
	s_xor_b32 s12, exec_lo, -1
; %bb.5182:                             ;   in Loop: Header=BB6_4953 Depth=2
	s_or_b32 exec_lo, exec_lo, s28
	s_and_b32 s12, s12, exec_lo
	s_or_saveexec_b32 s27, s27
	v_mov_b32_e32 v3, 0x7f800001
	s_xor_b32 exec_lo, exec_lo, s27
	s_cbranch_execnz .LBB6_5638
.LBB6_5183:                             ;   in Loop: Header=BB6_4953 Depth=2
	s_or_b32 exec_lo, exec_lo, s27
	s_and_saveexec_b32 s27, s12
	s_cbranch_execz .LBB6_5185
.LBB6_5184:                             ;   in Loop: Header=BB6_4953 Depth=2
	v_and_b32_e32 v3, 7, v73
	v_lshrrev_b16 v116, 3, v73
	v_ffbh_u32_e32 v113, v3
	v_and_b32_e32 v116, 15, v116
	v_min_u32_e32 v113, 32, v113
	v_cmp_eq_u32_e32 vcc_lo, 0, v116
	v_subrev_nc_u32_e32 v105, 28, v113
	v_sub_nc_u32_e32 v113, 29, v113
	v_lshlrev_b32_e32 v105, v105, v73
	v_lshlrev_b32_e32 v73, 24, v73
	v_cndmask_b32_e32 v113, v116, v113, vcc_lo
	v_and_b32_e32 v105, 7, v105
	v_and_b32_e32 v116, 0x80000000, v73
	v_lshl_add_u32 v113, v113, 23, 0x3b800000
	v_cndmask_b32_e32 v3, v3, v105, vcc_lo
	v_lshlrev_b32_e32 v3, 20, v3
	v_or3_b32 v3, v116, v113, v3
.LBB6_5185:                             ;   in Loop: Header=BB6_4953 Depth=2
	s_or_b32 exec_lo, exec_lo, s27
	v_add_f32_e32 v2, v2, v3
	v_mov_b32_e32 v73, 0x80
	s_mov_b32 s27, exec_lo
	v_and_b32_e32 v3, 0x7f800000, v2
	v_cmpx_ne_u32_e32 0x7f800000, v3
	s_cbranch_execz .LBB6_5193
; %bb.5186:                             ;   in Loop: Header=BB6_4953 Depth=2
	v_mov_b32_e32 v73, 0
	s_mov_b32 s28, exec_lo
	v_cmpx_ne_u32_e32 0, v2
	s_cbranch_execz .LBB6_5192
; %bb.5187:                             ;   in Loop: Header=BB6_4953 Depth=2
	v_bfe_u32 v3, v2, 23, 8
	v_and_b32_e32 v113, 0x7fffff, v2
	v_sub_nc_u32_e32 v116, 0x78, v3
	v_cmp_gt_u32_e32 vcc_lo, 0x79, v3
	v_or_b32_e32 v73, 0x800000, v113
	v_cndmask_b32_e32 v116, 0, v116, vcc_lo
	v_cmp_eq_u32_e32 vcc_lo, 0, v3
	v_add_nc_u32_e32 v3, 0xffffff89, v3
	v_cndmask_b32_e64 v116, v116, 0x77, vcc_lo
	v_cndmask_b32_e32 v113, v73, v113, vcc_lo
	v_cndmask_b32_e64 v3, v3, 0xffffff8a, vcc_lo
	v_lshl_add_u32 v73, 0x100000, v116, -1
	v_lshrrev_b32_e32 v105, v116, v113
	v_lshlrev_b32_e64 v107, v116, 0x80000
	v_add_nc_u32_e32 v116, v116, v3
	v_and_b32_e32 v113, v73, v113
	v_bfe_u32 v106, v105, 20, 1
	v_cmp_eq_u32_e64 s12, v113, v107
	v_add_nc_u32_e32 v73, -1, v106
	v_cndmask_b32_e64 v113, 0, v73, s12
	v_lshrrev_b32_e32 v73, 23, v105
	s_mov_b32 s12, exec_lo
	v_add_nc_u32_e32 v113, v113, v105
	v_xor_b32_e32 v73, 1, v73
	v_and_b32_e32 v3, 0xfffff, v113
	v_add_nc_u32_e32 v113, v3, v105
                                        ; implicit-def: $vgpr3
	v_cmpx_ne_u32_e64 v116, v73
	s_xor_b32 s12, exec_lo, s12
; %bb.5188:                             ;   in Loop: Header=BB6_4953 Depth=2
	v_cmp_lt_u32_e32 vcc_lo, 0xffffff, v113
	v_sub_nc_u32_e32 v3, v116, v73
	v_cndmask_b32_e64 v116, 0, 1, vcc_lo
	v_add_co_ci_u32_e64 v3, null, 0, v3, vcc_lo
	v_lshrrev_b32_e32 v113, v116, v113
; %bb.5189:                             ;   in Loop: Header=BB6_4953 Depth=2
	s_andn2_saveexec_b32 s12, s12
; %bb.5190:                             ;   in Loop: Header=BB6_4953 Depth=2
	v_bfe_u32 v3, v113, 23, 1
; %bb.5191:                             ;   in Loop: Header=BB6_4953 Depth=2
	s_or_b32 exec_lo, exec_lo, s12
	v_lshrrev_b32_e32 v113, 20, v113
	v_cmp_gt_i32_e32 vcc_lo, 16, v3
	v_min_i32_e32 v116, 15, v3
	v_and_b32_sdwa v2, v2, v119 dst_sel:DWORD dst_unused:UNUSED_PAD src0_sel:BYTE_3 src1_sel:DWORD
	v_cndmask_b32_e32 v113, 7, v113, vcc_lo
	v_lshlrev_b32_e32 v116, 3, v116
	v_and_b32_e32 v73, 7, v113
	v_or_b32_e32 v3, v3, v113
	v_or3_b32 v2, v116, v2, v73
	v_cmp_ne_u32_e32 vcc_lo, 0, v3
	v_cndmask_b32_e32 v73, 0, v2, vcc_lo
.LBB6_5192:                             ;   in Loop: Header=BB6_4953 Depth=2
	s_or_b32 exec_lo, exec_lo, s28
.LBB6_5193:                             ;   in Loop: Header=BB6_4953 Depth=2
	s_or_b32 exec_lo, exec_lo, s27
	v_cmp_gt_i16_sdwa s27, v104, v115 src0_sel:BYTE_0 src1_sel:DWORD
	s_mov_b32 s12, 0
	s_and_saveexec_b32 s28, s27
	s_xor_b32 s27, exec_lo, s28
	s_cbranch_execz .LBB6_5639
; %bb.5194:                             ;   in Loop: Header=BB6_4953 Depth=2
	v_cmp_eq_u16_sdwa s29, v104, v119 src0_sel:BYTE_0 src1_sel:DWORD
	s_mov_b32 s12, -1
	s_and_saveexec_b32 s28, s29
; %bb.5195:                             ;   in Loop: Header=BB6_4953 Depth=2
	s_xor_b32 s12, exec_lo, -1
; %bb.5196:                             ;   in Loop: Header=BB6_4953 Depth=2
	s_or_b32 exec_lo, exec_lo, s28
	s_and_b32 s12, s12, exec_lo
	s_or_saveexec_b32 s27, s27
	v_mov_b32_e32 v2, 0x7f800001
	s_xor_b32 exec_lo, exec_lo, s27
	s_cbranch_execnz .LBB6_5640
.LBB6_5197:                             ;   in Loop: Header=BB6_4953 Depth=2
	s_or_b32 exec_lo, exec_lo, s27
	s_and_saveexec_b32 s27, s12
	s_cbranch_execz .LBB6_5199
.LBB6_5198:                             ;   in Loop: Header=BB6_4953 Depth=2
	v_and_b32_e32 v2, 7, v104
	v_lshrrev_b16 v113, 3, v104
	v_ffbh_u32_e32 v3, v2
	v_and_b32_e32 v113, 15, v113
	v_min_u32_e32 v3, 32, v3
	v_cmp_eq_u32_e32 vcc_lo, 0, v113
	v_subrev_nc_u32_e32 v116, 28, v3
	v_sub_nc_u32_e32 v3, 29, v3
	v_lshlrev_b32_e32 v116, v116, v104
	v_lshlrev_b32_e32 v104, 24, v104
	v_cndmask_b32_e32 v3, v113, v3, vcc_lo
	v_and_b32_e32 v116, 7, v116
	v_and_b32_e32 v113, 0x80000000, v104
	v_lshl_add_u32 v3, v3, 23, 0x3b800000
	v_cndmask_b32_e32 v2, v2, v116, vcc_lo
	v_lshlrev_b32_e32 v2, 20, v2
	v_or3_b32 v2, v113, v3, v2
.LBB6_5199:                             ;   in Loop: Header=BB6_4953 Depth=2
	s_or_b32 exec_lo, exec_lo, s27
	s_waitcnt vmcnt(19) lgkmcnt(19)
	v_cmp_gt_i16_sdwa s27, v76, v115 src0_sel:BYTE_0 src1_sel:DWORD
	s_mov_b32 s12, 0
	s_and_saveexec_b32 s28, s27
	s_xor_b32 s27, exec_lo, s28
	s_cbranch_execz .LBB6_5641
; %bb.5200:                             ;   in Loop: Header=BB6_4953 Depth=2
	v_cmp_eq_u16_sdwa s29, v76, v119 src0_sel:BYTE_0 src1_sel:DWORD
	s_mov_b32 s12, -1
	s_and_saveexec_b32 s28, s29
; %bb.5201:                             ;   in Loop: Header=BB6_4953 Depth=2
	s_xor_b32 s12, exec_lo, -1
; %bb.5202:                             ;   in Loop: Header=BB6_4953 Depth=2
	s_or_b32 exec_lo, exec_lo, s28
	s_and_b32 s12, s12, exec_lo
	s_or_saveexec_b32 s27, s27
	v_mov_b32_e32 v3, 0x7f800001
	s_xor_b32 exec_lo, exec_lo, s27
	s_cbranch_execnz .LBB6_5642
.LBB6_5203:                             ;   in Loop: Header=BB6_4953 Depth=2
	s_or_b32 exec_lo, exec_lo, s27
	s_and_saveexec_b32 s27, s12
	s_cbranch_execz .LBB6_5205
.LBB6_5204:                             ;   in Loop: Header=BB6_4953 Depth=2
	v_and_b32_e32 v3, 7, v76
	v_lshrrev_b16 v116, 3, v76
	v_ffbh_u32_e32 v113, v3
	v_and_b32_e32 v116, 15, v116
	v_min_u32_e32 v113, 32, v113
	v_cmp_eq_u32_e32 vcc_lo, 0, v116
	v_subrev_nc_u32_e32 v104, 28, v113
	v_sub_nc_u32_e32 v113, 29, v113
	v_lshlrev_b32_e32 v104, v104, v76
	v_lshlrev_b32_e32 v76, 24, v76
	v_cndmask_b32_e32 v113, v116, v113, vcc_lo
	v_and_b32_e32 v104, 7, v104
	v_and_b32_e32 v116, 0x80000000, v76
	v_lshl_add_u32 v113, v113, 23, 0x3b800000
	v_cndmask_b32_e32 v3, v3, v104, vcc_lo
	v_lshlrev_b32_e32 v3, 20, v3
	v_or3_b32 v3, v116, v113, v3
.LBB6_5205:                             ;   in Loop: Header=BB6_4953 Depth=2
	s_or_b32 exec_lo, exec_lo, s27
	v_add_f32_e32 v2, v2, v3
	v_mov_b32_e32 v76, 0x80
	s_mov_b32 s27, exec_lo
	v_and_b32_e32 v3, 0x7f800000, v2
	v_cmpx_ne_u32_e32 0x7f800000, v3
	s_cbranch_execz .LBB6_5213
; %bb.5206:                             ;   in Loop: Header=BB6_4953 Depth=2
	v_mov_b32_e32 v76, 0
	s_mov_b32 s28, exec_lo
	v_cmpx_ne_u32_e32 0, v2
	s_cbranch_execz .LBB6_5212
; %bb.5207:                             ;   in Loop: Header=BB6_4953 Depth=2
	v_bfe_u32 v3, v2, 23, 8
	v_and_b32_e32 v113, 0x7fffff, v2
	v_sub_nc_u32_e32 v116, 0x78, v3
	v_cmp_gt_u32_e32 vcc_lo, 0x79, v3
	v_or_b32_e32 v76, 0x800000, v113
	v_cndmask_b32_e32 v116, 0, v116, vcc_lo
	v_cmp_eq_u32_e32 vcc_lo, 0, v3
	v_add_nc_u32_e32 v3, 0xffffff89, v3
	v_cndmask_b32_e64 v116, v116, 0x77, vcc_lo
	v_cndmask_b32_e32 v113, v76, v113, vcc_lo
	v_cndmask_b32_e64 v3, v3, 0xffffff8a, vcc_lo
	v_lshl_add_u32 v76, 0x100000, v116, -1
	v_lshrrev_b32_e32 v104, v116, v113
	v_lshlrev_b32_e64 v106, v116, 0x80000
	v_add_nc_u32_e32 v116, v116, v3
	v_and_b32_e32 v113, v76, v113
	v_bfe_u32 v105, v104, 20, 1
	v_cmp_eq_u32_e64 s12, v113, v106
	v_add_nc_u32_e32 v76, -1, v105
	v_cndmask_b32_e64 v113, 0, v76, s12
	v_lshrrev_b32_e32 v76, 23, v104
	s_mov_b32 s12, exec_lo
	v_add_nc_u32_e32 v113, v113, v104
	v_xor_b32_e32 v76, 1, v76
	v_and_b32_e32 v3, 0xfffff, v113
	v_add_nc_u32_e32 v113, v3, v104
                                        ; implicit-def: $vgpr3
	v_cmpx_ne_u32_e64 v116, v76
	s_xor_b32 s12, exec_lo, s12
; %bb.5208:                             ;   in Loop: Header=BB6_4953 Depth=2
	v_cmp_lt_u32_e32 vcc_lo, 0xffffff, v113
	v_sub_nc_u32_e32 v3, v116, v76
	v_cndmask_b32_e64 v116, 0, 1, vcc_lo
	v_add_co_ci_u32_e64 v3, null, 0, v3, vcc_lo
	v_lshrrev_b32_e32 v113, v116, v113
; %bb.5209:                             ;   in Loop: Header=BB6_4953 Depth=2
	s_andn2_saveexec_b32 s12, s12
; %bb.5210:                             ;   in Loop: Header=BB6_4953 Depth=2
	v_bfe_u32 v3, v113, 23, 1
; %bb.5211:                             ;   in Loop: Header=BB6_4953 Depth=2
	s_or_b32 exec_lo, exec_lo, s12
	v_lshrrev_b32_e32 v113, 20, v113
	v_cmp_gt_i32_e32 vcc_lo, 16, v3
	v_min_i32_e32 v116, 15, v3
	v_and_b32_sdwa v2, v2, v119 dst_sel:DWORD dst_unused:UNUSED_PAD src0_sel:BYTE_3 src1_sel:DWORD
	v_cndmask_b32_e32 v113, 7, v113, vcc_lo
	v_lshlrev_b32_e32 v116, 3, v116
	v_and_b32_e32 v76, 7, v113
	v_or_b32_e32 v3, v3, v113
	v_or3_b32 v2, v116, v2, v76
	v_cmp_ne_u32_e32 vcc_lo, 0, v3
	v_cndmask_b32_e32 v76, 0, v2, vcc_lo
.LBB6_5212:                             ;   in Loop: Header=BB6_4953 Depth=2
	s_or_b32 exec_lo, exec_lo, s28
.LBB6_5213:                             ;   in Loop: Header=BB6_4953 Depth=2
	s_or_b32 exec_lo, exec_lo, s27
	v_cmp_gt_i16_sdwa s27, v95, v115 src0_sel:BYTE_0 src1_sel:DWORD
	s_mov_b32 s12, 0
	s_and_saveexec_b32 s28, s27
	s_xor_b32 s27, exec_lo, s28
	s_cbranch_execz .LBB6_5643
; %bb.5214:                             ;   in Loop: Header=BB6_4953 Depth=2
	v_cmp_eq_u16_sdwa s29, v95, v119 src0_sel:BYTE_0 src1_sel:DWORD
	s_mov_b32 s12, -1
	s_and_saveexec_b32 s28, s29
; %bb.5215:                             ;   in Loop: Header=BB6_4953 Depth=2
	s_xor_b32 s12, exec_lo, -1
; %bb.5216:                             ;   in Loop: Header=BB6_4953 Depth=2
	s_or_b32 exec_lo, exec_lo, s28
	s_and_b32 s12, s12, exec_lo
	s_or_saveexec_b32 s27, s27
	v_mov_b32_e32 v2, 0x7f800001
	s_xor_b32 exec_lo, exec_lo, s27
	s_cbranch_execnz .LBB6_5644
.LBB6_5217:                             ;   in Loop: Header=BB6_4953 Depth=2
	s_or_b32 exec_lo, exec_lo, s27
	s_and_saveexec_b32 s27, s12
	s_cbranch_execz .LBB6_5219
.LBB6_5218:                             ;   in Loop: Header=BB6_4953 Depth=2
	v_and_b32_e32 v2, 7, v95
	v_lshrrev_b16 v113, 3, v95
	v_ffbh_u32_e32 v3, v2
	v_and_b32_e32 v113, 15, v113
	v_min_u32_e32 v3, 32, v3
	v_cmp_eq_u32_e32 vcc_lo, 0, v113
	v_subrev_nc_u32_e32 v116, 28, v3
	v_sub_nc_u32_e32 v3, 29, v3
	v_lshlrev_b32_e32 v116, v116, v95
	v_lshlrev_b32_e32 v95, 24, v95
	v_cndmask_b32_e32 v3, v113, v3, vcc_lo
	v_and_b32_e32 v116, 7, v116
	v_and_b32_e32 v113, 0x80000000, v95
	v_lshl_add_u32 v3, v3, 23, 0x3b800000
	v_cndmask_b32_e32 v2, v2, v116, vcc_lo
	v_lshlrev_b32_e32 v2, 20, v2
	v_or3_b32 v2, v113, v3, v2
.LBB6_5219:                             ;   in Loop: Header=BB6_4953 Depth=2
	s_or_b32 exec_lo, exec_lo, s27
	s_waitcnt vmcnt(18) lgkmcnt(18)
	v_cmp_gt_i16_sdwa s27, v79, v115 src0_sel:BYTE_0 src1_sel:DWORD
	s_mov_b32 s12, 0
	s_and_saveexec_b32 s28, s27
	s_xor_b32 s27, exec_lo, s28
	s_cbranch_execz .LBB6_5645
; %bb.5220:                             ;   in Loop: Header=BB6_4953 Depth=2
	v_cmp_eq_u16_sdwa s29, v79, v119 src0_sel:BYTE_0 src1_sel:DWORD
	s_mov_b32 s12, -1
	s_and_saveexec_b32 s28, s29
; %bb.5221:                             ;   in Loop: Header=BB6_4953 Depth=2
	s_xor_b32 s12, exec_lo, -1
; %bb.5222:                             ;   in Loop: Header=BB6_4953 Depth=2
	s_or_b32 exec_lo, exec_lo, s28
	s_and_b32 s12, s12, exec_lo
	s_or_saveexec_b32 s27, s27
	v_mov_b32_e32 v3, 0x7f800001
	s_xor_b32 exec_lo, exec_lo, s27
	s_cbranch_execnz .LBB6_5646
.LBB6_5223:                             ;   in Loop: Header=BB6_4953 Depth=2
	s_or_b32 exec_lo, exec_lo, s27
	s_and_saveexec_b32 s27, s12
	s_cbranch_execz .LBB6_5225
.LBB6_5224:                             ;   in Loop: Header=BB6_4953 Depth=2
	v_and_b32_e32 v3, 7, v79
	v_lshrrev_b16 v116, 3, v79
	v_ffbh_u32_e32 v113, v3
	v_and_b32_e32 v116, 15, v116
	v_min_u32_e32 v113, 32, v113
	v_cmp_eq_u32_e32 vcc_lo, 0, v116
	v_subrev_nc_u32_e32 v95, 28, v113
	v_sub_nc_u32_e32 v113, 29, v113
	v_lshlrev_b32_e32 v95, v95, v79
	v_lshlrev_b32_e32 v79, 24, v79
	v_cndmask_b32_e32 v113, v116, v113, vcc_lo
	v_and_b32_e32 v95, 7, v95
	v_and_b32_e32 v116, 0x80000000, v79
	v_lshl_add_u32 v113, v113, 23, 0x3b800000
	v_cndmask_b32_e32 v3, v3, v95, vcc_lo
	v_lshlrev_b32_e32 v3, 20, v3
	v_or3_b32 v3, v116, v113, v3
.LBB6_5225:                             ;   in Loop: Header=BB6_4953 Depth=2
	s_or_b32 exec_lo, exec_lo, s27
	v_add_f32_e32 v2, v2, v3
	v_mov_b32_e32 v79, 0x80
	s_mov_b32 s27, exec_lo
	v_and_b32_e32 v3, 0x7f800000, v2
	v_cmpx_ne_u32_e32 0x7f800000, v3
	s_cbranch_execz .LBB6_5233
; %bb.5226:                             ;   in Loop: Header=BB6_4953 Depth=2
	v_mov_b32_e32 v79, 0
	s_mov_b32 s28, exec_lo
	v_cmpx_ne_u32_e32 0, v2
	s_cbranch_execz .LBB6_5232
; %bb.5227:                             ;   in Loop: Header=BB6_4953 Depth=2
	v_bfe_u32 v3, v2, 23, 8
	v_and_b32_e32 v113, 0x7fffff, v2
	v_sub_nc_u32_e32 v116, 0x78, v3
	v_cmp_gt_u32_e32 vcc_lo, 0x79, v3
	v_or_b32_e32 v79, 0x800000, v113
	v_cndmask_b32_e32 v116, 0, v116, vcc_lo
	v_cmp_eq_u32_e32 vcc_lo, 0, v3
	v_add_nc_u32_e32 v3, 0xffffff89, v3
	v_cndmask_b32_e64 v116, v116, 0x77, vcc_lo
	v_cndmask_b32_e32 v113, v79, v113, vcc_lo
	v_cndmask_b32_e64 v3, v3, 0xffffff8a, vcc_lo
	v_lshl_add_u32 v79, 0x100000, v116, -1
	v_lshrrev_b32_e32 v95, v116, v113
	v_lshlrev_b32_e64 v105, v116, 0x80000
	v_add_nc_u32_e32 v116, v116, v3
	v_and_b32_e32 v113, v79, v113
	v_bfe_u32 v104, v95, 20, 1
	v_cmp_eq_u32_e64 s12, v113, v105
	v_add_nc_u32_e32 v79, -1, v104
	v_cndmask_b32_e64 v113, 0, v79, s12
	v_lshrrev_b32_e32 v79, 23, v95
	s_mov_b32 s12, exec_lo
	v_add_nc_u32_e32 v113, v113, v95
	v_xor_b32_e32 v79, 1, v79
	v_and_b32_e32 v3, 0xfffff, v113
	v_add_nc_u32_e32 v113, v3, v95
                                        ; implicit-def: $vgpr3
	v_cmpx_ne_u32_e64 v116, v79
	s_xor_b32 s12, exec_lo, s12
; %bb.5228:                             ;   in Loop: Header=BB6_4953 Depth=2
	v_cmp_lt_u32_e32 vcc_lo, 0xffffff, v113
	v_sub_nc_u32_e32 v3, v116, v79
	v_cndmask_b32_e64 v116, 0, 1, vcc_lo
	v_add_co_ci_u32_e64 v3, null, 0, v3, vcc_lo
	v_lshrrev_b32_e32 v113, v116, v113
; %bb.5229:                             ;   in Loop: Header=BB6_4953 Depth=2
	s_andn2_saveexec_b32 s12, s12
; %bb.5230:                             ;   in Loop: Header=BB6_4953 Depth=2
	v_bfe_u32 v3, v113, 23, 1
; %bb.5231:                             ;   in Loop: Header=BB6_4953 Depth=2
	s_or_b32 exec_lo, exec_lo, s12
	v_lshrrev_b32_e32 v113, 20, v113
	v_cmp_gt_i32_e32 vcc_lo, 16, v3
	v_min_i32_e32 v116, 15, v3
	v_and_b32_sdwa v2, v2, v119 dst_sel:DWORD dst_unused:UNUSED_PAD src0_sel:BYTE_3 src1_sel:DWORD
	v_cndmask_b32_e32 v113, 7, v113, vcc_lo
	v_lshlrev_b32_e32 v116, 3, v116
	v_and_b32_e32 v79, 7, v113
	v_or_b32_e32 v3, v3, v113
	v_or3_b32 v2, v116, v2, v79
	v_cmp_ne_u32_e32 vcc_lo, 0, v3
	v_cndmask_b32_e32 v79, 0, v2, vcc_lo
.LBB6_5232:                             ;   in Loop: Header=BB6_4953 Depth=2
	s_or_b32 exec_lo, exec_lo, s28
.LBB6_5233:                             ;   in Loop: Header=BB6_4953 Depth=2
	s_or_b32 exec_lo, exec_lo, s27
	v_cmp_gt_i16_sdwa s27, v94, v115 src0_sel:BYTE_0 src1_sel:DWORD
	s_mov_b32 s12, 0
	s_and_saveexec_b32 s28, s27
	s_xor_b32 s27, exec_lo, s28
	s_cbranch_execz .LBB6_5647
; %bb.5234:                             ;   in Loop: Header=BB6_4953 Depth=2
	v_cmp_eq_u16_sdwa s29, v94, v119 src0_sel:BYTE_0 src1_sel:DWORD
	s_mov_b32 s12, -1
	s_and_saveexec_b32 s28, s29
; %bb.5235:                             ;   in Loop: Header=BB6_4953 Depth=2
	s_xor_b32 s12, exec_lo, -1
; %bb.5236:                             ;   in Loop: Header=BB6_4953 Depth=2
	s_or_b32 exec_lo, exec_lo, s28
	s_and_b32 s12, s12, exec_lo
	s_or_saveexec_b32 s27, s27
	v_mov_b32_e32 v2, 0x7f800001
	s_xor_b32 exec_lo, exec_lo, s27
	s_cbranch_execnz .LBB6_5648
.LBB6_5237:                             ;   in Loop: Header=BB6_4953 Depth=2
	s_or_b32 exec_lo, exec_lo, s27
	s_and_saveexec_b32 s27, s12
	s_cbranch_execz .LBB6_5239
.LBB6_5238:                             ;   in Loop: Header=BB6_4953 Depth=2
	v_and_b32_e32 v2, 7, v94
	v_lshrrev_b16 v113, 3, v94
	v_ffbh_u32_e32 v3, v2
	v_and_b32_e32 v113, 15, v113
	v_min_u32_e32 v3, 32, v3
	v_cmp_eq_u32_e32 vcc_lo, 0, v113
	v_subrev_nc_u32_e32 v116, 28, v3
	v_sub_nc_u32_e32 v3, 29, v3
	v_lshlrev_b32_e32 v116, v116, v94
	v_lshlrev_b32_e32 v94, 24, v94
	v_cndmask_b32_e32 v3, v113, v3, vcc_lo
	v_and_b32_e32 v116, 7, v116
	v_and_b32_e32 v113, 0x80000000, v94
	v_lshl_add_u32 v3, v3, 23, 0x3b800000
	v_cndmask_b32_e32 v2, v2, v116, vcc_lo
	v_lshlrev_b32_e32 v2, 20, v2
	v_or3_b32 v2, v113, v3, v2
.LBB6_5239:                             ;   in Loop: Header=BB6_4953 Depth=2
	s_or_b32 exec_lo, exec_lo, s27
	s_waitcnt vmcnt(17) lgkmcnt(17)
	v_cmp_gt_i16_sdwa s27, v90, v115 src0_sel:BYTE_0 src1_sel:DWORD
	s_mov_b32 s12, 0
	s_and_saveexec_b32 s28, s27
	s_xor_b32 s27, exec_lo, s28
	s_cbranch_execz .LBB6_5649
; %bb.5240:                             ;   in Loop: Header=BB6_4953 Depth=2
	v_cmp_eq_u16_sdwa s29, v90, v119 src0_sel:BYTE_0 src1_sel:DWORD
	s_mov_b32 s12, -1
	s_and_saveexec_b32 s28, s29
; %bb.5241:                             ;   in Loop: Header=BB6_4953 Depth=2
	s_xor_b32 s12, exec_lo, -1
; %bb.5242:                             ;   in Loop: Header=BB6_4953 Depth=2
	s_or_b32 exec_lo, exec_lo, s28
	s_and_b32 s12, s12, exec_lo
	s_or_saveexec_b32 s27, s27
	v_mov_b32_e32 v3, 0x7f800001
	s_xor_b32 exec_lo, exec_lo, s27
	s_cbranch_execnz .LBB6_5650
.LBB6_5243:                             ;   in Loop: Header=BB6_4953 Depth=2
	s_or_b32 exec_lo, exec_lo, s27
	s_and_saveexec_b32 s27, s12
	s_cbranch_execz .LBB6_5245
.LBB6_5244:                             ;   in Loop: Header=BB6_4953 Depth=2
	v_and_b32_e32 v3, 7, v90
	v_lshrrev_b16 v116, 3, v90
	v_ffbh_u32_e32 v113, v3
	v_and_b32_e32 v116, 15, v116
	v_min_u32_e32 v113, 32, v113
	v_cmp_eq_u32_e32 vcc_lo, 0, v116
	v_subrev_nc_u32_e32 v94, 28, v113
	v_sub_nc_u32_e32 v113, 29, v113
	v_lshlrev_b32_e32 v94, v94, v90
	v_lshlrev_b32_e32 v90, 24, v90
	v_cndmask_b32_e32 v113, v116, v113, vcc_lo
	v_and_b32_e32 v94, 7, v94
	v_and_b32_e32 v116, 0x80000000, v90
	v_lshl_add_u32 v113, v113, 23, 0x3b800000
	v_cndmask_b32_e32 v3, v3, v94, vcc_lo
	v_lshlrev_b32_e32 v3, 20, v3
	v_or3_b32 v3, v116, v113, v3
.LBB6_5245:                             ;   in Loop: Header=BB6_4953 Depth=2
	s_or_b32 exec_lo, exec_lo, s27
	v_add_f32_e32 v2, v2, v3
	v_mov_b32_e32 v90, 0x80
	s_mov_b32 s27, exec_lo
	v_and_b32_e32 v3, 0x7f800000, v2
	v_cmpx_ne_u32_e32 0x7f800000, v3
	s_cbranch_execz .LBB6_5253
; %bb.5246:                             ;   in Loop: Header=BB6_4953 Depth=2
	v_mov_b32_e32 v90, 0
	s_mov_b32 s28, exec_lo
	v_cmpx_ne_u32_e32 0, v2
	s_cbranch_execz .LBB6_5252
; %bb.5247:                             ;   in Loop: Header=BB6_4953 Depth=2
	v_bfe_u32 v3, v2, 23, 8
	v_and_b32_e32 v113, 0x7fffff, v2
	v_sub_nc_u32_e32 v116, 0x78, v3
	v_cmp_gt_u32_e32 vcc_lo, 0x79, v3
	v_or_b32_e32 v90, 0x800000, v113
	v_cndmask_b32_e32 v116, 0, v116, vcc_lo
	v_cmp_eq_u32_e32 vcc_lo, 0, v3
	v_add_nc_u32_e32 v3, 0xffffff89, v3
	v_cndmask_b32_e64 v116, v116, 0x77, vcc_lo
	v_cndmask_b32_e32 v113, v90, v113, vcc_lo
	v_cndmask_b32_e64 v3, v3, 0xffffff8a, vcc_lo
	v_lshl_add_u32 v90, 0x100000, v116, -1
	v_lshrrev_b32_e32 v94, v116, v113
	v_lshlrev_b32_e64 v104, v116, 0x80000
	v_add_nc_u32_e32 v116, v116, v3
	v_and_b32_e32 v113, v90, v113
	v_bfe_u32 v95, v94, 20, 1
	v_cmp_eq_u32_e64 s12, v113, v104
	v_add_nc_u32_e32 v90, -1, v95
	v_cndmask_b32_e64 v113, 0, v90, s12
	v_lshrrev_b32_e32 v90, 23, v94
	s_mov_b32 s12, exec_lo
	v_add_nc_u32_e32 v113, v113, v94
	v_xor_b32_e32 v90, 1, v90
	v_and_b32_e32 v3, 0xfffff, v113
	v_add_nc_u32_e32 v113, v3, v94
                                        ; implicit-def: $vgpr3
	v_cmpx_ne_u32_e64 v116, v90
	s_xor_b32 s12, exec_lo, s12
; %bb.5248:                             ;   in Loop: Header=BB6_4953 Depth=2
	v_cmp_lt_u32_e32 vcc_lo, 0xffffff, v113
	v_sub_nc_u32_e32 v3, v116, v90
	v_cndmask_b32_e64 v116, 0, 1, vcc_lo
	v_add_co_ci_u32_e64 v3, null, 0, v3, vcc_lo
	v_lshrrev_b32_e32 v113, v116, v113
; %bb.5249:                             ;   in Loop: Header=BB6_4953 Depth=2
	s_andn2_saveexec_b32 s12, s12
; %bb.5250:                             ;   in Loop: Header=BB6_4953 Depth=2
	v_bfe_u32 v3, v113, 23, 1
; %bb.5251:                             ;   in Loop: Header=BB6_4953 Depth=2
	s_or_b32 exec_lo, exec_lo, s12
	v_lshrrev_b32_e32 v113, 20, v113
	v_cmp_gt_i32_e32 vcc_lo, 16, v3
	v_min_i32_e32 v116, 15, v3
	v_and_b32_sdwa v2, v2, v119 dst_sel:DWORD dst_unused:UNUSED_PAD src0_sel:BYTE_3 src1_sel:DWORD
	v_cndmask_b32_e32 v113, 7, v113, vcc_lo
	v_lshlrev_b32_e32 v116, 3, v116
	v_and_b32_e32 v90, 7, v113
	v_or_b32_e32 v3, v3, v113
	v_or3_b32 v2, v116, v2, v90
	v_cmp_ne_u32_e32 vcc_lo, 0, v3
	v_cndmask_b32_e32 v90, 0, v2, vcc_lo
.LBB6_5252:                             ;   in Loop: Header=BB6_4953 Depth=2
	s_or_b32 exec_lo, exec_lo, s28
.LBB6_5253:                             ;   in Loop: Header=BB6_4953 Depth=2
	s_or_b32 exec_lo, exec_lo, s27
	v_cmp_gt_i16_sdwa s27, v93, v115 src0_sel:BYTE_0 src1_sel:DWORD
	s_mov_b32 s12, 0
	s_and_saveexec_b32 s28, s27
	s_xor_b32 s27, exec_lo, s28
	s_cbranch_execz .LBB6_5651
; %bb.5254:                             ;   in Loop: Header=BB6_4953 Depth=2
	v_cmp_eq_u16_sdwa s29, v93, v119 src0_sel:BYTE_0 src1_sel:DWORD
	s_mov_b32 s12, -1
	s_and_saveexec_b32 s28, s29
; %bb.5255:                             ;   in Loop: Header=BB6_4953 Depth=2
	s_xor_b32 s12, exec_lo, -1
; %bb.5256:                             ;   in Loop: Header=BB6_4953 Depth=2
	s_or_b32 exec_lo, exec_lo, s28
	s_and_b32 s12, s12, exec_lo
	s_or_saveexec_b32 s27, s27
	v_mov_b32_e32 v2, 0x7f800001
	s_xor_b32 exec_lo, exec_lo, s27
	s_cbranch_execnz .LBB6_5652
.LBB6_5257:                             ;   in Loop: Header=BB6_4953 Depth=2
	s_or_b32 exec_lo, exec_lo, s27
	s_and_saveexec_b32 s27, s12
	s_cbranch_execz .LBB6_5259
.LBB6_5258:                             ;   in Loop: Header=BB6_4953 Depth=2
	v_and_b32_e32 v2, 7, v93
	v_lshrrev_b16 v113, 3, v93
	v_ffbh_u32_e32 v3, v2
	v_and_b32_e32 v113, 15, v113
	v_min_u32_e32 v3, 32, v3
	v_cmp_eq_u32_e32 vcc_lo, 0, v113
	v_subrev_nc_u32_e32 v116, 28, v3
	v_sub_nc_u32_e32 v3, 29, v3
	v_lshlrev_b32_e32 v116, v116, v93
	v_lshlrev_b32_e32 v93, 24, v93
	v_cndmask_b32_e32 v3, v113, v3, vcc_lo
	v_and_b32_e32 v116, 7, v116
	v_and_b32_e32 v113, 0x80000000, v93
	v_lshl_add_u32 v3, v3, 23, 0x3b800000
	v_cndmask_b32_e32 v2, v2, v116, vcc_lo
	v_lshlrev_b32_e32 v2, 20, v2
	v_or3_b32 v2, v113, v3, v2
.LBB6_5259:                             ;   in Loop: Header=BB6_4953 Depth=2
	s_or_b32 exec_lo, exec_lo, s27
	s_waitcnt vmcnt(16) lgkmcnt(16)
	v_cmp_gt_i16_sdwa s27, v92, v115 src0_sel:BYTE_0 src1_sel:DWORD
	s_mov_b32 s12, 0
	s_and_saveexec_b32 s28, s27
	s_xor_b32 s27, exec_lo, s28
	s_cbranch_execz .LBB6_5653
; %bb.5260:                             ;   in Loop: Header=BB6_4953 Depth=2
	v_cmp_eq_u16_sdwa s29, v92, v119 src0_sel:BYTE_0 src1_sel:DWORD
	s_mov_b32 s12, -1
	s_and_saveexec_b32 s28, s29
; %bb.5261:                             ;   in Loop: Header=BB6_4953 Depth=2
	s_xor_b32 s12, exec_lo, -1
; %bb.5262:                             ;   in Loop: Header=BB6_4953 Depth=2
	s_or_b32 exec_lo, exec_lo, s28
	s_and_b32 s12, s12, exec_lo
	s_or_saveexec_b32 s27, s27
	v_mov_b32_e32 v3, 0x7f800001
	s_xor_b32 exec_lo, exec_lo, s27
	s_cbranch_execnz .LBB6_5654
.LBB6_5263:                             ;   in Loop: Header=BB6_4953 Depth=2
	s_or_b32 exec_lo, exec_lo, s27
	s_and_saveexec_b32 s27, s12
	s_cbranch_execz .LBB6_5265
.LBB6_5264:                             ;   in Loop: Header=BB6_4953 Depth=2
	v_and_b32_e32 v3, 7, v92
	v_lshrrev_b16 v116, 3, v92
	v_ffbh_u32_e32 v113, v3
	v_and_b32_e32 v116, 15, v116
	v_min_u32_e32 v113, 32, v113
	v_cmp_eq_u32_e32 vcc_lo, 0, v116
	v_subrev_nc_u32_e32 v93, 28, v113
	v_sub_nc_u32_e32 v113, 29, v113
	v_lshlrev_b32_e32 v93, v93, v92
	v_lshlrev_b32_e32 v92, 24, v92
	v_cndmask_b32_e32 v113, v116, v113, vcc_lo
	v_and_b32_e32 v93, 7, v93
	v_and_b32_e32 v116, 0x80000000, v92
	v_lshl_add_u32 v113, v113, 23, 0x3b800000
	v_cndmask_b32_e32 v3, v3, v93, vcc_lo
	v_lshlrev_b32_e32 v3, 20, v3
	v_or3_b32 v3, v116, v113, v3
.LBB6_5265:                             ;   in Loop: Header=BB6_4953 Depth=2
	s_or_b32 exec_lo, exec_lo, s27
	v_add_f32_e32 v2, v2, v3
	v_mov_b32_e32 v92, 0x80
	s_mov_b32 s27, exec_lo
	v_and_b32_e32 v3, 0x7f800000, v2
	v_cmpx_ne_u32_e32 0x7f800000, v3
	s_cbranch_execz .LBB6_5273
; %bb.5266:                             ;   in Loop: Header=BB6_4953 Depth=2
	v_mov_b32_e32 v92, 0
	s_mov_b32 s28, exec_lo
	v_cmpx_ne_u32_e32 0, v2
	s_cbranch_execz .LBB6_5272
; %bb.5267:                             ;   in Loop: Header=BB6_4953 Depth=2
	v_bfe_u32 v3, v2, 23, 8
	v_and_b32_e32 v113, 0x7fffff, v2
	v_sub_nc_u32_e32 v116, 0x78, v3
	v_cmp_gt_u32_e32 vcc_lo, 0x79, v3
	v_or_b32_e32 v92, 0x800000, v113
	v_cndmask_b32_e32 v116, 0, v116, vcc_lo
	v_cmp_eq_u32_e32 vcc_lo, 0, v3
	v_add_nc_u32_e32 v3, 0xffffff89, v3
	v_cndmask_b32_e64 v116, v116, 0x77, vcc_lo
	v_cndmask_b32_e32 v113, v92, v113, vcc_lo
	v_cndmask_b32_e64 v3, v3, 0xffffff8a, vcc_lo
	v_lshl_add_u32 v92, 0x100000, v116, -1
	v_lshrrev_b32_e32 v93, v116, v113
	v_lshlrev_b32_e64 v95, v116, 0x80000
	v_add_nc_u32_e32 v116, v116, v3
	v_and_b32_e32 v113, v92, v113
	v_bfe_u32 v94, v93, 20, 1
	v_cmp_eq_u32_e64 s12, v113, v95
	v_add_nc_u32_e32 v92, -1, v94
	v_cndmask_b32_e64 v113, 0, v92, s12
	v_lshrrev_b32_e32 v92, 23, v93
	s_mov_b32 s12, exec_lo
	v_add_nc_u32_e32 v113, v113, v93
	v_xor_b32_e32 v92, 1, v92
	v_and_b32_e32 v3, 0xfffff, v113
	v_add_nc_u32_e32 v113, v3, v93
                                        ; implicit-def: $vgpr3
	v_cmpx_ne_u32_e64 v116, v92
	s_xor_b32 s12, exec_lo, s12
; %bb.5268:                             ;   in Loop: Header=BB6_4953 Depth=2
	v_cmp_lt_u32_e32 vcc_lo, 0xffffff, v113
	v_sub_nc_u32_e32 v3, v116, v92
	v_cndmask_b32_e64 v116, 0, 1, vcc_lo
	v_add_co_ci_u32_e64 v3, null, 0, v3, vcc_lo
	v_lshrrev_b32_e32 v113, v116, v113
; %bb.5269:                             ;   in Loop: Header=BB6_4953 Depth=2
	s_andn2_saveexec_b32 s12, s12
; %bb.5270:                             ;   in Loop: Header=BB6_4953 Depth=2
	v_bfe_u32 v3, v113, 23, 1
; %bb.5271:                             ;   in Loop: Header=BB6_4953 Depth=2
	s_or_b32 exec_lo, exec_lo, s12
	v_lshrrev_b32_e32 v113, 20, v113
	v_cmp_gt_i32_e32 vcc_lo, 16, v3
	v_min_i32_e32 v116, 15, v3
	v_and_b32_sdwa v2, v2, v119 dst_sel:DWORD dst_unused:UNUSED_PAD src0_sel:BYTE_3 src1_sel:DWORD
	v_cndmask_b32_e32 v113, 7, v113, vcc_lo
	v_lshlrev_b32_e32 v116, 3, v116
	v_and_b32_e32 v92, 7, v113
	v_or_b32_e32 v3, v3, v113
	v_or3_b32 v2, v116, v2, v92
	v_cmp_ne_u32_e32 vcc_lo, 0, v3
	v_cndmask_b32_e32 v92, 0, v2, vcc_lo
.LBB6_5272:                             ;   in Loop: Header=BB6_4953 Depth=2
	s_or_b32 exec_lo, exec_lo, s28
.LBB6_5273:                             ;   in Loop: Header=BB6_4953 Depth=2
	s_or_b32 exec_lo, exec_lo, s27
	v_cmp_gt_i16_sdwa s27, v91, v115 src0_sel:BYTE_0 src1_sel:DWORD
	s_mov_b32 s12, 0
	s_and_saveexec_b32 s28, s27
	s_xor_b32 s27, exec_lo, s28
	s_cbranch_execz .LBB6_5655
; %bb.5274:                             ;   in Loop: Header=BB6_4953 Depth=2
	v_cmp_eq_u16_sdwa s29, v91, v119 src0_sel:BYTE_0 src1_sel:DWORD
	s_mov_b32 s12, -1
	s_and_saveexec_b32 s28, s29
; %bb.5275:                             ;   in Loop: Header=BB6_4953 Depth=2
	s_xor_b32 s12, exec_lo, -1
; %bb.5276:                             ;   in Loop: Header=BB6_4953 Depth=2
	s_or_b32 exec_lo, exec_lo, s28
	s_and_b32 s12, s12, exec_lo
	s_or_saveexec_b32 s27, s27
	v_mov_b32_e32 v2, 0x7f800001
	s_xor_b32 exec_lo, exec_lo, s27
	s_cbranch_execnz .LBB6_5656
.LBB6_5277:                             ;   in Loop: Header=BB6_4953 Depth=2
	s_or_b32 exec_lo, exec_lo, s27
	s_and_saveexec_b32 s27, s12
	s_cbranch_execz .LBB6_5279
.LBB6_5278:                             ;   in Loop: Header=BB6_4953 Depth=2
	v_and_b32_e32 v2, 7, v91
	v_lshrrev_b16 v113, 3, v91
	v_ffbh_u32_e32 v3, v2
	v_and_b32_e32 v113, 15, v113
	v_min_u32_e32 v3, 32, v3
	v_cmp_eq_u32_e32 vcc_lo, 0, v113
	v_subrev_nc_u32_e32 v116, 28, v3
	v_sub_nc_u32_e32 v3, 29, v3
	v_lshlrev_b32_e32 v116, v116, v91
	v_lshlrev_b32_e32 v91, 24, v91
	v_cndmask_b32_e32 v3, v113, v3, vcc_lo
	v_and_b32_e32 v116, 7, v116
	v_and_b32_e32 v113, 0x80000000, v91
	v_lshl_add_u32 v3, v3, 23, 0x3b800000
	v_cndmask_b32_e32 v2, v2, v116, vcc_lo
	v_lshlrev_b32_e32 v2, 20, v2
	v_or3_b32 v2, v113, v3, v2
.LBB6_5279:                             ;   in Loop: Header=BB6_4953 Depth=2
	s_or_b32 exec_lo, exec_lo, s27
	s_waitcnt vmcnt(15) lgkmcnt(15)
	v_cmp_gt_i16_sdwa s27, v89, v115 src0_sel:BYTE_0 src1_sel:DWORD
	s_mov_b32 s12, 0
	s_and_saveexec_b32 s28, s27
	s_xor_b32 s27, exec_lo, s28
	s_cbranch_execz .LBB6_5657
; %bb.5280:                             ;   in Loop: Header=BB6_4953 Depth=2
	v_cmp_eq_u16_sdwa s29, v89, v119 src0_sel:BYTE_0 src1_sel:DWORD
	s_mov_b32 s12, -1
	s_and_saveexec_b32 s28, s29
; %bb.5281:                             ;   in Loop: Header=BB6_4953 Depth=2
	s_xor_b32 s12, exec_lo, -1
; %bb.5282:                             ;   in Loop: Header=BB6_4953 Depth=2
	s_or_b32 exec_lo, exec_lo, s28
	s_and_b32 s12, s12, exec_lo
	s_or_saveexec_b32 s27, s27
	v_mov_b32_e32 v3, 0x7f800001
	s_xor_b32 exec_lo, exec_lo, s27
	s_cbranch_execnz .LBB6_5658
.LBB6_5283:                             ;   in Loop: Header=BB6_4953 Depth=2
	s_or_b32 exec_lo, exec_lo, s27
	s_and_saveexec_b32 s27, s12
	s_cbranch_execz .LBB6_5285
.LBB6_5284:                             ;   in Loop: Header=BB6_4953 Depth=2
	v_and_b32_e32 v3, 7, v89
	v_lshrrev_b16 v116, 3, v89
	v_ffbh_u32_e32 v113, v3
	v_and_b32_e32 v116, 15, v116
	v_min_u32_e32 v113, 32, v113
	v_cmp_eq_u32_e32 vcc_lo, 0, v116
	v_subrev_nc_u32_e32 v91, 28, v113
	v_sub_nc_u32_e32 v113, 29, v113
	v_lshlrev_b32_e32 v91, v91, v89
	v_lshlrev_b32_e32 v89, 24, v89
	v_cndmask_b32_e32 v113, v116, v113, vcc_lo
	v_and_b32_e32 v91, 7, v91
	v_and_b32_e32 v116, 0x80000000, v89
	v_lshl_add_u32 v113, v113, 23, 0x3b800000
	v_cndmask_b32_e32 v3, v3, v91, vcc_lo
	v_lshlrev_b32_e32 v3, 20, v3
	v_or3_b32 v3, v116, v113, v3
.LBB6_5285:                             ;   in Loop: Header=BB6_4953 Depth=2
	s_or_b32 exec_lo, exec_lo, s27
	v_add_f32_e32 v2, v2, v3
	v_mov_b32_e32 v89, 0x80
	s_mov_b32 s27, exec_lo
	v_and_b32_e32 v3, 0x7f800000, v2
	v_cmpx_ne_u32_e32 0x7f800000, v3
	s_cbranch_execz .LBB6_5293
; %bb.5286:                             ;   in Loop: Header=BB6_4953 Depth=2
	v_mov_b32_e32 v89, 0
	s_mov_b32 s28, exec_lo
	v_cmpx_ne_u32_e32 0, v2
	s_cbranch_execz .LBB6_5292
; %bb.5287:                             ;   in Loop: Header=BB6_4953 Depth=2
	v_bfe_u32 v3, v2, 23, 8
	v_and_b32_e32 v113, 0x7fffff, v2
	v_sub_nc_u32_e32 v116, 0x78, v3
	v_cmp_gt_u32_e32 vcc_lo, 0x79, v3
	v_or_b32_e32 v89, 0x800000, v113
	v_cndmask_b32_e32 v116, 0, v116, vcc_lo
	v_cmp_eq_u32_e32 vcc_lo, 0, v3
	v_add_nc_u32_e32 v3, 0xffffff89, v3
	v_cndmask_b32_e64 v116, v116, 0x77, vcc_lo
	v_cndmask_b32_e32 v113, v89, v113, vcc_lo
	v_cndmask_b32_e64 v3, v3, 0xffffff8a, vcc_lo
	v_lshl_add_u32 v89, 0x100000, v116, -1
	v_lshrrev_b32_e32 v91, v116, v113
	v_lshlrev_b32_e64 v94, v116, 0x80000
	v_add_nc_u32_e32 v116, v116, v3
	v_and_b32_e32 v113, v89, v113
	v_bfe_u32 v93, v91, 20, 1
	v_cmp_eq_u32_e64 s12, v113, v94
	v_add_nc_u32_e32 v89, -1, v93
	v_cndmask_b32_e64 v113, 0, v89, s12
	v_lshrrev_b32_e32 v89, 23, v91
	s_mov_b32 s12, exec_lo
	v_add_nc_u32_e32 v113, v113, v91
	v_xor_b32_e32 v89, 1, v89
	v_and_b32_e32 v3, 0xfffff, v113
	v_add_nc_u32_e32 v113, v3, v91
                                        ; implicit-def: $vgpr3
	v_cmpx_ne_u32_e64 v116, v89
	s_xor_b32 s12, exec_lo, s12
; %bb.5288:                             ;   in Loop: Header=BB6_4953 Depth=2
	v_cmp_lt_u32_e32 vcc_lo, 0xffffff, v113
	v_sub_nc_u32_e32 v3, v116, v89
	v_cndmask_b32_e64 v116, 0, 1, vcc_lo
	v_add_co_ci_u32_e64 v3, null, 0, v3, vcc_lo
	v_lshrrev_b32_e32 v113, v116, v113
; %bb.5289:                             ;   in Loop: Header=BB6_4953 Depth=2
	s_andn2_saveexec_b32 s12, s12
; %bb.5290:                             ;   in Loop: Header=BB6_4953 Depth=2
	v_bfe_u32 v3, v113, 23, 1
; %bb.5291:                             ;   in Loop: Header=BB6_4953 Depth=2
	s_or_b32 exec_lo, exec_lo, s12
	v_lshrrev_b32_e32 v113, 20, v113
	v_cmp_gt_i32_e32 vcc_lo, 16, v3
	v_min_i32_e32 v116, 15, v3
	v_and_b32_sdwa v2, v2, v119 dst_sel:DWORD dst_unused:UNUSED_PAD src0_sel:BYTE_3 src1_sel:DWORD
	v_cndmask_b32_e32 v113, 7, v113, vcc_lo
	v_lshlrev_b32_e32 v116, 3, v116
	v_and_b32_e32 v89, 7, v113
	v_or_b32_e32 v3, v3, v113
	v_or3_b32 v2, v116, v2, v89
	v_cmp_ne_u32_e32 vcc_lo, 0, v3
	v_cndmask_b32_e32 v89, 0, v2, vcc_lo
.LBB6_5292:                             ;   in Loop: Header=BB6_4953 Depth=2
	s_or_b32 exec_lo, exec_lo, s28
.LBB6_5293:                             ;   in Loop: Header=BB6_4953 Depth=2
	s_or_b32 exec_lo, exec_lo, s27
	v_cmp_gt_i16_sdwa s27, v88, v115 src0_sel:BYTE_0 src1_sel:DWORD
	s_mov_b32 s12, 0
	s_and_saveexec_b32 s28, s27
	s_xor_b32 s27, exec_lo, s28
	s_cbranch_execz .LBB6_5659
; %bb.5294:                             ;   in Loop: Header=BB6_4953 Depth=2
	v_cmp_eq_u16_sdwa s29, v88, v119 src0_sel:BYTE_0 src1_sel:DWORD
	s_mov_b32 s12, -1
	s_and_saveexec_b32 s28, s29
; %bb.5295:                             ;   in Loop: Header=BB6_4953 Depth=2
	s_xor_b32 s12, exec_lo, -1
; %bb.5296:                             ;   in Loop: Header=BB6_4953 Depth=2
	s_or_b32 exec_lo, exec_lo, s28
	s_and_b32 s12, s12, exec_lo
	s_or_saveexec_b32 s27, s27
	v_mov_b32_e32 v2, 0x7f800001
	s_xor_b32 exec_lo, exec_lo, s27
	s_cbranch_execnz .LBB6_5660
.LBB6_5297:                             ;   in Loop: Header=BB6_4953 Depth=2
	s_or_b32 exec_lo, exec_lo, s27
	s_and_saveexec_b32 s27, s12
	s_cbranch_execz .LBB6_5299
.LBB6_5298:                             ;   in Loop: Header=BB6_4953 Depth=2
	v_and_b32_e32 v2, 7, v88
	v_lshrrev_b16 v113, 3, v88
	v_ffbh_u32_e32 v3, v2
	v_and_b32_e32 v113, 15, v113
	v_min_u32_e32 v3, 32, v3
	v_cmp_eq_u32_e32 vcc_lo, 0, v113
	v_subrev_nc_u32_e32 v116, 28, v3
	v_sub_nc_u32_e32 v3, 29, v3
	v_lshlrev_b32_e32 v116, v116, v88
	v_lshlrev_b32_e32 v88, 24, v88
	v_cndmask_b32_e32 v3, v113, v3, vcc_lo
	v_and_b32_e32 v116, 7, v116
	v_and_b32_e32 v113, 0x80000000, v88
	v_lshl_add_u32 v3, v3, 23, 0x3b800000
	v_cndmask_b32_e32 v2, v2, v116, vcc_lo
	v_lshlrev_b32_e32 v2, 20, v2
	v_or3_b32 v2, v113, v3, v2
.LBB6_5299:                             ;   in Loop: Header=BB6_4953 Depth=2
	s_or_b32 exec_lo, exec_lo, s27
	s_waitcnt vmcnt(14) lgkmcnt(14)
	v_cmp_gt_i16_sdwa s27, v78, v115 src0_sel:BYTE_0 src1_sel:DWORD
	s_mov_b32 s12, 0
	s_and_saveexec_b32 s28, s27
	s_xor_b32 s27, exec_lo, s28
	s_cbranch_execz .LBB6_5661
; %bb.5300:                             ;   in Loop: Header=BB6_4953 Depth=2
	v_cmp_eq_u16_sdwa s29, v78, v119 src0_sel:BYTE_0 src1_sel:DWORD
	s_mov_b32 s12, -1
	s_and_saveexec_b32 s28, s29
; %bb.5301:                             ;   in Loop: Header=BB6_4953 Depth=2
	s_xor_b32 s12, exec_lo, -1
; %bb.5302:                             ;   in Loop: Header=BB6_4953 Depth=2
	s_or_b32 exec_lo, exec_lo, s28
	s_and_b32 s12, s12, exec_lo
	s_or_saveexec_b32 s27, s27
	v_mov_b32_e32 v3, 0x7f800001
	s_xor_b32 exec_lo, exec_lo, s27
	s_cbranch_execnz .LBB6_5662
.LBB6_5303:                             ;   in Loop: Header=BB6_4953 Depth=2
	s_or_b32 exec_lo, exec_lo, s27
	s_and_saveexec_b32 s27, s12
	s_cbranch_execz .LBB6_5305
.LBB6_5304:                             ;   in Loop: Header=BB6_4953 Depth=2
	v_and_b32_e32 v3, 7, v78
	v_lshrrev_b16 v116, 3, v78
	v_ffbh_u32_e32 v113, v3
	v_and_b32_e32 v116, 15, v116
	v_min_u32_e32 v113, 32, v113
	v_cmp_eq_u32_e32 vcc_lo, 0, v116
	v_subrev_nc_u32_e32 v88, 28, v113
	v_sub_nc_u32_e32 v113, 29, v113
	v_lshlrev_b32_e32 v88, v88, v78
	v_lshlrev_b32_e32 v78, 24, v78
	v_cndmask_b32_e32 v113, v116, v113, vcc_lo
	v_and_b32_e32 v88, 7, v88
	v_and_b32_e32 v116, 0x80000000, v78
	v_lshl_add_u32 v113, v113, 23, 0x3b800000
	v_cndmask_b32_e32 v3, v3, v88, vcc_lo
	v_lshlrev_b32_e32 v3, 20, v3
	v_or3_b32 v3, v116, v113, v3
.LBB6_5305:                             ;   in Loop: Header=BB6_4953 Depth=2
	s_or_b32 exec_lo, exec_lo, s27
	v_add_f32_e32 v2, v2, v3
	v_mov_b32_e32 v78, 0x80
	s_mov_b32 s27, exec_lo
	v_and_b32_e32 v3, 0x7f800000, v2
	v_cmpx_ne_u32_e32 0x7f800000, v3
	s_cbranch_execz .LBB6_5313
; %bb.5306:                             ;   in Loop: Header=BB6_4953 Depth=2
	v_mov_b32_e32 v78, 0
	s_mov_b32 s28, exec_lo
	v_cmpx_ne_u32_e32 0, v2
	s_cbranch_execz .LBB6_5312
; %bb.5307:                             ;   in Loop: Header=BB6_4953 Depth=2
	v_bfe_u32 v3, v2, 23, 8
	v_and_b32_e32 v113, 0x7fffff, v2
	v_sub_nc_u32_e32 v116, 0x78, v3
	v_cmp_gt_u32_e32 vcc_lo, 0x79, v3
	v_or_b32_e32 v78, 0x800000, v113
	v_cndmask_b32_e32 v116, 0, v116, vcc_lo
	v_cmp_eq_u32_e32 vcc_lo, 0, v3
	v_add_nc_u32_e32 v3, 0xffffff89, v3
	v_cndmask_b32_e64 v116, v116, 0x77, vcc_lo
	v_cndmask_b32_e32 v113, v78, v113, vcc_lo
	v_cndmask_b32_e64 v3, v3, 0xffffff8a, vcc_lo
	v_lshl_add_u32 v78, 0x100000, v116, -1
	v_lshrrev_b32_e32 v88, v116, v113
	v_lshlrev_b32_e64 v93, v116, 0x80000
	v_add_nc_u32_e32 v116, v116, v3
	v_and_b32_e32 v113, v78, v113
	v_bfe_u32 v91, v88, 20, 1
	v_cmp_eq_u32_e64 s12, v113, v93
	v_add_nc_u32_e32 v78, -1, v91
	v_cndmask_b32_e64 v113, 0, v78, s12
	v_lshrrev_b32_e32 v78, 23, v88
	s_mov_b32 s12, exec_lo
	v_add_nc_u32_e32 v113, v113, v88
	v_xor_b32_e32 v78, 1, v78
	v_and_b32_e32 v3, 0xfffff, v113
	v_add_nc_u32_e32 v113, v3, v88
                                        ; implicit-def: $vgpr3
	v_cmpx_ne_u32_e64 v116, v78
	s_xor_b32 s12, exec_lo, s12
; %bb.5308:                             ;   in Loop: Header=BB6_4953 Depth=2
	v_cmp_lt_u32_e32 vcc_lo, 0xffffff, v113
	v_sub_nc_u32_e32 v3, v116, v78
	v_cndmask_b32_e64 v116, 0, 1, vcc_lo
	v_add_co_ci_u32_e64 v3, null, 0, v3, vcc_lo
	v_lshrrev_b32_e32 v113, v116, v113
; %bb.5309:                             ;   in Loop: Header=BB6_4953 Depth=2
	s_andn2_saveexec_b32 s12, s12
; %bb.5310:                             ;   in Loop: Header=BB6_4953 Depth=2
	v_bfe_u32 v3, v113, 23, 1
; %bb.5311:                             ;   in Loop: Header=BB6_4953 Depth=2
	s_or_b32 exec_lo, exec_lo, s12
	v_lshrrev_b32_e32 v113, 20, v113
	v_cmp_gt_i32_e32 vcc_lo, 16, v3
	v_min_i32_e32 v116, 15, v3
	v_and_b32_sdwa v2, v2, v119 dst_sel:DWORD dst_unused:UNUSED_PAD src0_sel:BYTE_3 src1_sel:DWORD
	v_cndmask_b32_e32 v113, 7, v113, vcc_lo
	v_lshlrev_b32_e32 v116, 3, v116
	v_and_b32_e32 v78, 7, v113
	v_or_b32_e32 v3, v3, v113
	v_or3_b32 v2, v116, v2, v78
	v_cmp_ne_u32_e32 vcc_lo, 0, v3
	v_cndmask_b32_e32 v78, 0, v2, vcc_lo
.LBB6_5312:                             ;   in Loop: Header=BB6_4953 Depth=2
	s_or_b32 exec_lo, exec_lo, s28
.LBB6_5313:                             ;   in Loop: Header=BB6_4953 Depth=2
	s_or_b32 exec_lo, exec_lo, s27
	v_cmp_gt_i16_sdwa s27, v77, v115 src0_sel:BYTE_0 src1_sel:DWORD
	s_mov_b32 s12, 0
	s_and_saveexec_b32 s28, s27
	s_xor_b32 s27, exec_lo, s28
	s_cbranch_execz .LBB6_5663
; %bb.5314:                             ;   in Loop: Header=BB6_4953 Depth=2
	v_cmp_eq_u16_sdwa s29, v77, v119 src0_sel:BYTE_0 src1_sel:DWORD
	s_mov_b32 s12, -1
	s_and_saveexec_b32 s28, s29
; %bb.5315:                             ;   in Loop: Header=BB6_4953 Depth=2
	s_xor_b32 s12, exec_lo, -1
; %bb.5316:                             ;   in Loop: Header=BB6_4953 Depth=2
	s_or_b32 exec_lo, exec_lo, s28
	s_and_b32 s12, s12, exec_lo
	s_or_saveexec_b32 s27, s27
	v_mov_b32_e32 v2, 0x7f800001
	s_xor_b32 exec_lo, exec_lo, s27
	s_cbranch_execnz .LBB6_5664
.LBB6_5317:                             ;   in Loop: Header=BB6_4953 Depth=2
	s_or_b32 exec_lo, exec_lo, s27
	s_and_saveexec_b32 s27, s12
	s_cbranch_execz .LBB6_5319
.LBB6_5318:                             ;   in Loop: Header=BB6_4953 Depth=2
	v_and_b32_e32 v2, 7, v77
	v_lshrrev_b16 v113, 3, v77
	v_ffbh_u32_e32 v3, v2
	v_and_b32_e32 v113, 15, v113
	v_min_u32_e32 v3, 32, v3
	v_cmp_eq_u32_e32 vcc_lo, 0, v113
	v_subrev_nc_u32_e32 v116, 28, v3
	v_sub_nc_u32_e32 v3, 29, v3
	v_lshlrev_b32_e32 v116, v116, v77
	v_lshlrev_b32_e32 v77, 24, v77
	v_cndmask_b32_e32 v3, v113, v3, vcc_lo
	v_and_b32_e32 v116, 7, v116
	v_and_b32_e32 v113, 0x80000000, v77
	v_lshl_add_u32 v3, v3, 23, 0x3b800000
	v_cndmask_b32_e32 v2, v2, v116, vcc_lo
	v_lshlrev_b32_e32 v2, 20, v2
	v_or3_b32 v2, v113, v3, v2
.LBB6_5319:                             ;   in Loop: Header=BB6_4953 Depth=2
	s_or_b32 exec_lo, exec_lo, s27
	s_waitcnt vmcnt(13) lgkmcnt(13)
	v_cmp_gt_i16_sdwa s27, v75, v115 src0_sel:BYTE_0 src1_sel:DWORD
	s_mov_b32 s12, 0
	s_and_saveexec_b32 s28, s27
	s_xor_b32 s27, exec_lo, s28
	s_cbranch_execz .LBB6_5665
; %bb.5320:                             ;   in Loop: Header=BB6_4953 Depth=2
	v_cmp_eq_u16_sdwa s29, v75, v119 src0_sel:BYTE_0 src1_sel:DWORD
	s_mov_b32 s12, -1
	s_and_saveexec_b32 s28, s29
; %bb.5321:                             ;   in Loop: Header=BB6_4953 Depth=2
	s_xor_b32 s12, exec_lo, -1
; %bb.5322:                             ;   in Loop: Header=BB6_4953 Depth=2
	s_or_b32 exec_lo, exec_lo, s28
	s_and_b32 s12, s12, exec_lo
	s_or_saveexec_b32 s27, s27
	v_mov_b32_e32 v3, 0x7f800001
	s_xor_b32 exec_lo, exec_lo, s27
	s_cbranch_execnz .LBB6_5666
.LBB6_5323:                             ;   in Loop: Header=BB6_4953 Depth=2
	s_or_b32 exec_lo, exec_lo, s27
	s_and_saveexec_b32 s27, s12
	s_cbranch_execz .LBB6_5325
.LBB6_5324:                             ;   in Loop: Header=BB6_4953 Depth=2
	v_and_b32_e32 v3, 7, v75
	v_lshrrev_b16 v116, 3, v75
	v_ffbh_u32_e32 v113, v3
	v_and_b32_e32 v116, 15, v116
	v_min_u32_e32 v113, 32, v113
	v_cmp_eq_u32_e32 vcc_lo, 0, v116
	v_subrev_nc_u32_e32 v77, 28, v113
	v_sub_nc_u32_e32 v113, 29, v113
	v_lshlrev_b32_e32 v77, v77, v75
	v_lshlrev_b32_e32 v75, 24, v75
	v_cndmask_b32_e32 v113, v116, v113, vcc_lo
	v_and_b32_e32 v77, 7, v77
	v_and_b32_e32 v116, 0x80000000, v75
	v_lshl_add_u32 v113, v113, 23, 0x3b800000
	v_cndmask_b32_e32 v3, v3, v77, vcc_lo
	v_lshlrev_b32_e32 v3, 20, v3
	v_or3_b32 v3, v116, v113, v3
.LBB6_5325:                             ;   in Loop: Header=BB6_4953 Depth=2
	s_or_b32 exec_lo, exec_lo, s27
	v_add_f32_e32 v2, v2, v3
	v_mov_b32_e32 v75, 0x80
	s_mov_b32 s27, exec_lo
	v_and_b32_e32 v3, 0x7f800000, v2
	v_cmpx_ne_u32_e32 0x7f800000, v3
	s_cbranch_execz .LBB6_5333
; %bb.5326:                             ;   in Loop: Header=BB6_4953 Depth=2
	v_mov_b32_e32 v75, 0
	s_mov_b32 s28, exec_lo
	v_cmpx_ne_u32_e32 0, v2
	s_cbranch_execz .LBB6_5332
; %bb.5327:                             ;   in Loop: Header=BB6_4953 Depth=2
	v_bfe_u32 v3, v2, 23, 8
	v_and_b32_e32 v113, 0x7fffff, v2
	v_sub_nc_u32_e32 v116, 0x78, v3
	v_cmp_gt_u32_e32 vcc_lo, 0x79, v3
	v_or_b32_e32 v75, 0x800000, v113
	v_cndmask_b32_e32 v116, 0, v116, vcc_lo
	v_cmp_eq_u32_e32 vcc_lo, 0, v3
	v_add_nc_u32_e32 v3, 0xffffff89, v3
	v_cndmask_b32_e64 v116, v116, 0x77, vcc_lo
	v_cndmask_b32_e32 v113, v75, v113, vcc_lo
	v_cndmask_b32_e64 v3, v3, 0xffffff8a, vcc_lo
	v_lshl_add_u32 v75, 0x100000, v116, -1
	v_lshrrev_b32_e32 v77, v116, v113
	v_lshlrev_b32_e64 v91, v116, 0x80000
	v_add_nc_u32_e32 v116, v116, v3
	v_and_b32_e32 v113, v75, v113
	v_bfe_u32 v88, v77, 20, 1
	v_cmp_eq_u32_e64 s12, v113, v91
	v_add_nc_u32_e32 v75, -1, v88
	v_cndmask_b32_e64 v113, 0, v75, s12
	v_lshrrev_b32_e32 v75, 23, v77
	s_mov_b32 s12, exec_lo
	v_add_nc_u32_e32 v113, v113, v77
	v_xor_b32_e32 v75, 1, v75
	v_and_b32_e32 v3, 0xfffff, v113
	v_add_nc_u32_e32 v113, v3, v77
                                        ; implicit-def: $vgpr3
	v_cmpx_ne_u32_e64 v116, v75
	s_xor_b32 s12, exec_lo, s12
; %bb.5328:                             ;   in Loop: Header=BB6_4953 Depth=2
	v_cmp_lt_u32_e32 vcc_lo, 0xffffff, v113
	v_sub_nc_u32_e32 v3, v116, v75
	v_cndmask_b32_e64 v116, 0, 1, vcc_lo
	v_add_co_ci_u32_e64 v3, null, 0, v3, vcc_lo
	v_lshrrev_b32_e32 v113, v116, v113
; %bb.5329:                             ;   in Loop: Header=BB6_4953 Depth=2
	s_andn2_saveexec_b32 s12, s12
; %bb.5330:                             ;   in Loop: Header=BB6_4953 Depth=2
	v_bfe_u32 v3, v113, 23, 1
; %bb.5331:                             ;   in Loop: Header=BB6_4953 Depth=2
	s_or_b32 exec_lo, exec_lo, s12
	v_lshrrev_b32_e32 v113, 20, v113
	v_cmp_gt_i32_e32 vcc_lo, 16, v3
	v_min_i32_e32 v116, 15, v3
	v_and_b32_sdwa v2, v2, v119 dst_sel:DWORD dst_unused:UNUSED_PAD src0_sel:BYTE_3 src1_sel:DWORD
	v_cndmask_b32_e32 v113, 7, v113, vcc_lo
	v_lshlrev_b32_e32 v116, 3, v116
	v_and_b32_e32 v75, 7, v113
	v_or_b32_e32 v3, v3, v113
	v_or3_b32 v2, v116, v2, v75
	v_cmp_ne_u32_e32 vcc_lo, 0, v3
	v_cndmask_b32_e32 v75, 0, v2, vcc_lo
.LBB6_5332:                             ;   in Loop: Header=BB6_4953 Depth=2
	s_or_b32 exec_lo, exec_lo, s28
.LBB6_5333:                             ;   in Loop: Header=BB6_4953 Depth=2
	s_or_b32 exec_lo, exec_lo, s27
	v_cmp_gt_i16_sdwa s27, v74, v115 src0_sel:BYTE_0 src1_sel:DWORD
	s_mov_b32 s12, 0
	s_and_saveexec_b32 s28, s27
	s_xor_b32 s27, exec_lo, s28
	s_cbranch_execz .LBB6_5667
; %bb.5334:                             ;   in Loop: Header=BB6_4953 Depth=2
	v_cmp_eq_u16_sdwa s29, v74, v119 src0_sel:BYTE_0 src1_sel:DWORD
	s_mov_b32 s12, -1
	s_and_saveexec_b32 s28, s29
; %bb.5335:                             ;   in Loop: Header=BB6_4953 Depth=2
	s_xor_b32 s12, exec_lo, -1
; %bb.5336:                             ;   in Loop: Header=BB6_4953 Depth=2
	s_or_b32 exec_lo, exec_lo, s28
	s_and_b32 s12, s12, exec_lo
	s_or_saveexec_b32 s27, s27
	v_mov_b32_e32 v2, 0x7f800001
	s_xor_b32 exec_lo, exec_lo, s27
	s_cbranch_execnz .LBB6_5668
.LBB6_5337:                             ;   in Loop: Header=BB6_4953 Depth=2
	s_or_b32 exec_lo, exec_lo, s27
	s_and_saveexec_b32 s27, s12
	s_cbranch_execz .LBB6_5339
.LBB6_5338:                             ;   in Loop: Header=BB6_4953 Depth=2
	v_and_b32_e32 v2, 7, v74
	v_lshrrev_b16 v113, 3, v74
	v_ffbh_u32_e32 v3, v2
	v_and_b32_e32 v113, 15, v113
	v_min_u32_e32 v3, 32, v3
	v_cmp_eq_u32_e32 vcc_lo, 0, v113
	v_subrev_nc_u32_e32 v116, 28, v3
	v_sub_nc_u32_e32 v3, 29, v3
	v_lshlrev_b32_e32 v116, v116, v74
	v_lshlrev_b32_e32 v74, 24, v74
	v_cndmask_b32_e32 v3, v113, v3, vcc_lo
	v_and_b32_e32 v116, 7, v116
	v_and_b32_e32 v113, 0x80000000, v74
	v_lshl_add_u32 v3, v3, 23, 0x3b800000
	v_cndmask_b32_e32 v2, v2, v116, vcc_lo
	v_lshlrev_b32_e32 v2, 20, v2
	v_or3_b32 v2, v113, v3, v2
.LBB6_5339:                             ;   in Loop: Header=BB6_4953 Depth=2
	s_or_b32 exec_lo, exec_lo, s27
	s_waitcnt vmcnt(12) lgkmcnt(12)
	v_cmp_gt_i16_sdwa s27, v72, v115 src0_sel:BYTE_0 src1_sel:DWORD
	s_mov_b32 s12, 0
	s_and_saveexec_b32 s28, s27
	s_xor_b32 s27, exec_lo, s28
	s_cbranch_execz .LBB6_5669
; %bb.5340:                             ;   in Loop: Header=BB6_4953 Depth=2
	v_cmp_eq_u16_sdwa s29, v72, v119 src0_sel:BYTE_0 src1_sel:DWORD
	s_mov_b32 s12, -1
	s_and_saveexec_b32 s28, s29
; %bb.5341:                             ;   in Loop: Header=BB6_4953 Depth=2
	s_xor_b32 s12, exec_lo, -1
; %bb.5342:                             ;   in Loop: Header=BB6_4953 Depth=2
	s_or_b32 exec_lo, exec_lo, s28
	s_and_b32 s12, s12, exec_lo
	s_or_saveexec_b32 s27, s27
	v_mov_b32_e32 v3, 0x7f800001
	s_xor_b32 exec_lo, exec_lo, s27
	s_cbranch_execnz .LBB6_5670
.LBB6_5343:                             ;   in Loop: Header=BB6_4953 Depth=2
	s_or_b32 exec_lo, exec_lo, s27
	s_and_saveexec_b32 s27, s12
	s_cbranch_execz .LBB6_5345
.LBB6_5344:                             ;   in Loop: Header=BB6_4953 Depth=2
	v_and_b32_e32 v3, 7, v72
	v_lshrrev_b16 v116, 3, v72
	v_ffbh_u32_e32 v113, v3
	v_and_b32_e32 v116, 15, v116
	v_min_u32_e32 v113, 32, v113
	v_cmp_eq_u32_e32 vcc_lo, 0, v116
	v_subrev_nc_u32_e32 v74, 28, v113
	v_sub_nc_u32_e32 v113, 29, v113
	v_lshlrev_b32_e32 v74, v74, v72
	v_lshlrev_b32_e32 v72, 24, v72
	v_cndmask_b32_e32 v113, v116, v113, vcc_lo
	v_and_b32_e32 v74, 7, v74
	v_and_b32_e32 v116, 0x80000000, v72
	v_lshl_add_u32 v113, v113, 23, 0x3b800000
	v_cndmask_b32_e32 v3, v3, v74, vcc_lo
	v_lshlrev_b32_e32 v3, 20, v3
	v_or3_b32 v3, v116, v113, v3
.LBB6_5345:                             ;   in Loop: Header=BB6_4953 Depth=2
	s_or_b32 exec_lo, exec_lo, s27
	v_add_f32_e32 v2, v2, v3
	v_mov_b32_e32 v72, 0x80
	s_mov_b32 s27, exec_lo
	v_and_b32_e32 v3, 0x7f800000, v2
	v_cmpx_ne_u32_e32 0x7f800000, v3
	s_cbranch_execz .LBB6_5353
; %bb.5346:                             ;   in Loop: Header=BB6_4953 Depth=2
	v_mov_b32_e32 v72, 0
	s_mov_b32 s28, exec_lo
	v_cmpx_ne_u32_e32 0, v2
	s_cbranch_execz .LBB6_5352
; %bb.5347:                             ;   in Loop: Header=BB6_4953 Depth=2
	v_bfe_u32 v3, v2, 23, 8
	v_and_b32_e32 v113, 0x7fffff, v2
	v_sub_nc_u32_e32 v116, 0x78, v3
	v_cmp_gt_u32_e32 vcc_lo, 0x79, v3
	v_or_b32_e32 v72, 0x800000, v113
	v_cndmask_b32_e32 v116, 0, v116, vcc_lo
	v_cmp_eq_u32_e32 vcc_lo, 0, v3
	v_add_nc_u32_e32 v3, 0xffffff89, v3
	v_cndmask_b32_e64 v116, v116, 0x77, vcc_lo
	v_cndmask_b32_e32 v113, v72, v113, vcc_lo
	v_cndmask_b32_e64 v3, v3, 0xffffff8a, vcc_lo
	v_lshl_add_u32 v72, 0x100000, v116, -1
	v_lshrrev_b32_e32 v74, v116, v113
	v_lshlrev_b32_e64 v88, v116, 0x80000
	v_add_nc_u32_e32 v116, v116, v3
	v_and_b32_e32 v113, v72, v113
	v_bfe_u32 v77, v74, 20, 1
	v_cmp_eq_u32_e64 s12, v113, v88
	v_add_nc_u32_e32 v72, -1, v77
	v_cndmask_b32_e64 v113, 0, v72, s12
	v_lshrrev_b32_e32 v72, 23, v74
	s_mov_b32 s12, exec_lo
	v_add_nc_u32_e32 v113, v113, v74
	v_xor_b32_e32 v72, 1, v72
	v_and_b32_e32 v3, 0xfffff, v113
	v_add_nc_u32_e32 v113, v3, v74
                                        ; implicit-def: $vgpr3
	v_cmpx_ne_u32_e64 v116, v72
	s_xor_b32 s12, exec_lo, s12
; %bb.5348:                             ;   in Loop: Header=BB6_4953 Depth=2
	v_cmp_lt_u32_e32 vcc_lo, 0xffffff, v113
	v_sub_nc_u32_e32 v3, v116, v72
	v_cndmask_b32_e64 v116, 0, 1, vcc_lo
	v_add_co_ci_u32_e64 v3, null, 0, v3, vcc_lo
	v_lshrrev_b32_e32 v113, v116, v113
; %bb.5349:                             ;   in Loop: Header=BB6_4953 Depth=2
	s_andn2_saveexec_b32 s12, s12
; %bb.5350:                             ;   in Loop: Header=BB6_4953 Depth=2
	v_bfe_u32 v3, v113, 23, 1
; %bb.5351:                             ;   in Loop: Header=BB6_4953 Depth=2
	s_or_b32 exec_lo, exec_lo, s12
	v_lshrrev_b32_e32 v113, 20, v113
	v_cmp_gt_i32_e32 vcc_lo, 16, v3
	v_min_i32_e32 v116, 15, v3
	v_and_b32_sdwa v2, v2, v119 dst_sel:DWORD dst_unused:UNUSED_PAD src0_sel:BYTE_3 src1_sel:DWORD
	v_cndmask_b32_e32 v113, 7, v113, vcc_lo
	v_lshlrev_b32_e32 v116, 3, v116
	v_and_b32_e32 v72, 7, v113
	v_or_b32_e32 v3, v3, v113
	v_or3_b32 v2, v116, v2, v72
	v_cmp_ne_u32_e32 vcc_lo, 0, v3
	v_cndmask_b32_e32 v72, 0, v2, vcc_lo
.LBB6_5352:                             ;   in Loop: Header=BB6_4953 Depth=2
	s_or_b32 exec_lo, exec_lo, s28
.LBB6_5353:                             ;   in Loop: Header=BB6_4953 Depth=2
	s_or_b32 exec_lo, exec_lo, s27
	v_cmp_gt_i16_sdwa s27, v62, v115 src0_sel:BYTE_0 src1_sel:DWORD
	s_mov_b32 s12, 0
	s_and_saveexec_b32 s28, s27
	s_xor_b32 s27, exec_lo, s28
	s_cbranch_execz .LBB6_5671
; %bb.5354:                             ;   in Loop: Header=BB6_4953 Depth=2
	v_cmp_eq_u16_sdwa s29, v62, v119 src0_sel:BYTE_0 src1_sel:DWORD
	s_mov_b32 s12, -1
	s_and_saveexec_b32 s28, s29
; %bb.5355:                             ;   in Loop: Header=BB6_4953 Depth=2
	s_xor_b32 s12, exec_lo, -1
; %bb.5356:                             ;   in Loop: Header=BB6_4953 Depth=2
	s_or_b32 exec_lo, exec_lo, s28
	s_and_b32 s12, s12, exec_lo
	s_or_saveexec_b32 s27, s27
	v_mov_b32_e32 v2, 0x7f800001
	s_xor_b32 exec_lo, exec_lo, s27
	s_cbranch_execnz .LBB6_5672
.LBB6_5357:                             ;   in Loop: Header=BB6_4953 Depth=2
	s_or_b32 exec_lo, exec_lo, s27
	s_and_saveexec_b32 s27, s12
	s_cbranch_execz .LBB6_5359
.LBB6_5358:                             ;   in Loop: Header=BB6_4953 Depth=2
	v_and_b32_e32 v2, 7, v62
	v_lshrrev_b16 v113, 3, v62
	v_ffbh_u32_e32 v3, v2
	v_and_b32_e32 v113, 15, v113
	v_min_u32_e32 v3, 32, v3
	v_cmp_eq_u32_e32 vcc_lo, 0, v113
	v_subrev_nc_u32_e32 v116, 28, v3
	v_sub_nc_u32_e32 v3, 29, v3
	v_lshlrev_b32_e32 v116, v116, v62
	v_lshlrev_b32_e32 v62, 24, v62
	v_cndmask_b32_e32 v3, v113, v3, vcc_lo
	v_and_b32_e32 v116, 7, v116
	v_and_b32_e32 v113, 0x80000000, v62
	v_lshl_add_u32 v3, v3, 23, 0x3b800000
	v_cndmask_b32_e32 v2, v2, v116, vcc_lo
	v_lshlrev_b32_e32 v2, 20, v2
	v_or3_b32 v2, v113, v3, v2
.LBB6_5359:                             ;   in Loop: Header=BB6_4953 Depth=2
	s_or_b32 exec_lo, exec_lo, s27
	s_waitcnt vmcnt(11) lgkmcnt(11)
	v_cmp_gt_i16_sdwa s27, v61, v115 src0_sel:BYTE_0 src1_sel:DWORD
	s_mov_b32 s12, 0
	s_and_saveexec_b32 s28, s27
	s_xor_b32 s27, exec_lo, s28
	s_cbranch_execz .LBB6_5673
; %bb.5360:                             ;   in Loop: Header=BB6_4953 Depth=2
	v_cmp_eq_u16_sdwa s29, v61, v119 src0_sel:BYTE_0 src1_sel:DWORD
	s_mov_b32 s12, -1
	s_and_saveexec_b32 s28, s29
; %bb.5361:                             ;   in Loop: Header=BB6_4953 Depth=2
	s_xor_b32 s12, exec_lo, -1
; %bb.5362:                             ;   in Loop: Header=BB6_4953 Depth=2
	s_or_b32 exec_lo, exec_lo, s28
	s_and_b32 s12, s12, exec_lo
	s_or_saveexec_b32 s27, s27
	v_mov_b32_e32 v3, 0x7f800001
	s_xor_b32 exec_lo, exec_lo, s27
	s_cbranch_execnz .LBB6_5674
.LBB6_5363:                             ;   in Loop: Header=BB6_4953 Depth=2
	s_or_b32 exec_lo, exec_lo, s27
	s_and_saveexec_b32 s27, s12
	s_cbranch_execz .LBB6_5365
.LBB6_5364:                             ;   in Loop: Header=BB6_4953 Depth=2
	v_and_b32_e32 v3, 7, v61
	v_lshrrev_b16 v116, 3, v61
	v_ffbh_u32_e32 v113, v3
	v_and_b32_e32 v116, 15, v116
	v_min_u32_e32 v113, 32, v113
	v_cmp_eq_u32_e32 vcc_lo, 0, v116
	v_subrev_nc_u32_e32 v62, 28, v113
	v_sub_nc_u32_e32 v113, 29, v113
	v_lshlrev_b32_e32 v62, v62, v61
	v_lshlrev_b32_e32 v61, 24, v61
	v_cndmask_b32_e32 v113, v116, v113, vcc_lo
	v_and_b32_e32 v62, 7, v62
	v_and_b32_e32 v116, 0x80000000, v61
	v_lshl_add_u32 v113, v113, 23, 0x3b800000
	v_cndmask_b32_e32 v3, v3, v62, vcc_lo
	v_lshlrev_b32_e32 v3, 20, v3
	v_or3_b32 v3, v116, v113, v3
.LBB6_5365:                             ;   in Loop: Header=BB6_4953 Depth=2
	s_or_b32 exec_lo, exec_lo, s27
	v_add_f32_e32 v2, v2, v3
	v_mov_b32_e32 v61, 0x80
	s_mov_b32 s27, exec_lo
	v_and_b32_e32 v3, 0x7f800000, v2
	v_cmpx_ne_u32_e32 0x7f800000, v3
	s_cbranch_execz .LBB6_5373
; %bb.5366:                             ;   in Loop: Header=BB6_4953 Depth=2
	v_mov_b32_e32 v61, 0
	s_mov_b32 s28, exec_lo
	v_cmpx_ne_u32_e32 0, v2
	s_cbranch_execz .LBB6_5372
; %bb.5367:                             ;   in Loop: Header=BB6_4953 Depth=2
	v_bfe_u32 v3, v2, 23, 8
	v_and_b32_e32 v113, 0x7fffff, v2
	v_sub_nc_u32_e32 v116, 0x78, v3
	v_cmp_gt_u32_e32 vcc_lo, 0x79, v3
	v_or_b32_e32 v61, 0x800000, v113
	v_cndmask_b32_e32 v116, 0, v116, vcc_lo
	v_cmp_eq_u32_e32 vcc_lo, 0, v3
	v_add_nc_u32_e32 v3, 0xffffff89, v3
	v_cndmask_b32_e64 v116, v116, 0x77, vcc_lo
	v_cndmask_b32_e32 v113, v61, v113, vcc_lo
	v_cndmask_b32_e64 v3, v3, 0xffffff8a, vcc_lo
	v_lshl_add_u32 v61, 0x100000, v116, -1
	v_lshrrev_b32_e32 v62, v116, v113
	v_lshlrev_b32_e64 v77, v116, 0x80000
	v_add_nc_u32_e32 v116, v116, v3
	v_and_b32_e32 v113, v61, v113
	v_bfe_u32 v74, v62, 20, 1
	v_cmp_eq_u32_e64 s12, v113, v77
	v_add_nc_u32_e32 v61, -1, v74
	v_cndmask_b32_e64 v113, 0, v61, s12
	v_lshrrev_b32_e32 v61, 23, v62
	s_mov_b32 s12, exec_lo
	v_add_nc_u32_e32 v113, v113, v62
	v_xor_b32_e32 v61, 1, v61
	v_and_b32_e32 v3, 0xfffff, v113
	v_add_nc_u32_e32 v113, v3, v62
                                        ; implicit-def: $vgpr3
	v_cmpx_ne_u32_e64 v116, v61
	s_xor_b32 s12, exec_lo, s12
; %bb.5368:                             ;   in Loop: Header=BB6_4953 Depth=2
	v_cmp_lt_u32_e32 vcc_lo, 0xffffff, v113
	v_sub_nc_u32_e32 v3, v116, v61
	v_cndmask_b32_e64 v116, 0, 1, vcc_lo
	v_add_co_ci_u32_e64 v3, null, 0, v3, vcc_lo
	v_lshrrev_b32_e32 v113, v116, v113
; %bb.5369:                             ;   in Loop: Header=BB6_4953 Depth=2
	s_andn2_saveexec_b32 s12, s12
; %bb.5370:                             ;   in Loop: Header=BB6_4953 Depth=2
	v_bfe_u32 v3, v113, 23, 1
; %bb.5371:                             ;   in Loop: Header=BB6_4953 Depth=2
	s_or_b32 exec_lo, exec_lo, s12
	v_lshrrev_b32_e32 v113, 20, v113
	v_cmp_gt_i32_e32 vcc_lo, 16, v3
	v_min_i32_e32 v116, 15, v3
	v_and_b32_sdwa v2, v2, v119 dst_sel:DWORD dst_unused:UNUSED_PAD src0_sel:BYTE_3 src1_sel:DWORD
	v_cndmask_b32_e32 v113, 7, v113, vcc_lo
	v_lshlrev_b32_e32 v116, 3, v116
	v_and_b32_e32 v61, 7, v113
	v_or_b32_e32 v3, v3, v113
	v_or3_b32 v2, v116, v2, v61
	v_cmp_ne_u32_e32 vcc_lo, 0, v3
	v_cndmask_b32_e32 v61, 0, v2, vcc_lo
.LBB6_5372:                             ;   in Loop: Header=BB6_4953 Depth=2
	s_or_b32 exec_lo, exec_lo, s28
.LBB6_5373:                             ;   in Loop: Header=BB6_4953 Depth=2
	s_or_b32 exec_lo, exec_lo, s27
	v_cmp_gt_i16_sdwa s27, v103, v115 src0_sel:BYTE_0 src1_sel:DWORD
	s_mov_b32 s12, 0
	s_and_saveexec_b32 s28, s27
	s_xor_b32 s27, exec_lo, s28
	s_cbranch_execz .LBB6_5675
; %bb.5374:                             ;   in Loop: Header=BB6_4953 Depth=2
	v_cmp_eq_u16_sdwa s29, v103, v119 src0_sel:BYTE_0 src1_sel:DWORD
	s_mov_b32 s12, -1
	s_and_saveexec_b32 s28, s29
; %bb.5375:                             ;   in Loop: Header=BB6_4953 Depth=2
	s_xor_b32 s12, exec_lo, -1
; %bb.5376:                             ;   in Loop: Header=BB6_4953 Depth=2
	s_or_b32 exec_lo, exec_lo, s28
	s_and_b32 s12, s12, exec_lo
	s_or_saveexec_b32 s27, s27
	v_mov_b32_e32 v2, 0x7f800001
	s_xor_b32 exec_lo, exec_lo, s27
	s_cbranch_execnz .LBB6_5676
.LBB6_5377:                             ;   in Loop: Header=BB6_4953 Depth=2
	s_or_b32 exec_lo, exec_lo, s27
	s_and_saveexec_b32 s27, s12
	s_cbranch_execz .LBB6_5379
.LBB6_5378:                             ;   in Loop: Header=BB6_4953 Depth=2
	v_and_b32_e32 v2, 7, v103
	v_lshrrev_b16 v113, 3, v103
	v_ffbh_u32_e32 v3, v2
	v_and_b32_e32 v113, 15, v113
	v_min_u32_e32 v3, 32, v3
	v_cmp_eq_u32_e32 vcc_lo, 0, v113
	v_subrev_nc_u32_e32 v116, 28, v3
	v_sub_nc_u32_e32 v3, 29, v3
	v_lshlrev_b32_e32 v116, v116, v103
	v_lshlrev_b32_e32 v103, 24, v103
	v_cndmask_b32_e32 v3, v113, v3, vcc_lo
	v_and_b32_e32 v116, 7, v116
	v_and_b32_e32 v103, 0x80000000, v103
	v_lshl_add_u32 v3, v3, 23, 0x3b800000
	v_cndmask_b32_e32 v2, v2, v116, vcc_lo
	v_lshlrev_b32_e32 v2, 20, v2
	v_or3_b32 v2, v103, v3, v2
.LBB6_5379:                             ;   in Loop: Header=BB6_4953 Depth=2
	s_or_b32 exec_lo, exec_lo, s27
	s_waitcnt vmcnt(10) lgkmcnt(10)
	v_cmp_gt_i16_sdwa s27, v102, v115 src0_sel:BYTE_0 src1_sel:DWORD
	s_mov_b32 s12, 0
	s_and_saveexec_b32 s28, s27
	s_xor_b32 s27, exec_lo, s28
	s_cbranch_execz .LBB6_5677
; %bb.5380:                             ;   in Loop: Header=BB6_4953 Depth=2
	v_cmp_eq_u16_sdwa s29, v102, v119 src0_sel:BYTE_0 src1_sel:DWORD
	s_mov_b32 s12, -1
	s_and_saveexec_b32 s28, s29
; %bb.5381:                             ;   in Loop: Header=BB6_4953 Depth=2
	s_xor_b32 s12, exec_lo, -1
; %bb.5382:                             ;   in Loop: Header=BB6_4953 Depth=2
	s_or_b32 exec_lo, exec_lo, s28
	s_and_b32 s12, s12, exec_lo
	s_or_saveexec_b32 s27, s27
	v_mov_b32_e32 v3, 0x7f800001
	s_xor_b32 exec_lo, exec_lo, s27
	s_cbranch_execnz .LBB6_5678
.LBB6_5383:                             ;   in Loop: Header=BB6_4953 Depth=2
	s_or_b32 exec_lo, exec_lo, s27
	s_and_saveexec_b32 s27, s12
	s_cbranch_execz .LBB6_5385
.LBB6_5384:                             ;   in Loop: Header=BB6_4953 Depth=2
	v_and_b32_e32 v3, 7, v102
	v_lshrrev_b16 v113, 3, v102
	v_ffbh_u32_e32 v103, v3
	v_and_b32_e32 v113, 15, v113
	v_min_u32_e32 v103, 32, v103
	v_cmp_eq_u32_e32 vcc_lo, 0, v113
	v_subrev_nc_u32_e32 v116, 28, v103
	v_sub_nc_u32_e32 v103, 29, v103
	v_lshlrev_b32_e32 v116, v116, v102
	v_lshlrev_b32_e32 v102, 24, v102
	v_cndmask_b32_e32 v103, v113, v103, vcc_lo
	v_and_b32_e32 v116, 7, v116
	v_and_b32_e32 v102, 0x80000000, v102
	v_lshl_add_u32 v103, v103, 23, 0x3b800000
	v_cndmask_b32_e32 v3, v3, v116, vcc_lo
	v_lshlrev_b32_e32 v3, 20, v3
	v_or3_b32 v3, v102, v103, v3
.LBB6_5385:                             ;   in Loop: Header=BB6_4953 Depth=2
	s_or_b32 exec_lo, exec_lo, s27
	v_add_f32_e32 v2, v2, v3
	v_mov_b32_e32 v102, 0x80
	s_mov_b32 s27, exec_lo
	v_and_b32_e32 v3, 0x7f800000, v2
	v_cmpx_ne_u32_e32 0x7f800000, v3
	s_cbranch_execz .LBB6_5393
; %bb.5386:                             ;   in Loop: Header=BB6_4953 Depth=2
	v_mov_b32_e32 v102, 0
	s_mov_b32 s28, exec_lo
	v_cmpx_ne_u32_e32 0, v2
	s_cbranch_execz .LBB6_5392
; %bb.5387:                             ;   in Loop: Header=BB6_4953 Depth=2
	v_bfe_u32 v3, v2, 23, 8
	v_and_b32_e32 v102, 0x7fffff, v2
	v_sub_nc_u32_e32 v103, 0x78, v3
	v_cmp_gt_u32_e32 vcc_lo, 0x79, v3
	v_or_b32_e32 v113, 0x800000, v102
	v_cndmask_b32_e32 v103, 0, v103, vcc_lo
	v_cmp_eq_u32_e32 vcc_lo, 0, v3
	v_add_nc_u32_e32 v3, 0xffffff89, v3
	v_cndmask_b32_e64 v103, v103, 0x77, vcc_lo
	v_cndmask_b32_e32 v102, v113, v102, vcc_lo
	v_cndmask_b32_e64 v3, v3, 0xffffff8a, vcc_lo
	v_lshl_add_u32 v113, 0x100000, v103, -1
	v_lshrrev_b32_e32 v116, v103, v102
	v_lshlrev_b32_e64 v74, v103, 0x80000
	v_add_nc_u32_e32 v103, v103, v3
	v_and_b32_e32 v102, v113, v102
	v_bfe_u32 v62, v116, 20, 1
	v_cmp_eq_u32_e64 s12, v102, v74
	v_add_nc_u32_e32 v113, -1, v62
	v_cndmask_b32_e64 v102, 0, v113, s12
	v_lshrrev_b32_e32 v113, 23, v116
	s_mov_b32 s12, exec_lo
	v_add_nc_u32_e32 v102, v102, v116
	v_xor_b32_e32 v113, 1, v113
	v_and_b32_e32 v3, 0xfffff, v102
	v_add_nc_u32_e32 v102, v3, v116
                                        ; implicit-def: $vgpr3
	v_cmpx_ne_u32_e64 v103, v113
	s_xor_b32 s12, exec_lo, s12
; %bb.5388:                             ;   in Loop: Header=BB6_4953 Depth=2
	v_cmp_lt_u32_e32 vcc_lo, 0xffffff, v102
	v_sub_nc_u32_e32 v3, v103, v113
	v_cndmask_b32_e64 v103, 0, 1, vcc_lo
	v_add_co_ci_u32_e64 v3, null, 0, v3, vcc_lo
	v_lshrrev_b32_e32 v102, v103, v102
; %bb.5389:                             ;   in Loop: Header=BB6_4953 Depth=2
	s_andn2_saveexec_b32 s12, s12
; %bb.5390:                             ;   in Loop: Header=BB6_4953 Depth=2
	v_bfe_u32 v3, v102, 23, 1
; %bb.5391:                             ;   in Loop: Header=BB6_4953 Depth=2
	s_or_b32 exec_lo, exec_lo, s12
	v_lshrrev_b32_e32 v102, 20, v102
	v_cmp_gt_i32_e32 vcc_lo, 16, v3
	v_min_i32_e32 v103, 15, v3
	v_and_b32_sdwa v2, v2, v119 dst_sel:DWORD dst_unused:UNUSED_PAD src0_sel:BYTE_3 src1_sel:DWORD
	v_cndmask_b32_e32 v102, 7, v102, vcc_lo
	v_lshlrev_b32_e32 v103, 3, v103
	v_and_b32_e32 v113, 7, v102
	v_or_b32_e32 v3, v3, v102
	v_or3_b32 v2, v103, v2, v113
	v_cmp_ne_u32_e32 vcc_lo, 0, v3
	v_cndmask_b32_e32 v102, 0, v2, vcc_lo
.LBB6_5392:                             ;   in Loop: Header=BB6_4953 Depth=2
	s_or_b32 exec_lo, exec_lo, s28
.LBB6_5393:                             ;   in Loop: Header=BB6_4953 Depth=2
	s_or_b32 exec_lo, exec_lo, s27
	v_cmp_gt_i16_sdwa s27, v100, v115 src0_sel:BYTE_0 src1_sel:DWORD
	s_mov_b32 s12, 0
	s_and_saveexec_b32 s28, s27
	s_xor_b32 s27, exec_lo, s28
	s_cbranch_execz .LBB6_5679
; %bb.5394:                             ;   in Loop: Header=BB6_4953 Depth=2
	v_cmp_eq_u16_sdwa s29, v100, v119 src0_sel:BYTE_0 src1_sel:DWORD
	s_mov_b32 s12, -1
	s_and_saveexec_b32 s28, s29
; %bb.5395:                             ;   in Loop: Header=BB6_4953 Depth=2
	s_xor_b32 s12, exec_lo, -1
; %bb.5396:                             ;   in Loop: Header=BB6_4953 Depth=2
	s_or_b32 exec_lo, exec_lo, s28
	s_and_b32 s12, s12, exec_lo
	s_or_saveexec_b32 s27, s27
	v_mov_b32_e32 v2, 0x7f800001
	s_xor_b32 exec_lo, exec_lo, s27
	s_cbranch_execnz .LBB6_5680
.LBB6_5397:                             ;   in Loop: Header=BB6_4953 Depth=2
	s_or_b32 exec_lo, exec_lo, s27
	s_and_saveexec_b32 s27, s12
	s_cbranch_execz .LBB6_5399
.LBB6_5398:                             ;   in Loop: Header=BB6_4953 Depth=2
	v_and_b32_e32 v2, 7, v100
	v_lshrrev_b16 v103, 3, v100
	v_ffbh_u32_e32 v3, v2
	v_and_b32_e32 v103, 15, v103
	v_min_u32_e32 v3, 32, v3
	v_cmp_eq_u32_e32 vcc_lo, 0, v103
	v_subrev_nc_u32_e32 v113, 28, v3
	v_sub_nc_u32_e32 v3, 29, v3
	v_lshlrev_b32_e32 v113, v113, v100
	v_lshlrev_b32_e32 v100, 24, v100
	v_cndmask_b32_e32 v3, v103, v3, vcc_lo
	v_and_b32_e32 v113, 7, v113
	v_and_b32_e32 v100, 0x80000000, v100
	v_lshl_add_u32 v3, v3, 23, 0x3b800000
	v_cndmask_b32_e32 v2, v2, v113, vcc_lo
	v_lshlrev_b32_e32 v2, 20, v2
	v_or3_b32 v2, v100, v3, v2
.LBB6_5399:                             ;   in Loop: Header=BB6_4953 Depth=2
	s_or_b32 exec_lo, exec_lo, s27
	s_waitcnt vmcnt(9) lgkmcnt(9)
	v_cmp_gt_i16_sdwa s27, v99, v115 src0_sel:BYTE_0 src1_sel:DWORD
	s_mov_b32 s12, 0
	s_and_saveexec_b32 s28, s27
	s_xor_b32 s27, exec_lo, s28
	s_cbranch_execz .LBB6_5681
; %bb.5400:                             ;   in Loop: Header=BB6_4953 Depth=2
	v_cmp_eq_u16_sdwa s29, v99, v119 src0_sel:BYTE_0 src1_sel:DWORD
	s_mov_b32 s12, -1
	s_and_saveexec_b32 s28, s29
; %bb.5401:                             ;   in Loop: Header=BB6_4953 Depth=2
	s_xor_b32 s12, exec_lo, -1
; %bb.5402:                             ;   in Loop: Header=BB6_4953 Depth=2
	s_or_b32 exec_lo, exec_lo, s28
	s_and_b32 s12, s12, exec_lo
	s_or_saveexec_b32 s27, s27
	v_mov_b32_e32 v3, 0x7f800001
	s_xor_b32 exec_lo, exec_lo, s27
	s_cbranch_execnz .LBB6_5682
.LBB6_5403:                             ;   in Loop: Header=BB6_4953 Depth=2
	s_or_b32 exec_lo, exec_lo, s27
	s_and_saveexec_b32 s27, s12
	s_cbranch_execz .LBB6_5405
.LBB6_5404:                             ;   in Loop: Header=BB6_4953 Depth=2
	v_and_b32_e32 v3, 7, v99
	v_lshrrev_b16 v103, 3, v99
	v_ffbh_u32_e32 v100, v3
	v_and_b32_e32 v103, 15, v103
	v_min_u32_e32 v100, 32, v100
	v_cmp_eq_u32_e32 vcc_lo, 0, v103
	v_subrev_nc_u32_e32 v113, 28, v100
	v_sub_nc_u32_e32 v100, 29, v100
	v_lshlrev_b32_e32 v113, v113, v99
	v_lshlrev_b32_e32 v99, 24, v99
	v_cndmask_b32_e32 v100, v103, v100, vcc_lo
	v_and_b32_e32 v113, 7, v113
	v_and_b32_e32 v99, 0x80000000, v99
	v_lshl_add_u32 v100, v100, 23, 0x3b800000
	v_cndmask_b32_e32 v3, v3, v113, vcc_lo
	v_lshlrev_b32_e32 v3, 20, v3
	v_or3_b32 v3, v99, v100, v3
.LBB6_5405:                             ;   in Loop: Header=BB6_4953 Depth=2
	s_or_b32 exec_lo, exec_lo, s27
	v_add_f32_e32 v2, v2, v3
	v_mov_b32_e32 v99, 0x80
	s_mov_b32 s27, exec_lo
	v_and_b32_e32 v3, 0x7f800000, v2
	v_cmpx_ne_u32_e32 0x7f800000, v3
	s_cbranch_execz .LBB6_5413
; %bb.5406:                             ;   in Loop: Header=BB6_4953 Depth=2
	v_mov_b32_e32 v99, 0
	s_mov_b32 s28, exec_lo
	v_cmpx_ne_u32_e32 0, v2
	s_cbranch_execz .LBB6_5412
; %bb.5407:                             ;   in Loop: Header=BB6_4953 Depth=2
	v_bfe_u32 v3, v2, 23, 8
	v_and_b32_e32 v99, 0x7fffff, v2
	v_sub_nc_u32_e32 v100, 0x78, v3
	v_cmp_gt_u32_e32 vcc_lo, 0x79, v3
	v_or_b32_e32 v103, 0x800000, v99
	v_cndmask_b32_e32 v100, 0, v100, vcc_lo
	v_cmp_eq_u32_e32 vcc_lo, 0, v3
	v_add_nc_u32_e32 v3, 0xffffff89, v3
	v_cndmask_b32_e64 v100, v100, 0x77, vcc_lo
	v_cndmask_b32_e32 v99, v103, v99, vcc_lo
	v_cndmask_b32_e64 v3, v3, 0xffffff8a, vcc_lo
	v_lshl_add_u32 v103, 0x100000, v100, -1
	v_lshrrev_b32_e32 v113, v100, v99
	v_lshlrev_b32_e64 v62, v100, 0x80000
	v_add_nc_u32_e32 v100, v100, v3
	v_and_b32_e32 v99, v103, v99
	v_bfe_u32 v116, v113, 20, 1
	v_cmp_eq_u32_e64 s12, v99, v62
	v_add_nc_u32_e32 v103, -1, v116
	v_cndmask_b32_e64 v99, 0, v103, s12
	v_lshrrev_b32_e32 v103, 23, v113
	s_mov_b32 s12, exec_lo
	v_add_nc_u32_e32 v99, v99, v113
	v_xor_b32_e32 v103, 1, v103
	v_and_b32_e32 v3, 0xfffff, v99
	v_add_nc_u32_e32 v99, v3, v113
                                        ; implicit-def: $vgpr3
	v_cmpx_ne_u32_e64 v100, v103
	s_xor_b32 s12, exec_lo, s12
; %bb.5408:                             ;   in Loop: Header=BB6_4953 Depth=2
	v_cmp_lt_u32_e32 vcc_lo, 0xffffff, v99
	v_sub_nc_u32_e32 v3, v100, v103
	v_cndmask_b32_e64 v100, 0, 1, vcc_lo
	v_add_co_ci_u32_e64 v3, null, 0, v3, vcc_lo
	v_lshrrev_b32_e32 v99, v100, v99
; %bb.5409:                             ;   in Loop: Header=BB6_4953 Depth=2
	s_andn2_saveexec_b32 s12, s12
; %bb.5410:                             ;   in Loop: Header=BB6_4953 Depth=2
	v_bfe_u32 v3, v99, 23, 1
; %bb.5411:                             ;   in Loop: Header=BB6_4953 Depth=2
	s_or_b32 exec_lo, exec_lo, s12
	v_lshrrev_b32_e32 v99, 20, v99
	v_cmp_gt_i32_e32 vcc_lo, 16, v3
	v_min_i32_e32 v100, 15, v3
	v_and_b32_sdwa v2, v2, v119 dst_sel:DWORD dst_unused:UNUSED_PAD src0_sel:BYTE_3 src1_sel:DWORD
	v_cndmask_b32_e32 v99, 7, v99, vcc_lo
	v_lshlrev_b32_e32 v100, 3, v100
	v_and_b32_e32 v103, 7, v99
	v_or_b32_e32 v3, v3, v99
	v_or3_b32 v2, v100, v2, v103
	v_cmp_ne_u32_e32 vcc_lo, 0, v3
	v_cndmask_b32_e32 v99, 0, v2, vcc_lo
.LBB6_5412:                             ;   in Loop: Header=BB6_4953 Depth=2
	s_or_b32 exec_lo, exec_lo, s28
.LBB6_5413:                             ;   in Loop: Header=BB6_4953 Depth=2
	s_or_b32 exec_lo, exec_lo, s27
	v_cmp_gt_i16_sdwa s27, v97, v115 src0_sel:BYTE_0 src1_sel:DWORD
	s_mov_b32 s12, 0
	s_and_saveexec_b32 s28, s27
	s_xor_b32 s27, exec_lo, s28
	s_cbranch_execz .LBB6_5683
; %bb.5414:                             ;   in Loop: Header=BB6_4953 Depth=2
	v_cmp_eq_u16_sdwa s29, v97, v119 src0_sel:BYTE_0 src1_sel:DWORD
	s_mov_b32 s12, -1
	s_and_saveexec_b32 s28, s29
; %bb.5415:                             ;   in Loop: Header=BB6_4953 Depth=2
	s_xor_b32 s12, exec_lo, -1
; %bb.5416:                             ;   in Loop: Header=BB6_4953 Depth=2
	s_or_b32 exec_lo, exec_lo, s28
	s_and_b32 s12, s12, exec_lo
	s_or_saveexec_b32 s27, s27
	v_mov_b32_e32 v2, 0x7f800001
	s_xor_b32 exec_lo, exec_lo, s27
	s_cbranch_execnz .LBB6_5684
.LBB6_5417:                             ;   in Loop: Header=BB6_4953 Depth=2
	s_or_b32 exec_lo, exec_lo, s27
	s_and_saveexec_b32 s27, s12
	s_cbranch_execz .LBB6_5419
.LBB6_5418:                             ;   in Loop: Header=BB6_4953 Depth=2
	v_and_b32_e32 v2, 7, v97
	v_lshrrev_b16 v100, 3, v97
	v_ffbh_u32_e32 v3, v2
	v_and_b32_e32 v100, 15, v100
	v_min_u32_e32 v3, 32, v3
	v_cmp_eq_u32_e32 vcc_lo, 0, v100
	v_subrev_nc_u32_e32 v103, 28, v3
	v_sub_nc_u32_e32 v3, 29, v3
	v_lshlrev_b32_e32 v103, v103, v97
	v_lshlrev_b32_e32 v97, 24, v97
	v_cndmask_b32_e32 v3, v100, v3, vcc_lo
	v_and_b32_e32 v103, 7, v103
	v_and_b32_e32 v97, 0x80000000, v97
	v_lshl_add_u32 v3, v3, 23, 0x3b800000
	v_cndmask_b32_e32 v2, v2, v103, vcc_lo
	v_lshlrev_b32_e32 v2, 20, v2
	v_or3_b32 v2, v97, v3, v2
.LBB6_5419:                             ;   in Loop: Header=BB6_4953 Depth=2
	s_or_b32 exec_lo, exec_lo, s27
	s_waitcnt vmcnt(8) lgkmcnt(8)
	v_cmp_gt_i16_sdwa s27, v96, v115 src0_sel:BYTE_0 src1_sel:DWORD
	s_mov_b32 s12, 0
	s_and_saveexec_b32 s28, s27
	s_xor_b32 s27, exec_lo, s28
	s_cbranch_execz .LBB6_5685
; %bb.5420:                             ;   in Loop: Header=BB6_4953 Depth=2
	v_cmp_eq_u16_sdwa s29, v96, v119 src0_sel:BYTE_0 src1_sel:DWORD
	s_mov_b32 s12, -1
	s_and_saveexec_b32 s28, s29
; %bb.5421:                             ;   in Loop: Header=BB6_4953 Depth=2
	s_xor_b32 s12, exec_lo, -1
; %bb.5422:                             ;   in Loop: Header=BB6_4953 Depth=2
	s_or_b32 exec_lo, exec_lo, s28
	s_and_b32 s12, s12, exec_lo
	s_or_saveexec_b32 s27, s27
	v_mov_b32_e32 v3, 0x7f800001
	s_xor_b32 exec_lo, exec_lo, s27
	s_cbranch_execnz .LBB6_5686
.LBB6_5423:                             ;   in Loop: Header=BB6_4953 Depth=2
	s_or_b32 exec_lo, exec_lo, s27
	s_and_saveexec_b32 s27, s12
	s_cbranch_execz .LBB6_5425
.LBB6_5424:                             ;   in Loop: Header=BB6_4953 Depth=2
	v_and_b32_e32 v3, 7, v96
	v_lshrrev_b16 v100, 3, v96
	v_ffbh_u32_e32 v97, v3
	v_and_b32_e32 v100, 15, v100
	v_min_u32_e32 v97, 32, v97
	v_cmp_eq_u32_e32 vcc_lo, 0, v100
	v_subrev_nc_u32_e32 v103, 28, v97
	v_sub_nc_u32_e32 v97, 29, v97
	v_lshlrev_b32_e32 v103, v103, v96
	v_lshlrev_b32_e32 v96, 24, v96
	v_cndmask_b32_e32 v97, v100, v97, vcc_lo
	v_and_b32_e32 v103, 7, v103
	v_and_b32_e32 v96, 0x80000000, v96
	v_lshl_add_u32 v97, v97, 23, 0x3b800000
	v_cndmask_b32_e32 v3, v3, v103, vcc_lo
	v_lshlrev_b32_e32 v3, 20, v3
	v_or3_b32 v3, v96, v97, v3
.LBB6_5425:                             ;   in Loop: Header=BB6_4953 Depth=2
	s_or_b32 exec_lo, exec_lo, s27
	v_add_f32_e32 v2, v2, v3
	v_mov_b32_e32 v96, 0x80
	s_mov_b32 s27, exec_lo
	v_and_b32_e32 v3, 0x7f800000, v2
	v_cmpx_ne_u32_e32 0x7f800000, v3
	s_cbranch_execz .LBB6_5433
; %bb.5426:                             ;   in Loop: Header=BB6_4953 Depth=2
	v_mov_b32_e32 v96, 0
	s_mov_b32 s28, exec_lo
	v_cmpx_ne_u32_e32 0, v2
	s_cbranch_execz .LBB6_5432
; %bb.5427:                             ;   in Loop: Header=BB6_4953 Depth=2
	v_bfe_u32 v3, v2, 23, 8
	v_and_b32_e32 v96, 0x7fffff, v2
	v_sub_nc_u32_e32 v97, 0x78, v3
	v_cmp_gt_u32_e32 vcc_lo, 0x79, v3
	v_or_b32_e32 v100, 0x800000, v96
	v_cndmask_b32_e32 v97, 0, v97, vcc_lo
	v_cmp_eq_u32_e32 vcc_lo, 0, v3
	v_add_nc_u32_e32 v3, 0xffffff89, v3
	v_cndmask_b32_e64 v97, v97, 0x77, vcc_lo
	v_cndmask_b32_e32 v96, v100, v96, vcc_lo
	v_cndmask_b32_e64 v3, v3, 0xffffff8a, vcc_lo
	v_lshl_add_u32 v100, 0x100000, v97, -1
	v_lshrrev_b32_e32 v103, v97, v96
	v_lshlrev_b32_e64 v116, v97, 0x80000
	v_add_nc_u32_e32 v97, v97, v3
	v_and_b32_e32 v96, v100, v96
	v_bfe_u32 v113, v103, 20, 1
	v_cmp_eq_u32_e64 s12, v96, v116
	v_add_nc_u32_e32 v100, -1, v113
	v_cndmask_b32_e64 v96, 0, v100, s12
	v_lshrrev_b32_e32 v100, 23, v103
	s_mov_b32 s12, exec_lo
	v_add_nc_u32_e32 v96, v96, v103
	v_xor_b32_e32 v100, 1, v100
	v_and_b32_e32 v3, 0xfffff, v96
	v_add_nc_u32_e32 v96, v3, v103
                                        ; implicit-def: $vgpr3
	v_cmpx_ne_u32_e64 v97, v100
	s_xor_b32 s12, exec_lo, s12
; %bb.5428:                             ;   in Loop: Header=BB6_4953 Depth=2
	v_cmp_lt_u32_e32 vcc_lo, 0xffffff, v96
	v_sub_nc_u32_e32 v3, v97, v100
	v_cndmask_b32_e64 v97, 0, 1, vcc_lo
	v_add_co_ci_u32_e64 v3, null, 0, v3, vcc_lo
	v_lshrrev_b32_e32 v96, v97, v96
; %bb.5429:                             ;   in Loop: Header=BB6_4953 Depth=2
	s_andn2_saveexec_b32 s12, s12
; %bb.5430:                             ;   in Loop: Header=BB6_4953 Depth=2
	v_bfe_u32 v3, v96, 23, 1
; %bb.5431:                             ;   in Loop: Header=BB6_4953 Depth=2
	s_or_b32 exec_lo, exec_lo, s12
	v_lshrrev_b32_e32 v96, 20, v96
	v_cmp_gt_i32_e32 vcc_lo, 16, v3
	v_min_i32_e32 v97, 15, v3
	v_and_b32_sdwa v2, v2, v119 dst_sel:DWORD dst_unused:UNUSED_PAD src0_sel:BYTE_3 src1_sel:DWORD
	v_cndmask_b32_e32 v96, 7, v96, vcc_lo
	v_lshlrev_b32_e32 v97, 3, v97
	v_and_b32_e32 v100, 7, v96
	v_or_b32_e32 v3, v3, v96
	v_or3_b32 v2, v97, v2, v100
	v_cmp_ne_u32_e32 vcc_lo, 0, v3
	v_cndmask_b32_e32 v96, 0, v2, vcc_lo
.LBB6_5432:                             ;   in Loop: Header=BB6_4953 Depth=2
	s_or_b32 exec_lo, exec_lo, s28
.LBB6_5433:                             ;   in Loop: Header=BB6_4953 Depth=2
	s_or_b32 exec_lo, exec_lo, s27
	v_cmp_gt_i16_sdwa s27, v85, v115 src0_sel:BYTE_0 src1_sel:DWORD
	s_mov_b32 s12, 0
	s_and_saveexec_b32 s28, s27
	s_xor_b32 s27, exec_lo, s28
	s_cbranch_execz .LBB6_5687
; %bb.5434:                             ;   in Loop: Header=BB6_4953 Depth=2
	v_cmp_eq_u16_sdwa s29, v85, v119 src0_sel:BYTE_0 src1_sel:DWORD
	s_mov_b32 s12, -1
	s_and_saveexec_b32 s28, s29
; %bb.5435:                             ;   in Loop: Header=BB6_4953 Depth=2
	s_xor_b32 s12, exec_lo, -1
; %bb.5436:                             ;   in Loop: Header=BB6_4953 Depth=2
	s_or_b32 exec_lo, exec_lo, s28
	s_and_b32 s12, s12, exec_lo
	s_or_saveexec_b32 s27, s27
	v_mov_b32_e32 v2, 0x7f800001
	s_xor_b32 exec_lo, exec_lo, s27
	s_cbranch_execnz .LBB6_5688
.LBB6_5437:                             ;   in Loop: Header=BB6_4953 Depth=2
	s_or_b32 exec_lo, exec_lo, s27
	s_and_saveexec_b32 s27, s12
	s_cbranch_execz .LBB6_5439
.LBB6_5438:                             ;   in Loop: Header=BB6_4953 Depth=2
	v_and_b32_e32 v2, 7, v85
	v_lshrrev_b16 v97, 3, v85
	v_ffbh_u32_e32 v3, v2
	v_and_b32_e32 v97, 15, v97
	v_min_u32_e32 v3, 32, v3
	v_cmp_eq_u32_e32 vcc_lo, 0, v97
	v_subrev_nc_u32_e32 v100, 28, v3
	v_sub_nc_u32_e32 v3, 29, v3
	v_lshlrev_b32_e32 v100, v100, v85
	v_lshlrev_b32_e32 v85, 24, v85
	v_cndmask_b32_e32 v3, v97, v3, vcc_lo
	v_and_b32_e32 v100, 7, v100
	v_and_b32_e32 v85, 0x80000000, v85
	v_lshl_add_u32 v3, v3, 23, 0x3b800000
	v_cndmask_b32_e32 v2, v2, v100, vcc_lo
	v_lshlrev_b32_e32 v2, 20, v2
	v_or3_b32 v2, v85, v3, v2
.LBB6_5439:                             ;   in Loop: Header=BB6_4953 Depth=2
	s_or_b32 exec_lo, exec_lo, s27
	s_waitcnt vmcnt(7) lgkmcnt(7)
	v_cmp_gt_i16_sdwa s27, v51, v115 src0_sel:BYTE_0 src1_sel:DWORD
	s_mov_b32 s12, 0
	s_and_saveexec_b32 s28, s27
	s_xor_b32 s27, exec_lo, s28
	s_cbranch_execz .LBB6_5689
; %bb.5440:                             ;   in Loop: Header=BB6_4953 Depth=2
	v_cmp_eq_u16_sdwa s29, v51, v119 src0_sel:BYTE_0 src1_sel:DWORD
	s_mov_b32 s12, -1
	s_and_saveexec_b32 s28, s29
; %bb.5441:                             ;   in Loop: Header=BB6_4953 Depth=2
	s_xor_b32 s12, exec_lo, -1
; %bb.5442:                             ;   in Loop: Header=BB6_4953 Depth=2
	s_or_b32 exec_lo, exec_lo, s28
	s_and_b32 s12, s12, exec_lo
	s_or_saveexec_b32 s27, s27
	v_mov_b32_e32 v3, 0x7f800001
	s_xor_b32 exec_lo, exec_lo, s27
	s_cbranch_execnz .LBB6_5690
.LBB6_5443:                             ;   in Loop: Header=BB6_4953 Depth=2
	s_or_b32 exec_lo, exec_lo, s27
	s_and_saveexec_b32 s27, s12
	s_cbranch_execz .LBB6_5445
.LBB6_5444:                             ;   in Loop: Header=BB6_4953 Depth=2
	v_and_b32_e32 v3, 7, v51
	v_lshrrev_b16 v97, 3, v51
	v_ffbh_u32_e32 v85, v3
	v_and_b32_e32 v97, 15, v97
	v_min_u32_e32 v85, 32, v85
	v_cmp_eq_u32_e32 vcc_lo, 0, v97
	v_subrev_nc_u32_e32 v100, 28, v85
	v_sub_nc_u32_e32 v85, 29, v85
	v_lshlrev_b32_e32 v100, v100, v51
	v_lshlrev_b32_e32 v51, 24, v51
	v_cndmask_b32_e32 v85, v97, v85, vcc_lo
	v_and_b32_e32 v100, 7, v100
	v_and_b32_e32 v51, 0x80000000, v51
	v_lshl_add_u32 v85, v85, 23, 0x3b800000
	v_cndmask_b32_e32 v3, v3, v100, vcc_lo
	v_lshlrev_b32_e32 v3, 20, v3
	v_or3_b32 v3, v51, v85, v3
.LBB6_5445:                             ;   in Loop: Header=BB6_4953 Depth=2
	s_or_b32 exec_lo, exec_lo, s27
	v_add_f32_e32 v2, v2, v3
	v_mov_b32_e32 v51, 0x80
	s_mov_b32 s27, exec_lo
	v_and_b32_e32 v3, 0x7f800000, v2
	v_cmpx_ne_u32_e32 0x7f800000, v3
	s_cbranch_execz .LBB6_5453
; %bb.5446:                             ;   in Loop: Header=BB6_4953 Depth=2
	v_mov_b32_e32 v51, 0
	s_mov_b32 s28, exec_lo
	v_cmpx_ne_u32_e32 0, v2
	s_cbranch_execz .LBB6_5452
; %bb.5447:                             ;   in Loop: Header=BB6_4953 Depth=2
	v_bfe_u32 v3, v2, 23, 8
	v_and_b32_e32 v51, 0x7fffff, v2
	v_sub_nc_u32_e32 v85, 0x78, v3
	v_cmp_gt_u32_e32 vcc_lo, 0x79, v3
	v_or_b32_e32 v97, 0x800000, v51
	v_cndmask_b32_e32 v85, 0, v85, vcc_lo
	v_cmp_eq_u32_e32 vcc_lo, 0, v3
	v_add_nc_u32_e32 v3, 0xffffff89, v3
	v_cndmask_b32_e64 v85, v85, 0x77, vcc_lo
	v_cndmask_b32_e32 v51, v97, v51, vcc_lo
	v_cndmask_b32_e64 v3, v3, 0xffffff8a, vcc_lo
	v_lshl_add_u32 v97, 0x100000, v85, -1
	v_lshrrev_b32_e32 v100, v85, v51
	v_lshlrev_b32_e64 v113, v85, 0x80000
	v_add_nc_u32_e32 v85, v85, v3
	v_and_b32_e32 v51, v97, v51
	v_bfe_u32 v103, v100, 20, 1
	v_cmp_eq_u32_e64 s12, v51, v113
	v_add_nc_u32_e32 v97, -1, v103
	v_cndmask_b32_e64 v51, 0, v97, s12
	v_lshrrev_b32_e32 v97, 23, v100
	s_mov_b32 s12, exec_lo
	v_add_nc_u32_e32 v51, v51, v100
	v_xor_b32_e32 v97, 1, v97
	v_and_b32_e32 v3, 0xfffff, v51
	v_add_nc_u32_e32 v51, v3, v100
                                        ; implicit-def: $vgpr3
	v_cmpx_ne_u32_e64 v85, v97
	s_xor_b32 s12, exec_lo, s12
; %bb.5448:                             ;   in Loop: Header=BB6_4953 Depth=2
	v_cmp_lt_u32_e32 vcc_lo, 0xffffff, v51
	v_sub_nc_u32_e32 v3, v85, v97
	v_cndmask_b32_e64 v85, 0, 1, vcc_lo
	v_add_co_ci_u32_e64 v3, null, 0, v3, vcc_lo
	v_lshrrev_b32_e32 v51, v85, v51
; %bb.5449:                             ;   in Loop: Header=BB6_4953 Depth=2
	s_andn2_saveexec_b32 s12, s12
; %bb.5450:                             ;   in Loop: Header=BB6_4953 Depth=2
	v_bfe_u32 v3, v51, 23, 1
; %bb.5451:                             ;   in Loop: Header=BB6_4953 Depth=2
	s_or_b32 exec_lo, exec_lo, s12
	v_lshrrev_b32_e32 v51, 20, v51
	v_cmp_gt_i32_e32 vcc_lo, 16, v3
	v_min_i32_e32 v85, 15, v3
	v_and_b32_sdwa v2, v2, v119 dst_sel:DWORD dst_unused:UNUSED_PAD src0_sel:BYTE_3 src1_sel:DWORD
	v_cndmask_b32_e32 v51, 7, v51, vcc_lo
	v_lshlrev_b32_e32 v85, 3, v85
	v_and_b32_e32 v97, 7, v51
	v_or_b32_e32 v3, v3, v51
	v_or3_b32 v2, v85, v2, v97
	v_cmp_ne_u32_e32 vcc_lo, 0, v3
	v_cndmask_b32_e32 v51, 0, v2, vcc_lo
.LBB6_5452:                             ;   in Loop: Header=BB6_4953 Depth=2
	s_or_b32 exec_lo, exec_lo, s28
.LBB6_5453:                             ;   in Loop: Header=BB6_4953 Depth=2
	s_or_b32 exec_lo, exec_lo, s27
	v_cmp_gt_i16_sdwa s27, v49, v115 src0_sel:BYTE_0 src1_sel:DWORD
	s_mov_b32 s12, 0
	s_and_saveexec_b32 s28, s27
	s_xor_b32 s27, exec_lo, s28
	s_cbranch_execz .LBB6_5691
; %bb.5454:                             ;   in Loop: Header=BB6_4953 Depth=2
	v_cmp_eq_u16_sdwa s29, v49, v119 src0_sel:BYTE_0 src1_sel:DWORD
	s_mov_b32 s12, -1
	s_and_saveexec_b32 s28, s29
; %bb.5455:                             ;   in Loop: Header=BB6_4953 Depth=2
	s_xor_b32 s12, exec_lo, -1
; %bb.5456:                             ;   in Loop: Header=BB6_4953 Depth=2
	s_or_b32 exec_lo, exec_lo, s28
	s_and_b32 s12, s12, exec_lo
	s_or_saveexec_b32 s27, s27
	v_mov_b32_e32 v2, 0x7f800001
	s_xor_b32 exec_lo, exec_lo, s27
	s_cbranch_execnz .LBB6_5692
.LBB6_5457:                             ;   in Loop: Header=BB6_4953 Depth=2
	s_or_b32 exec_lo, exec_lo, s27
	s_and_saveexec_b32 s27, s12
	s_cbranch_execz .LBB6_5459
.LBB6_5458:                             ;   in Loop: Header=BB6_4953 Depth=2
	v_and_b32_e32 v2, 7, v49
	v_lshrrev_b16 v85, 3, v49
	v_ffbh_u32_e32 v3, v2
	v_and_b32_e32 v85, 15, v85
	v_min_u32_e32 v3, 32, v3
	v_cmp_eq_u32_e32 vcc_lo, 0, v85
	v_subrev_nc_u32_e32 v97, 28, v3
	v_sub_nc_u32_e32 v3, 29, v3
	v_lshlrev_b32_e32 v97, v97, v49
	v_lshlrev_b32_e32 v49, 24, v49
	v_cndmask_b32_e32 v3, v85, v3, vcc_lo
	v_and_b32_e32 v97, 7, v97
	v_and_b32_e32 v49, 0x80000000, v49
	v_lshl_add_u32 v3, v3, 23, 0x3b800000
	v_cndmask_b32_e32 v2, v2, v97, vcc_lo
	v_lshlrev_b32_e32 v2, 20, v2
	v_or3_b32 v2, v49, v3, v2
.LBB6_5459:                             ;   in Loop: Header=BB6_4953 Depth=2
	s_or_b32 exec_lo, exec_lo, s27
	s_waitcnt vmcnt(6) lgkmcnt(6)
	v_cmp_gt_i16_sdwa s27, v48, v115 src0_sel:BYTE_0 src1_sel:DWORD
	s_mov_b32 s12, 0
	s_and_saveexec_b32 s28, s27
	s_xor_b32 s27, exec_lo, s28
	s_cbranch_execz .LBB6_5693
; %bb.5460:                             ;   in Loop: Header=BB6_4953 Depth=2
	v_cmp_eq_u16_sdwa s29, v48, v119 src0_sel:BYTE_0 src1_sel:DWORD
	s_mov_b32 s12, -1
	s_and_saveexec_b32 s28, s29
; %bb.5461:                             ;   in Loop: Header=BB6_4953 Depth=2
	s_xor_b32 s12, exec_lo, -1
; %bb.5462:                             ;   in Loop: Header=BB6_4953 Depth=2
	s_or_b32 exec_lo, exec_lo, s28
	s_and_b32 s12, s12, exec_lo
	s_or_saveexec_b32 s27, s27
	v_mov_b32_e32 v3, 0x7f800001
	s_xor_b32 exec_lo, exec_lo, s27
	s_cbranch_execnz .LBB6_5694
.LBB6_5463:                             ;   in Loop: Header=BB6_4953 Depth=2
	s_or_b32 exec_lo, exec_lo, s27
	s_and_saveexec_b32 s27, s12
	s_cbranch_execz .LBB6_5465
.LBB6_5464:                             ;   in Loop: Header=BB6_4953 Depth=2
	v_and_b32_e32 v3, 7, v48
	v_lshrrev_b16 v85, 3, v48
	v_ffbh_u32_e32 v49, v3
	v_and_b32_e32 v85, 15, v85
	v_min_u32_e32 v49, 32, v49
	v_cmp_eq_u32_e32 vcc_lo, 0, v85
	v_subrev_nc_u32_e32 v97, 28, v49
	v_sub_nc_u32_e32 v49, 29, v49
	v_lshlrev_b32_e32 v97, v97, v48
	v_lshlrev_b32_e32 v48, 24, v48
	v_cndmask_b32_e32 v49, v85, v49, vcc_lo
	v_and_b32_e32 v97, 7, v97
	v_and_b32_e32 v48, 0x80000000, v48
	v_lshl_add_u32 v49, v49, 23, 0x3b800000
	v_cndmask_b32_e32 v3, v3, v97, vcc_lo
	v_lshlrev_b32_e32 v3, 20, v3
	v_or3_b32 v3, v48, v49, v3
.LBB6_5465:                             ;   in Loop: Header=BB6_4953 Depth=2
	s_or_b32 exec_lo, exec_lo, s27
	v_add_f32_e32 v2, v2, v3
	v_mov_b32_e32 v48, 0x80
	s_mov_b32 s27, exec_lo
	v_and_b32_e32 v3, 0x7f800000, v2
	v_cmpx_ne_u32_e32 0x7f800000, v3
	s_cbranch_execz .LBB6_5473
; %bb.5466:                             ;   in Loop: Header=BB6_4953 Depth=2
	v_mov_b32_e32 v48, 0
	s_mov_b32 s28, exec_lo
	v_cmpx_ne_u32_e32 0, v2
	s_cbranch_execz .LBB6_5472
; %bb.5467:                             ;   in Loop: Header=BB6_4953 Depth=2
	v_bfe_u32 v3, v2, 23, 8
	v_and_b32_e32 v48, 0x7fffff, v2
	v_sub_nc_u32_e32 v49, 0x78, v3
	v_cmp_gt_u32_e32 vcc_lo, 0x79, v3
	v_or_b32_e32 v85, 0x800000, v48
	v_cndmask_b32_e32 v49, 0, v49, vcc_lo
	v_cmp_eq_u32_e32 vcc_lo, 0, v3
	v_add_nc_u32_e32 v3, 0xffffff89, v3
	v_cndmask_b32_e64 v49, v49, 0x77, vcc_lo
	v_cndmask_b32_e32 v48, v85, v48, vcc_lo
	v_cndmask_b32_e64 v3, v3, 0xffffff8a, vcc_lo
	v_lshl_add_u32 v85, 0x100000, v49, -1
	v_lshrrev_b32_e32 v97, v49, v48
	v_lshlrev_b32_e64 v103, v49, 0x80000
	v_add_nc_u32_e32 v49, v49, v3
	v_and_b32_e32 v48, v85, v48
	v_bfe_u32 v100, v97, 20, 1
	v_cmp_eq_u32_e64 s12, v48, v103
	v_add_nc_u32_e32 v85, -1, v100
	v_cndmask_b32_e64 v48, 0, v85, s12
	v_lshrrev_b32_e32 v85, 23, v97
	s_mov_b32 s12, exec_lo
	v_add_nc_u32_e32 v48, v48, v97
	v_xor_b32_e32 v85, 1, v85
	v_and_b32_e32 v3, 0xfffff, v48
	v_add_nc_u32_e32 v48, v3, v97
                                        ; implicit-def: $vgpr3
	v_cmpx_ne_u32_e64 v49, v85
	s_xor_b32 s12, exec_lo, s12
; %bb.5468:                             ;   in Loop: Header=BB6_4953 Depth=2
	v_cmp_lt_u32_e32 vcc_lo, 0xffffff, v48
	v_sub_nc_u32_e32 v3, v49, v85
	v_cndmask_b32_e64 v49, 0, 1, vcc_lo
	v_add_co_ci_u32_e64 v3, null, 0, v3, vcc_lo
	v_lshrrev_b32_e32 v48, v49, v48
; %bb.5469:                             ;   in Loop: Header=BB6_4953 Depth=2
	s_andn2_saveexec_b32 s12, s12
; %bb.5470:                             ;   in Loop: Header=BB6_4953 Depth=2
	v_bfe_u32 v3, v48, 23, 1
; %bb.5471:                             ;   in Loop: Header=BB6_4953 Depth=2
	s_or_b32 exec_lo, exec_lo, s12
	v_lshrrev_b32_e32 v48, 20, v48
	v_cmp_gt_i32_e32 vcc_lo, 16, v3
	v_min_i32_e32 v49, 15, v3
	v_and_b32_sdwa v2, v2, v119 dst_sel:DWORD dst_unused:UNUSED_PAD src0_sel:BYTE_3 src1_sel:DWORD
	v_cndmask_b32_e32 v48, 7, v48, vcc_lo
	v_lshlrev_b32_e32 v49, 3, v49
	v_and_b32_e32 v85, 7, v48
	v_or_b32_e32 v3, v3, v48
	v_or3_b32 v2, v49, v2, v85
	v_cmp_ne_u32_e32 vcc_lo, 0, v3
	v_cndmask_b32_e32 v48, 0, v2, vcc_lo
.LBB6_5472:                             ;   in Loop: Header=BB6_4953 Depth=2
	s_or_b32 exec_lo, exec_lo, s28
.LBB6_5473:                             ;   in Loop: Header=BB6_4953 Depth=2
	s_or_b32 exec_lo, exec_lo, s27
	v_cmp_gt_i16_sdwa s27, v38, v115 src0_sel:BYTE_0 src1_sel:DWORD
	s_mov_b32 s12, 0
	s_and_saveexec_b32 s28, s27
	s_xor_b32 s27, exec_lo, s28
	s_cbranch_execz .LBB6_5695
; %bb.5474:                             ;   in Loop: Header=BB6_4953 Depth=2
	v_cmp_eq_u16_sdwa s29, v38, v119 src0_sel:BYTE_0 src1_sel:DWORD
	s_mov_b32 s12, -1
	s_and_saveexec_b32 s28, s29
; %bb.5475:                             ;   in Loop: Header=BB6_4953 Depth=2
	s_xor_b32 s12, exec_lo, -1
; %bb.5476:                             ;   in Loop: Header=BB6_4953 Depth=2
	s_or_b32 exec_lo, exec_lo, s28
	s_and_b32 s12, s12, exec_lo
	s_or_saveexec_b32 s27, s27
	v_mov_b32_e32 v2, 0x7f800001
	s_xor_b32 exec_lo, exec_lo, s27
	s_cbranch_execnz .LBB6_5696
.LBB6_5477:                             ;   in Loop: Header=BB6_4953 Depth=2
	s_or_b32 exec_lo, exec_lo, s27
	s_and_saveexec_b32 s27, s12
	s_cbranch_execz .LBB6_5479
.LBB6_5478:                             ;   in Loop: Header=BB6_4953 Depth=2
	v_and_b32_e32 v2, 7, v38
	v_lshrrev_b16 v49, 3, v38
	v_ffbh_u32_e32 v3, v2
	v_and_b32_e32 v49, 15, v49
	v_min_u32_e32 v3, 32, v3
	v_cmp_eq_u32_e32 vcc_lo, 0, v49
	v_subrev_nc_u32_e32 v85, 28, v3
	v_sub_nc_u32_e32 v3, 29, v3
	v_lshlrev_b32_e32 v85, v85, v38
	v_lshlrev_b32_e32 v38, 24, v38
	v_cndmask_b32_e32 v3, v49, v3, vcc_lo
	v_and_b32_e32 v85, 7, v85
	v_and_b32_e32 v38, 0x80000000, v38
	v_lshl_add_u32 v3, v3, 23, 0x3b800000
	v_cndmask_b32_e32 v2, v2, v85, vcc_lo
	v_lshlrev_b32_e32 v2, 20, v2
	v_or3_b32 v2, v38, v3, v2
.LBB6_5479:                             ;   in Loop: Header=BB6_4953 Depth=2
	s_or_b32 exec_lo, exec_lo, s27
	s_waitcnt vmcnt(5) lgkmcnt(5)
	v_cmp_gt_i16_sdwa s27, v37, v115 src0_sel:BYTE_0 src1_sel:DWORD
	s_mov_b32 s12, 0
	s_and_saveexec_b32 s28, s27
	s_xor_b32 s27, exec_lo, s28
	s_cbranch_execz .LBB6_5697
; %bb.5480:                             ;   in Loop: Header=BB6_4953 Depth=2
	v_cmp_eq_u16_sdwa s29, v37, v119 src0_sel:BYTE_0 src1_sel:DWORD
	s_mov_b32 s12, -1
	s_and_saveexec_b32 s28, s29
; %bb.5481:                             ;   in Loop: Header=BB6_4953 Depth=2
	s_xor_b32 s12, exec_lo, -1
; %bb.5482:                             ;   in Loop: Header=BB6_4953 Depth=2
	s_or_b32 exec_lo, exec_lo, s28
	s_and_b32 s12, s12, exec_lo
	s_or_saveexec_b32 s27, s27
	v_mov_b32_e32 v3, 0x7f800001
	s_xor_b32 exec_lo, exec_lo, s27
	s_cbranch_execnz .LBB6_5698
.LBB6_5483:                             ;   in Loop: Header=BB6_4953 Depth=2
	s_or_b32 exec_lo, exec_lo, s27
	s_and_saveexec_b32 s27, s12
	s_cbranch_execz .LBB6_5485
.LBB6_5484:                             ;   in Loop: Header=BB6_4953 Depth=2
	v_and_b32_e32 v3, 7, v37
	v_lshrrev_b16 v49, 3, v37
	v_ffbh_u32_e32 v38, v3
	v_and_b32_e32 v49, 15, v49
	v_min_u32_e32 v38, 32, v38
	v_cmp_eq_u32_e32 vcc_lo, 0, v49
	v_subrev_nc_u32_e32 v85, 28, v38
	v_sub_nc_u32_e32 v38, 29, v38
	v_lshlrev_b32_e32 v85, v85, v37
	v_lshlrev_b32_e32 v37, 24, v37
	v_cndmask_b32_e32 v38, v49, v38, vcc_lo
	v_and_b32_e32 v85, 7, v85
	v_and_b32_e32 v37, 0x80000000, v37
	v_lshl_add_u32 v38, v38, 23, 0x3b800000
	v_cndmask_b32_e32 v3, v3, v85, vcc_lo
	v_lshlrev_b32_e32 v3, 20, v3
	v_or3_b32 v3, v37, v38, v3
.LBB6_5485:                             ;   in Loop: Header=BB6_4953 Depth=2
	s_or_b32 exec_lo, exec_lo, s27
	v_add_f32_e32 v2, v2, v3
	v_mov_b32_e32 v37, 0x80
	s_mov_b32 s27, exec_lo
	v_and_b32_e32 v3, 0x7f800000, v2
	v_cmpx_ne_u32_e32 0x7f800000, v3
	s_cbranch_execz .LBB6_5493
; %bb.5486:                             ;   in Loop: Header=BB6_4953 Depth=2
	v_mov_b32_e32 v37, 0
	s_mov_b32 s28, exec_lo
	v_cmpx_ne_u32_e32 0, v2
	s_cbranch_execz .LBB6_5492
; %bb.5487:                             ;   in Loop: Header=BB6_4953 Depth=2
	v_bfe_u32 v3, v2, 23, 8
	v_and_b32_e32 v37, 0x7fffff, v2
	v_sub_nc_u32_e32 v38, 0x78, v3
	v_cmp_gt_u32_e32 vcc_lo, 0x79, v3
	v_or_b32_e32 v49, 0x800000, v37
	v_cndmask_b32_e32 v38, 0, v38, vcc_lo
	v_cmp_eq_u32_e32 vcc_lo, 0, v3
	v_add_nc_u32_e32 v3, 0xffffff89, v3
	v_cndmask_b32_e64 v38, v38, 0x77, vcc_lo
	v_cndmask_b32_e32 v37, v49, v37, vcc_lo
	v_cndmask_b32_e64 v3, v3, 0xffffff8a, vcc_lo
	v_lshl_add_u32 v49, 0x100000, v38, -1
	v_lshrrev_b32_e32 v85, v38, v37
	v_lshlrev_b32_e64 v100, v38, 0x80000
	v_add_nc_u32_e32 v38, v38, v3
	v_and_b32_e32 v37, v49, v37
	v_bfe_u32 v97, v85, 20, 1
	v_cmp_eq_u32_e64 s12, v37, v100
	v_add_nc_u32_e32 v49, -1, v97
	v_cndmask_b32_e64 v37, 0, v49, s12
	v_lshrrev_b32_e32 v49, 23, v85
	s_mov_b32 s12, exec_lo
	v_add_nc_u32_e32 v37, v37, v85
	v_xor_b32_e32 v49, 1, v49
	v_and_b32_e32 v3, 0xfffff, v37
	v_add_nc_u32_e32 v37, v3, v85
                                        ; implicit-def: $vgpr3
	v_cmpx_ne_u32_e64 v38, v49
	s_xor_b32 s12, exec_lo, s12
; %bb.5488:                             ;   in Loop: Header=BB6_4953 Depth=2
	v_cmp_lt_u32_e32 vcc_lo, 0xffffff, v37
	v_sub_nc_u32_e32 v3, v38, v49
	v_cndmask_b32_e64 v38, 0, 1, vcc_lo
	v_add_co_ci_u32_e64 v3, null, 0, v3, vcc_lo
	v_lshrrev_b32_e32 v37, v38, v37
; %bb.5489:                             ;   in Loop: Header=BB6_4953 Depth=2
	s_andn2_saveexec_b32 s12, s12
; %bb.5490:                             ;   in Loop: Header=BB6_4953 Depth=2
	v_bfe_u32 v3, v37, 23, 1
; %bb.5491:                             ;   in Loop: Header=BB6_4953 Depth=2
	s_or_b32 exec_lo, exec_lo, s12
	v_lshrrev_b32_e32 v37, 20, v37
	v_cmp_gt_i32_e32 vcc_lo, 16, v3
	v_min_i32_e32 v38, 15, v3
	v_and_b32_sdwa v2, v2, v119 dst_sel:DWORD dst_unused:UNUSED_PAD src0_sel:BYTE_3 src1_sel:DWORD
	v_cndmask_b32_e32 v37, 7, v37, vcc_lo
	v_lshlrev_b32_e32 v38, 3, v38
	v_and_b32_e32 v49, 7, v37
	v_or_b32_e32 v3, v3, v37
	v_or3_b32 v2, v38, v2, v49
	v_cmp_ne_u32_e32 vcc_lo, 0, v3
	v_cndmask_b32_e32 v37, 0, v2, vcc_lo
.LBB6_5492:                             ;   in Loop: Header=BB6_4953 Depth=2
	s_or_b32 exec_lo, exec_lo, s28
.LBB6_5493:                             ;   in Loop: Header=BB6_4953 Depth=2
	s_or_b32 exec_lo, exec_lo, s27
	v_cmp_gt_i16_sdwa s27, v35, v115 src0_sel:BYTE_0 src1_sel:DWORD
	s_mov_b32 s12, 0
	s_and_saveexec_b32 s28, s27
	s_xor_b32 s27, exec_lo, s28
	s_cbranch_execz .LBB6_5699
; %bb.5494:                             ;   in Loop: Header=BB6_4953 Depth=2
	v_cmp_eq_u16_sdwa s29, v35, v119 src0_sel:BYTE_0 src1_sel:DWORD
	s_mov_b32 s12, -1
	s_and_saveexec_b32 s28, s29
; %bb.5495:                             ;   in Loop: Header=BB6_4953 Depth=2
	s_xor_b32 s12, exec_lo, -1
; %bb.5496:                             ;   in Loop: Header=BB6_4953 Depth=2
	s_or_b32 exec_lo, exec_lo, s28
	s_and_b32 s12, s12, exec_lo
	s_or_saveexec_b32 s27, s27
	v_mov_b32_e32 v2, 0x7f800001
	s_xor_b32 exec_lo, exec_lo, s27
	s_cbranch_execnz .LBB6_5700
.LBB6_5497:                             ;   in Loop: Header=BB6_4953 Depth=2
	s_or_b32 exec_lo, exec_lo, s27
	s_and_saveexec_b32 s27, s12
	s_cbranch_execz .LBB6_5499
.LBB6_5498:                             ;   in Loop: Header=BB6_4953 Depth=2
	v_and_b32_e32 v2, 7, v35
	v_lshrrev_b16 v38, 3, v35
	v_ffbh_u32_e32 v3, v2
	v_and_b32_e32 v38, 15, v38
	v_min_u32_e32 v3, 32, v3
	v_cmp_eq_u32_e32 vcc_lo, 0, v38
	v_subrev_nc_u32_e32 v49, 28, v3
	v_sub_nc_u32_e32 v3, 29, v3
	v_lshlrev_b32_e32 v49, v49, v35
	v_lshlrev_b32_e32 v35, 24, v35
	v_cndmask_b32_e32 v3, v38, v3, vcc_lo
	v_and_b32_e32 v49, 7, v49
	v_and_b32_e32 v35, 0x80000000, v35
	v_lshl_add_u32 v3, v3, 23, 0x3b800000
	v_cndmask_b32_e32 v2, v2, v49, vcc_lo
	v_lshlrev_b32_e32 v2, 20, v2
	v_or3_b32 v2, v35, v3, v2
.LBB6_5499:                             ;   in Loop: Header=BB6_4953 Depth=2
	s_or_b32 exec_lo, exec_lo, s27
	s_waitcnt vmcnt(4) lgkmcnt(4)
	v_cmp_gt_i16_sdwa s27, v34, v115 src0_sel:BYTE_0 src1_sel:DWORD
	s_mov_b32 s12, 0
	s_and_saveexec_b32 s28, s27
	s_xor_b32 s27, exec_lo, s28
	s_cbranch_execz .LBB6_5701
; %bb.5500:                             ;   in Loop: Header=BB6_4953 Depth=2
	v_cmp_eq_u16_sdwa s29, v34, v119 src0_sel:BYTE_0 src1_sel:DWORD
	s_mov_b32 s12, -1
	s_and_saveexec_b32 s28, s29
; %bb.5501:                             ;   in Loop: Header=BB6_4953 Depth=2
	s_xor_b32 s12, exec_lo, -1
; %bb.5502:                             ;   in Loop: Header=BB6_4953 Depth=2
	s_or_b32 exec_lo, exec_lo, s28
	s_and_b32 s12, s12, exec_lo
	s_or_saveexec_b32 s27, s27
	v_mov_b32_e32 v3, 0x7f800001
	s_xor_b32 exec_lo, exec_lo, s27
	s_cbranch_execnz .LBB6_5702
.LBB6_5503:                             ;   in Loop: Header=BB6_4953 Depth=2
	s_or_b32 exec_lo, exec_lo, s27
	s_and_saveexec_b32 s27, s12
	s_cbranch_execz .LBB6_5505
.LBB6_5504:                             ;   in Loop: Header=BB6_4953 Depth=2
	v_and_b32_e32 v3, 7, v34
	v_lshrrev_b16 v38, 3, v34
	v_ffbh_u32_e32 v35, v3
	v_and_b32_e32 v38, 15, v38
	v_min_u32_e32 v35, 32, v35
	v_cmp_eq_u32_e32 vcc_lo, 0, v38
	v_subrev_nc_u32_e32 v49, 28, v35
	v_sub_nc_u32_e32 v35, 29, v35
	v_lshlrev_b32_e32 v49, v49, v34
	v_lshlrev_b32_e32 v34, 24, v34
	v_cndmask_b32_e32 v35, v38, v35, vcc_lo
	v_and_b32_e32 v49, 7, v49
	v_and_b32_e32 v34, 0x80000000, v34
	v_lshl_add_u32 v35, v35, 23, 0x3b800000
	v_cndmask_b32_e32 v3, v3, v49, vcc_lo
	v_lshlrev_b32_e32 v3, 20, v3
	v_or3_b32 v3, v34, v35, v3
.LBB6_5505:                             ;   in Loop: Header=BB6_4953 Depth=2
	s_or_b32 exec_lo, exec_lo, s27
	v_add_f32_e32 v2, v2, v3
	v_mov_b32_e32 v34, 0x80
	s_mov_b32 s27, exec_lo
	v_and_b32_e32 v3, 0x7f800000, v2
	v_cmpx_ne_u32_e32 0x7f800000, v3
	s_cbranch_execz .LBB6_5513
; %bb.5506:                             ;   in Loop: Header=BB6_4953 Depth=2
	v_mov_b32_e32 v34, 0
	s_mov_b32 s28, exec_lo
	v_cmpx_ne_u32_e32 0, v2
	s_cbranch_execz .LBB6_5512
; %bb.5507:                             ;   in Loop: Header=BB6_4953 Depth=2
	v_bfe_u32 v3, v2, 23, 8
	v_and_b32_e32 v34, 0x7fffff, v2
	v_sub_nc_u32_e32 v35, 0x78, v3
	v_cmp_gt_u32_e32 vcc_lo, 0x79, v3
	v_or_b32_e32 v38, 0x800000, v34
	v_cndmask_b32_e32 v35, 0, v35, vcc_lo
	v_cmp_eq_u32_e32 vcc_lo, 0, v3
	v_add_nc_u32_e32 v3, 0xffffff89, v3
	v_cndmask_b32_e64 v35, v35, 0x77, vcc_lo
	v_cndmask_b32_e32 v34, v38, v34, vcc_lo
	v_cndmask_b32_e64 v3, v3, 0xffffff8a, vcc_lo
	v_lshl_add_u32 v38, 0x100000, v35, -1
	v_lshrrev_b32_e32 v49, v35, v34
	v_lshlrev_b32_e64 v97, v35, 0x80000
	v_add_nc_u32_e32 v35, v35, v3
	v_and_b32_e32 v34, v38, v34
	v_bfe_u32 v85, v49, 20, 1
	v_cmp_eq_u32_e64 s12, v34, v97
	v_add_nc_u32_e32 v38, -1, v85
	v_cndmask_b32_e64 v34, 0, v38, s12
	v_lshrrev_b32_e32 v38, 23, v49
	s_mov_b32 s12, exec_lo
	v_add_nc_u32_e32 v34, v34, v49
	v_xor_b32_e32 v38, 1, v38
	v_and_b32_e32 v3, 0xfffff, v34
	v_add_nc_u32_e32 v34, v3, v49
                                        ; implicit-def: $vgpr3
	v_cmpx_ne_u32_e64 v35, v38
	s_xor_b32 s12, exec_lo, s12
; %bb.5508:                             ;   in Loop: Header=BB6_4953 Depth=2
	v_cmp_lt_u32_e32 vcc_lo, 0xffffff, v34
	v_sub_nc_u32_e32 v3, v35, v38
	v_cndmask_b32_e64 v35, 0, 1, vcc_lo
	v_add_co_ci_u32_e64 v3, null, 0, v3, vcc_lo
	v_lshrrev_b32_e32 v34, v35, v34
; %bb.5509:                             ;   in Loop: Header=BB6_4953 Depth=2
	s_andn2_saveexec_b32 s12, s12
; %bb.5510:                             ;   in Loop: Header=BB6_4953 Depth=2
	v_bfe_u32 v3, v34, 23, 1
; %bb.5511:                             ;   in Loop: Header=BB6_4953 Depth=2
	s_or_b32 exec_lo, exec_lo, s12
	v_lshrrev_b32_e32 v34, 20, v34
	v_cmp_gt_i32_e32 vcc_lo, 16, v3
	v_min_i32_e32 v35, 15, v3
	v_and_b32_sdwa v2, v2, v119 dst_sel:DWORD dst_unused:UNUSED_PAD src0_sel:BYTE_3 src1_sel:DWORD
	v_cndmask_b32_e32 v34, 7, v34, vcc_lo
	v_lshlrev_b32_e32 v35, 3, v35
	v_and_b32_e32 v38, 7, v34
	v_or_b32_e32 v3, v3, v34
	v_or3_b32 v2, v35, v2, v38
	v_cmp_ne_u32_e32 vcc_lo, 0, v3
	v_cndmask_b32_e32 v34, 0, v2, vcc_lo
.LBB6_5512:                             ;   in Loop: Header=BB6_4953 Depth=2
	s_or_b32 exec_lo, exec_lo, s28
.LBB6_5513:                             ;   in Loop: Header=BB6_4953 Depth=2
	s_or_b32 exec_lo, exec_lo, s27
	v_cmp_gt_i16_sdwa s27, v33, v115 src0_sel:BYTE_0 src1_sel:DWORD
	s_mov_b32 s12, 0
	s_and_saveexec_b32 s28, s27
	s_xor_b32 s27, exec_lo, s28
	s_cbranch_execz .LBB6_5703
; %bb.5514:                             ;   in Loop: Header=BB6_4953 Depth=2
	v_cmp_eq_u16_sdwa s29, v33, v119 src0_sel:BYTE_0 src1_sel:DWORD
	s_mov_b32 s12, -1
	s_and_saveexec_b32 s28, s29
; %bb.5515:                             ;   in Loop: Header=BB6_4953 Depth=2
	s_xor_b32 s12, exec_lo, -1
; %bb.5516:                             ;   in Loop: Header=BB6_4953 Depth=2
	s_or_b32 exec_lo, exec_lo, s28
	s_and_b32 s12, s12, exec_lo
	s_or_saveexec_b32 s27, s27
	v_mov_b32_e32 v2, 0x7f800001
	s_xor_b32 exec_lo, exec_lo, s27
	s_cbranch_execnz .LBB6_5704
.LBB6_5517:                             ;   in Loop: Header=BB6_4953 Depth=2
	s_or_b32 exec_lo, exec_lo, s27
	s_and_saveexec_b32 s27, s12
	s_cbranch_execz .LBB6_5519
.LBB6_5518:                             ;   in Loop: Header=BB6_4953 Depth=2
	v_and_b32_e32 v2, 7, v33
	v_lshrrev_b16 v35, 3, v33
	v_ffbh_u32_e32 v3, v2
	v_and_b32_e32 v35, 15, v35
	v_min_u32_e32 v3, 32, v3
	v_cmp_eq_u32_e32 vcc_lo, 0, v35
	v_subrev_nc_u32_e32 v38, 28, v3
	v_sub_nc_u32_e32 v3, 29, v3
	v_lshlrev_b32_e32 v38, v38, v33
	v_lshlrev_b32_e32 v33, 24, v33
	v_cndmask_b32_e32 v3, v35, v3, vcc_lo
	v_and_b32_e32 v38, 7, v38
	v_and_b32_e32 v33, 0x80000000, v33
	v_lshl_add_u32 v3, v3, 23, 0x3b800000
	v_cndmask_b32_e32 v2, v2, v38, vcc_lo
	v_lshlrev_b32_e32 v2, 20, v2
	v_or3_b32 v2, v33, v3, v2
.LBB6_5519:                             ;   in Loop: Header=BB6_4953 Depth=2
	s_or_b32 exec_lo, exec_lo, s27
	s_waitcnt vmcnt(3) lgkmcnt(3)
	v_cmp_gt_i16_sdwa s27, v29, v115 src0_sel:BYTE_0 src1_sel:DWORD
	s_mov_b32 s12, 0
	s_and_saveexec_b32 s28, s27
	s_xor_b32 s27, exec_lo, s28
	s_cbranch_execz .LBB6_5705
; %bb.5520:                             ;   in Loop: Header=BB6_4953 Depth=2
	v_cmp_eq_u16_sdwa s29, v29, v119 src0_sel:BYTE_0 src1_sel:DWORD
	s_mov_b32 s12, -1
	s_and_saveexec_b32 s28, s29
; %bb.5521:                             ;   in Loop: Header=BB6_4953 Depth=2
	s_xor_b32 s12, exec_lo, -1
; %bb.5522:                             ;   in Loop: Header=BB6_4953 Depth=2
	s_or_b32 exec_lo, exec_lo, s28
	s_and_b32 s12, s12, exec_lo
	s_or_saveexec_b32 s27, s27
	v_mov_b32_e32 v3, 0x7f800001
	s_xor_b32 exec_lo, exec_lo, s27
	s_cbranch_execnz .LBB6_5706
.LBB6_5523:                             ;   in Loop: Header=BB6_4953 Depth=2
	s_or_b32 exec_lo, exec_lo, s27
	s_and_saveexec_b32 s27, s12
	s_cbranch_execz .LBB6_5525
.LBB6_5524:                             ;   in Loop: Header=BB6_4953 Depth=2
	v_and_b32_e32 v3, 7, v29
	v_lshrrev_b16 v35, 3, v29
	v_ffbh_u32_e32 v33, v3
	v_and_b32_e32 v35, 15, v35
	v_min_u32_e32 v33, 32, v33
	v_cmp_eq_u32_e32 vcc_lo, 0, v35
	v_subrev_nc_u32_e32 v38, 28, v33
	v_sub_nc_u32_e32 v33, 29, v33
	v_lshlrev_b32_e32 v38, v38, v29
	v_lshlrev_b32_e32 v29, 24, v29
	v_cndmask_b32_e32 v33, v35, v33, vcc_lo
	v_and_b32_e32 v38, 7, v38
	v_and_b32_e32 v29, 0x80000000, v29
	v_lshl_add_u32 v33, v33, 23, 0x3b800000
	v_cndmask_b32_e32 v3, v3, v38, vcc_lo
	v_lshlrev_b32_e32 v3, 20, v3
	v_or3_b32 v3, v29, v33, v3
.LBB6_5525:                             ;   in Loop: Header=BB6_4953 Depth=2
	s_or_b32 exec_lo, exec_lo, s27
	v_add_f32_e32 v2, v2, v3
	v_mov_b32_e32 v29, 0x80
	s_mov_b32 s27, exec_lo
	v_and_b32_e32 v3, 0x7f800000, v2
	v_cmpx_ne_u32_e32 0x7f800000, v3
	s_cbranch_execz .LBB6_5533
; %bb.5526:                             ;   in Loop: Header=BB6_4953 Depth=2
	v_mov_b32_e32 v29, 0
	s_mov_b32 s28, exec_lo
	v_cmpx_ne_u32_e32 0, v2
	s_cbranch_execz .LBB6_5532
; %bb.5527:                             ;   in Loop: Header=BB6_4953 Depth=2
	v_bfe_u32 v3, v2, 23, 8
	v_and_b32_e32 v29, 0x7fffff, v2
	v_sub_nc_u32_e32 v33, 0x78, v3
	v_cmp_gt_u32_e32 vcc_lo, 0x79, v3
	v_or_b32_e32 v35, 0x800000, v29
	v_cndmask_b32_e32 v33, 0, v33, vcc_lo
	v_cmp_eq_u32_e32 vcc_lo, 0, v3
	v_add_nc_u32_e32 v3, 0xffffff89, v3
	v_cndmask_b32_e64 v33, v33, 0x77, vcc_lo
	v_cndmask_b32_e32 v29, v35, v29, vcc_lo
	v_cndmask_b32_e64 v3, v3, 0xffffff8a, vcc_lo
	v_lshl_add_u32 v35, 0x100000, v33, -1
	v_lshrrev_b32_e32 v38, v33, v29
	v_lshlrev_b32_e64 v85, v33, 0x80000
	v_add_nc_u32_e32 v33, v33, v3
	v_and_b32_e32 v29, v35, v29
	v_bfe_u32 v49, v38, 20, 1
	v_cmp_eq_u32_e64 s12, v29, v85
	v_add_nc_u32_e32 v35, -1, v49
	v_cndmask_b32_e64 v29, 0, v35, s12
	v_lshrrev_b32_e32 v35, 23, v38
	s_mov_b32 s12, exec_lo
	v_add_nc_u32_e32 v29, v29, v38
	v_xor_b32_e32 v35, 1, v35
	v_and_b32_e32 v3, 0xfffff, v29
	v_add_nc_u32_e32 v29, v3, v38
                                        ; implicit-def: $vgpr3
	v_cmpx_ne_u32_e64 v33, v35
	s_xor_b32 s12, exec_lo, s12
; %bb.5528:                             ;   in Loop: Header=BB6_4953 Depth=2
	v_cmp_lt_u32_e32 vcc_lo, 0xffffff, v29
	v_sub_nc_u32_e32 v3, v33, v35
	v_cndmask_b32_e64 v33, 0, 1, vcc_lo
	v_add_co_ci_u32_e64 v3, null, 0, v3, vcc_lo
	v_lshrrev_b32_e32 v29, v33, v29
; %bb.5529:                             ;   in Loop: Header=BB6_4953 Depth=2
	s_andn2_saveexec_b32 s12, s12
; %bb.5530:                             ;   in Loop: Header=BB6_4953 Depth=2
	v_bfe_u32 v3, v29, 23, 1
; %bb.5531:                             ;   in Loop: Header=BB6_4953 Depth=2
	s_or_b32 exec_lo, exec_lo, s12
	v_lshrrev_b32_e32 v29, 20, v29
	v_cmp_gt_i32_e32 vcc_lo, 16, v3
	v_min_i32_e32 v33, 15, v3
	v_and_b32_sdwa v2, v2, v119 dst_sel:DWORD dst_unused:UNUSED_PAD src0_sel:BYTE_3 src1_sel:DWORD
	v_cndmask_b32_e32 v29, 7, v29, vcc_lo
	v_lshlrev_b32_e32 v33, 3, v33
	v_and_b32_e32 v35, 7, v29
	v_or_b32_e32 v3, v3, v29
	v_or3_b32 v2, v33, v2, v35
	v_cmp_ne_u32_e32 vcc_lo, 0, v3
	v_cndmask_b32_e32 v29, 0, v2, vcc_lo
.LBB6_5532:                             ;   in Loop: Header=BB6_4953 Depth=2
	s_or_b32 exec_lo, exec_lo, s28
.LBB6_5533:                             ;   in Loop: Header=BB6_4953 Depth=2
	s_or_b32 exec_lo, exec_lo, s27
	v_cmp_gt_i16_sdwa s27, v28, v115 src0_sel:BYTE_0 src1_sel:DWORD
	s_mov_b32 s12, 0
	s_and_saveexec_b32 s28, s27
	s_xor_b32 s27, exec_lo, s28
	s_cbranch_execz .LBB6_5707
; %bb.5534:                             ;   in Loop: Header=BB6_4953 Depth=2
	v_cmp_eq_u16_sdwa s29, v28, v119 src0_sel:BYTE_0 src1_sel:DWORD
	s_mov_b32 s12, -1
	s_and_saveexec_b32 s28, s29
; %bb.5535:                             ;   in Loop: Header=BB6_4953 Depth=2
	s_xor_b32 s12, exec_lo, -1
; %bb.5536:                             ;   in Loop: Header=BB6_4953 Depth=2
	s_or_b32 exec_lo, exec_lo, s28
	s_and_b32 s12, s12, exec_lo
	s_or_saveexec_b32 s27, s27
	v_mov_b32_e32 v2, 0x7f800001
	s_xor_b32 exec_lo, exec_lo, s27
	s_cbranch_execnz .LBB6_5708
.LBB6_5537:                             ;   in Loop: Header=BB6_4953 Depth=2
	s_or_b32 exec_lo, exec_lo, s27
	s_and_saveexec_b32 s27, s12
	s_cbranch_execz .LBB6_5539
.LBB6_5538:                             ;   in Loop: Header=BB6_4953 Depth=2
	v_and_b32_e32 v2, 7, v28
	v_lshrrev_b16 v33, 3, v28
	v_ffbh_u32_e32 v3, v2
	v_and_b32_e32 v33, 15, v33
	v_min_u32_e32 v3, 32, v3
	v_cmp_eq_u32_e32 vcc_lo, 0, v33
	v_subrev_nc_u32_e32 v35, 28, v3
	v_sub_nc_u32_e32 v3, 29, v3
	v_lshlrev_b32_e32 v35, v35, v28
	v_lshlrev_b32_e32 v28, 24, v28
	v_cndmask_b32_e32 v3, v33, v3, vcc_lo
	v_and_b32_e32 v35, 7, v35
	v_and_b32_e32 v28, 0x80000000, v28
	v_lshl_add_u32 v3, v3, 23, 0x3b800000
	v_cndmask_b32_e32 v2, v2, v35, vcc_lo
	v_lshlrev_b32_e32 v2, 20, v2
	v_or3_b32 v2, v28, v3, v2
.LBB6_5539:                             ;   in Loop: Header=BB6_4953 Depth=2
	s_or_b32 exec_lo, exec_lo, s27
	s_waitcnt vmcnt(2) lgkmcnt(2)
	v_cmp_gt_i16_sdwa s27, v27, v115 src0_sel:BYTE_0 src1_sel:DWORD
	s_mov_b32 s12, 0
	s_and_saveexec_b32 s28, s27
	s_xor_b32 s27, exec_lo, s28
	s_cbranch_execz .LBB6_5709
; %bb.5540:                             ;   in Loop: Header=BB6_4953 Depth=2
	v_cmp_eq_u16_sdwa s29, v27, v119 src0_sel:BYTE_0 src1_sel:DWORD
	s_mov_b32 s12, -1
	s_and_saveexec_b32 s28, s29
; %bb.5541:                             ;   in Loop: Header=BB6_4953 Depth=2
	s_xor_b32 s12, exec_lo, -1
; %bb.5542:                             ;   in Loop: Header=BB6_4953 Depth=2
	s_or_b32 exec_lo, exec_lo, s28
	s_and_b32 s12, s12, exec_lo
	s_or_saveexec_b32 s27, s27
	v_mov_b32_e32 v3, 0x7f800001
	s_xor_b32 exec_lo, exec_lo, s27
	s_cbranch_execnz .LBB6_5710
.LBB6_5543:                             ;   in Loop: Header=BB6_4953 Depth=2
	s_or_b32 exec_lo, exec_lo, s27
	s_and_saveexec_b32 s27, s12
	s_cbranch_execz .LBB6_5545
.LBB6_5544:                             ;   in Loop: Header=BB6_4953 Depth=2
	v_and_b32_e32 v3, 7, v27
	v_lshrrev_b16 v33, 3, v27
	v_ffbh_u32_e32 v28, v3
	v_and_b32_e32 v33, 15, v33
	v_min_u32_e32 v28, 32, v28
	v_cmp_eq_u32_e32 vcc_lo, 0, v33
	v_subrev_nc_u32_e32 v35, 28, v28
	v_sub_nc_u32_e32 v28, 29, v28
	v_lshlrev_b32_e32 v35, v35, v27
	v_lshlrev_b32_e32 v27, 24, v27
	v_cndmask_b32_e32 v28, v33, v28, vcc_lo
	v_and_b32_e32 v35, 7, v35
	v_and_b32_e32 v27, 0x80000000, v27
	v_lshl_add_u32 v28, v28, 23, 0x3b800000
	v_cndmask_b32_e32 v3, v3, v35, vcc_lo
	v_lshlrev_b32_e32 v3, 20, v3
	v_or3_b32 v3, v27, v28, v3
.LBB6_5545:                             ;   in Loop: Header=BB6_4953 Depth=2
	s_or_b32 exec_lo, exec_lo, s27
	v_add_f32_e32 v2, v2, v3
	v_mov_b32_e32 v27, 0x80
	s_mov_b32 s27, exec_lo
	v_and_b32_e32 v3, 0x7f800000, v2
	v_cmpx_ne_u32_e32 0x7f800000, v3
	s_cbranch_execz .LBB6_5553
; %bb.5546:                             ;   in Loop: Header=BB6_4953 Depth=2
	v_mov_b32_e32 v27, 0
	s_mov_b32 s28, exec_lo
	v_cmpx_ne_u32_e32 0, v2
	s_cbranch_execz .LBB6_5552
; %bb.5547:                             ;   in Loop: Header=BB6_4953 Depth=2
	v_bfe_u32 v3, v2, 23, 8
	v_and_b32_e32 v27, 0x7fffff, v2
	v_sub_nc_u32_e32 v28, 0x78, v3
	v_cmp_gt_u32_e32 vcc_lo, 0x79, v3
	v_or_b32_e32 v33, 0x800000, v27
	v_cndmask_b32_e32 v28, 0, v28, vcc_lo
	v_cmp_eq_u32_e32 vcc_lo, 0, v3
	v_add_nc_u32_e32 v3, 0xffffff89, v3
	v_cndmask_b32_e64 v28, v28, 0x77, vcc_lo
	v_cndmask_b32_e32 v27, v33, v27, vcc_lo
	v_cndmask_b32_e64 v3, v3, 0xffffff8a, vcc_lo
	v_lshl_add_u32 v33, 0x100000, v28, -1
	v_lshrrev_b32_e32 v35, v28, v27
	v_lshlrev_b32_e64 v49, v28, 0x80000
	v_add_nc_u32_e32 v28, v28, v3
	v_and_b32_e32 v27, v33, v27
	v_bfe_u32 v38, v35, 20, 1
	v_cmp_eq_u32_e64 s12, v27, v49
	v_add_nc_u32_e32 v33, -1, v38
	v_cndmask_b32_e64 v27, 0, v33, s12
	v_lshrrev_b32_e32 v33, 23, v35
	s_mov_b32 s12, exec_lo
	v_add_nc_u32_e32 v27, v27, v35
	v_xor_b32_e32 v33, 1, v33
	v_and_b32_e32 v3, 0xfffff, v27
	v_add_nc_u32_e32 v27, v3, v35
                                        ; implicit-def: $vgpr3
	v_cmpx_ne_u32_e64 v28, v33
	s_xor_b32 s12, exec_lo, s12
; %bb.5548:                             ;   in Loop: Header=BB6_4953 Depth=2
	v_cmp_lt_u32_e32 vcc_lo, 0xffffff, v27
	v_sub_nc_u32_e32 v3, v28, v33
	v_cndmask_b32_e64 v28, 0, 1, vcc_lo
	v_add_co_ci_u32_e64 v3, null, 0, v3, vcc_lo
	v_lshrrev_b32_e32 v27, v28, v27
; %bb.5549:                             ;   in Loop: Header=BB6_4953 Depth=2
	s_andn2_saveexec_b32 s12, s12
; %bb.5550:                             ;   in Loop: Header=BB6_4953 Depth=2
	v_bfe_u32 v3, v27, 23, 1
; %bb.5551:                             ;   in Loop: Header=BB6_4953 Depth=2
	s_or_b32 exec_lo, exec_lo, s12
	v_lshrrev_b32_e32 v27, 20, v27
	v_cmp_gt_i32_e32 vcc_lo, 16, v3
	v_min_i32_e32 v28, 15, v3
	v_and_b32_sdwa v2, v2, v119 dst_sel:DWORD dst_unused:UNUSED_PAD src0_sel:BYTE_3 src1_sel:DWORD
	v_cndmask_b32_e32 v27, 7, v27, vcc_lo
	v_lshlrev_b32_e32 v28, 3, v28
	v_and_b32_e32 v33, 7, v27
	v_or_b32_e32 v3, v3, v27
	v_or3_b32 v2, v28, v2, v33
	v_cmp_ne_u32_e32 vcc_lo, 0, v3
	v_cndmask_b32_e32 v27, 0, v2, vcc_lo
.LBB6_5552:                             ;   in Loop: Header=BB6_4953 Depth=2
	s_or_b32 exec_lo, exec_lo, s28
.LBB6_5553:                             ;   in Loop: Header=BB6_4953 Depth=2
	s_or_b32 exec_lo, exec_lo, s27
	v_cmp_gt_i16_sdwa s27, v25, v115 src0_sel:BYTE_0 src1_sel:DWORD
	s_mov_b32 s12, 0
	s_and_saveexec_b32 s28, s27
	s_xor_b32 s27, exec_lo, s28
	s_cbranch_execz .LBB6_5711
; %bb.5554:                             ;   in Loop: Header=BB6_4953 Depth=2
	v_cmp_eq_u16_sdwa s29, v25, v119 src0_sel:BYTE_0 src1_sel:DWORD
	s_mov_b32 s12, -1
	s_and_saveexec_b32 s28, s29
; %bb.5555:                             ;   in Loop: Header=BB6_4953 Depth=2
	s_xor_b32 s12, exec_lo, -1
; %bb.5556:                             ;   in Loop: Header=BB6_4953 Depth=2
	s_or_b32 exec_lo, exec_lo, s28
	s_and_b32 s12, s12, exec_lo
	s_or_saveexec_b32 s27, s27
	v_mov_b32_e32 v2, 0x7f800001
	s_xor_b32 exec_lo, exec_lo, s27
	s_cbranch_execnz .LBB6_5712
.LBB6_5557:                             ;   in Loop: Header=BB6_4953 Depth=2
	s_or_b32 exec_lo, exec_lo, s27
	s_and_saveexec_b32 s27, s12
	s_cbranch_execz .LBB6_5559
.LBB6_5558:                             ;   in Loop: Header=BB6_4953 Depth=2
	v_and_b32_e32 v2, 7, v25
	v_lshrrev_b16 v28, 3, v25
	v_ffbh_u32_e32 v3, v2
	v_and_b32_e32 v28, 15, v28
	v_min_u32_e32 v3, 32, v3
	v_cmp_eq_u32_e32 vcc_lo, 0, v28
	v_subrev_nc_u32_e32 v33, 28, v3
	v_sub_nc_u32_e32 v3, 29, v3
	v_lshlrev_b32_e32 v33, v33, v25
	v_lshlrev_b32_e32 v25, 24, v25
	v_cndmask_b32_e32 v3, v28, v3, vcc_lo
	v_and_b32_e32 v33, 7, v33
	v_and_b32_e32 v25, 0x80000000, v25
	v_lshl_add_u32 v3, v3, 23, 0x3b800000
	v_cndmask_b32_e32 v2, v2, v33, vcc_lo
	v_lshlrev_b32_e32 v2, 20, v2
	v_or3_b32 v2, v25, v3, v2
.LBB6_5559:                             ;   in Loop: Header=BB6_4953 Depth=2
	s_or_b32 exec_lo, exec_lo, s27
	s_waitcnt vmcnt(1) lgkmcnt(1)
	v_cmp_gt_i16_sdwa s27, v24, v115 src0_sel:BYTE_0 src1_sel:DWORD
	s_mov_b32 s12, 0
	s_and_saveexec_b32 s28, s27
	s_xor_b32 s27, exec_lo, s28
	s_cbranch_execz .LBB6_5713
; %bb.5560:                             ;   in Loop: Header=BB6_4953 Depth=2
	v_cmp_eq_u16_sdwa s29, v24, v119 src0_sel:BYTE_0 src1_sel:DWORD
	s_mov_b32 s12, -1
	s_and_saveexec_b32 s28, s29
; %bb.5561:                             ;   in Loop: Header=BB6_4953 Depth=2
	s_xor_b32 s12, exec_lo, -1
; %bb.5562:                             ;   in Loop: Header=BB6_4953 Depth=2
	s_or_b32 exec_lo, exec_lo, s28
	s_and_b32 s12, s12, exec_lo
	s_or_saveexec_b32 s27, s27
	v_mov_b32_e32 v3, 0x7f800001
	s_xor_b32 exec_lo, exec_lo, s27
	s_cbranch_execnz .LBB6_5714
.LBB6_5563:                             ;   in Loop: Header=BB6_4953 Depth=2
	s_or_b32 exec_lo, exec_lo, s27
	s_and_saveexec_b32 s27, s12
	s_cbranch_execz .LBB6_5565
.LBB6_5564:                             ;   in Loop: Header=BB6_4953 Depth=2
	v_and_b32_e32 v3, 7, v24
	v_lshrrev_b16 v28, 3, v24
	v_ffbh_u32_e32 v25, v3
	v_and_b32_e32 v28, 15, v28
	v_min_u32_e32 v25, 32, v25
	v_cmp_eq_u32_e32 vcc_lo, 0, v28
	v_subrev_nc_u32_e32 v33, 28, v25
	v_sub_nc_u32_e32 v25, 29, v25
	v_lshlrev_b32_e32 v33, v33, v24
	v_lshlrev_b32_e32 v24, 24, v24
	v_cndmask_b32_e32 v25, v28, v25, vcc_lo
	v_and_b32_e32 v33, 7, v33
	v_and_b32_e32 v24, 0x80000000, v24
	v_lshl_add_u32 v25, v25, 23, 0x3b800000
	v_cndmask_b32_e32 v3, v3, v33, vcc_lo
	v_lshlrev_b32_e32 v3, 20, v3
	v_or3_b32 v3, v24, v25, v3
.LBB6_5565:                             ;   in Loop: Header=BB6_4953 Depth=2
	s_or_b32 exec_lo, exec_lo, s27
	v_add_f32_e32 v2, v2, v3
	v_mov_b32_e32 v24, 0x80
	s_mov_b32 s27, exec_lo
	v_and_b32_e32 v3, 0x7f800000, v2
	v_cmpx_ne_u32_e32 0x7f800000, v3
	s_cbranch_execz .LBB6_5573
; %bb.5566:                             ;   in Loop: Header=BB6_4953 Depth=2
	v_mov_b32_e32 v24, 0
	s_mov_b32 s28, exec_lo
	v_cmpx_ne_u32_e32 0, v2
	s_cbranch_execz .LBB6_5572
; %bb.5567:                             ;   in Loop: Header=BB6_4953 Depth=2
	v_bfe_u32 v3, v2, 23, 8
	v_and_b32_e32 v24, 0x7fffff, v2
	v_sub_nc_u32_e32 v25, 0x78, v3
	v_cmp_gt_u32_e32 vcc_lo, 0x79, v3
	v_or_b32_e32 v28, 0x800000, v24
	v_cndmask_b32_e32 v25, 0, v25, vcc_lo
	v_cmp_eq_u32_e32 vcc_lo, 0, v3
	v_add_nc_u32_e32 v3, 0xffffff89, v3
	v_cndmask_b32_e64 v25, v25, 0x77, vcc_lo
	v_cndmask_b32_e32 v24, v28, v24, vcc_lo
	v_cndmask_b32_e64 v3, v3, 0xffffff8a, vcc_lo
	v_lshl_add_u32 v28, 0x100000, v25, -1
	v_lshrrev_b32_e32 v33, v25, v24
	v_lshlrev_b32_e64 v38, v25, 0x80000
	v_add_nc_u32_e32 v25, v25, v3
	v_and_b32_e32 v24, v28, v24
	v_bfe_u32 v35, v33, 20, 1
	v_cmp_eq_u32_e64 s12, v24, v38
	v_add_nc_u32_e32 v28, -1, v35
	v_cndmask_b32_e64 v24, 0, v28, s12
	v_lshrrev_b32_e32 v28, 23, v33
	s_mov_b32 s12, exec_lo
	v_add_nc_u32_e32 v24, v24, v33
	v_xor_b32_e32 v28, 1, v28
	v_and_b32_e32 v3, 0xfffff, v24
	v_add_nc_u32_e32 v24, v3, v33
                                        ; implicit-def: $vgpr3
	v_cmpx_ne_u32_e64 v25, v28
	s_xor_b32 s12, exec_lo, s12
; %bb.5568:                             ;   in Loop: Header=BB6_4953 Depth=2
	v_cmp_lt_u32_e32 vcc_lo, 0xffffff, v24
	v_sub_nc_u32_e32 v3, v25, v28
	v_cndmask_b32_e64 v25, 0, 1, vcc_lo
	v_add_co_ci_u32_e64 v3, null, 0, v3, vcc_lo
	v_lshrrev_b32_e32 v24, v25, v24
; %bb.5569:                             ;   in Loop: Header=BB6_4953 Depth=2
	s_andn2_saveexec_b32 s12, s12
; %bb.5570:                             ;   in Loop: Header=BB6_4953 Depth=2
	v_bfe_u32 v3, v24, 23, 1
; %bb.5571:                             ;   in Loop: Header=BB6_4953 Depth=2
	s_or_b32 exec_lo, exec_lo, s12
	v_lshrrev_b32_e32 v24, 20, v24
	v_cmp_gt_i32_e32 vcc_lo, 16, v3
	v_min_i32_e32 v25, 15, v3
	v_and_b32_sdwa v2, v2, v119 dst_sel:DWORD dst_unused:UNUSED_PAD src0_sel:BYTE_3 src1_sel:DWORD
	v_cndmask_b32_e32 v24, 7, v24, vcc_lo
	v_lshlrev_b32_e32 v25, 3, v25
	v_and_b32_e32 v28, 7, v24
	v_or_b32_e32 v3, v3, v24
	v_or3_b32 v2, v25, v2, v28
	v_cmp_ne_u32_e32 vcc_lo, 0, v3
	v_cndmask_b32_e32 v24, 0, v2, vcc_lo
.LBB6_5572:                             ;   in Loop: Header=BB6_4953 Depth=2
	s_or_b32 exec_lo, exec_lo, s28
.LBB6_5573:                             ;   in Loop: Header=BB6_4953 Depth=2
	s_or_b32 exec_lo, exec_lo, s27
	v_cmp_gt_i16_sdwa s27, v22, v115 src0_sel:BYTE_0 src1_sel:DWORD
	s_mov_b32 s12, 0
	s_and_saveexec_b32 s28, s27
	s_xor_b32 s27, exec_lo, s28
	s_cbranch_execz .LBB6_5715
; %bb.5574:                             ;   in Loop: Header=BB6_4953 Depth=2
	v_cmp_eq_u16_sdwa s29, v22, v119 src0_sel:BYTE_0 src1_sel:DWORD
	s_mov_b32 s12, -1
	s_and_saveexec_b32 s28, s29
; %bb.5575:                             ;   in Loop: Header=BB6_4953 Depth=2
	s_xor_b32 s12, exec_lo, -1
; %bb.5576:                             ;   in Loop: Header=BB6_4953 Depth=2
	s_or_b32 exec_lo, exec_lo, s28
	s_and_b32 s12, s12, exec_lo
	s_or_saveexec_b32 s27, s27
	v_mov_b32_e32 v2, 0x7f800001
	s_xor_b32 exec_lo, exec_lo, s27
	s_cbranch_execnz .LBB6_5716
.LBB6_5577:                             ;   in Loop: Header=BB6_4953 Depth=2
	s_or_b32 exec_lo, exec_lo, s27
	s_and_saveexec_b32 s27, s12
	s_cbranch_execz .LBB6_5579
.LBB6_5578:                             ;   in Loop: Header=BB6_4953 Depth=2
	v_and_b32_e32 v2, 7, v22
	v_lshrrev_b16 v25, 3, v22
	v_ffbh_u32_e32 v3, v2
	v_and_b32_e32 v25, 15, v25
	v_min_u32_e32 v3, 32, v3
	v_cmp_eq_u32_e32 vcc_lo, 0, v25
	v_subrev_nc_u32_e32 v28, 28, v3
	v_sub_nc_u32_e32 v3, 29, v3
	v_lshlrev_b32_e32 v28, v28, v22
	v_lshlrev_b32_e32 v22, 24, v22
	v_cndmask_b32_e32 v3, v25, v3, vcc_lo
	v_and_b32_e32 v28, 7, v28
	v_and_b32_e32 v22, 0x80000000, v22
	v_lshl_add_u32 v3, v3, 23, 0x3b800000
	v_cndmask_b32_e32 v2, v2, v28, vcc_lo
	v_lshlrev_b32_e32 v2, 20, v2
	v_or3_b32 v2, v22, v3, v2
.LBB6_5579:                             ;   in Loop: Header=BB6_4953 Depth=2
	s_or_b32 exec_lo, exec_lo, s27
	s_waitcnt vmcnt(0) lgkmcnt(0)
	v_cmp_gt_i16_sdwa s27, v21, v115 src0_sel:BYTE_0 src1_sel:DWORD
	s_mov_b32 s12, 0
	s_and_saveexec_b32 s28, s27
	s_xor_b32 s27, exec_lo, s28
	s_cbranch_execz .LBB6_5717
; %bb.5580:                             ;   in Loop: Header=BB6_4953 Depth=2
	v_cmp_eq_u16_sdwa s29, v21, v119 src0_sel:BYTE_0 src1_sel:DWORD
	s_mov_b32 s12, -1
	s_and_saveexec_b32 s28, s29
; %bb.5581:                             ;   in Loop: Header=BB6_4953 Depth=2
	s_xor_b32 s12, exec_lo, -1
; %bb.5582:                             ;   in Loop: Header=BB6_4953 Depth=2
	s_or_b32 exec_lo, exec_lo, s28
	s_and_b32 s12, s12, exec_lo
	s_or_saveexec_b32 s27, s27
	v_mov_b32_e32 v3, 0x7f800001
	s_xor_b32 exec_lo, exec_lo, s27
	s_cbranch_execnz .LBB6_5718
.LBB6_5583:                             ;   in Loop: Header=BB6_4953 Depth=2
	s_or_b32 exec_lo, exec_lo, s27
	s_and_saveexec_b32 s27, s12
	s_cbranch_execz .LBB6_5585
.LBB6_5584:                             ;   in Loop: Header=BB6_4953 Depth=2
	v_and_b32_e32 v3, 7, v21
	v_lshrrev_b16 v25, 3, v21
	v_ffbh_u32_e32 v22, v3
	v_and_b32_e32 v25, 15, v25
	v_min_u32_e32 v22, 32, v22
	v_cmp_eq_u32_e32 vcc_lo, 0, v25
	v_subrev_nc_u32_e32 v28, 28, v22
	v_sub_nc_u32_e32 v22, 29, v22
	v_lshlrev_b32_e32 v28, v28, v21
	v_lshlrev_b32_e32 v21, 24, v21
	v_cndmask_b32_e32 v22, v25, v22, vcc_lo
	v_and_b32_e32 v28, 7, v28
	v_and_b32_e32 v21, 0x80000000, v21
	v_lshl_add_u32 v22, v22, 23, 0x3b800000
	v_cndmask_b32_e32 v3, v3, v28, vcc_lo
	v_lshlrev_b32_e32 v3, 20, v3
	v_or3_b32 v3, v21, v22, v3
.LBB6_5585:                             ;   in Loop: Header=BB6_4953 Depth=2
	s_or_b32 exec_lo, exec_lo, s27
	v_add_f32_e32 v3, v2, v3
	v_and_b32_e32 v2, 0x7f800000, v3
	v_cmp_ne_u32_e32 vcc_lo, 0x7f800000, v2
	v_mov_b32_e32 v2, 0x80
	s_and_saveexec_b32 s27, vcc_lo
	s_cbranch_execz .LBB6_4952
; %bb.5586:                             ;   in Loop: Header=BB6_4953 Depth=2
	v_mov_b32_e32 v2, 0
	s_mov_b32 s28, exec_lo
	v_cmpx_ne_u32_e32 0, v3
	s_cbranch_execz .LBB6_4951
; %bb.5587:                             ;   in Loop: Header=BB6_4953 Depth=2
	v_bfe_u32 v2, v3, 23, 8
	v_and_b32_e32 v21, 0x7fffff, v3
	v_sub_nc_u32_e32 v22, 0x78, v2
	v_cmp_gt_u32_e32 vcc_lo, 0x79, v2
	v_or_b32_e32 v25, 0x800000, v21
	v_cndmask_b32_e32 v22, 0, v22, vcc_lo
	v_cmp_eq_u32_e32 vcc_lo, 0, v2
	v_add_nc_u32_e32 v2, 0xffffff89, v2
	v_cndmask_b32_e64 v22, v22, 0x77, vcc_lo
	v_cndmask_b32_e32 v21, v25, v21, vcc_lo
	v_cndmask_b32_e64 v2, v2, 0xffffff8a, vcc_lo
	v_lshl_add_u32 v25, 0x100000, v22, -1
	v_lshrrev_b32_e32 v28, v22, v21
	v_lshlrev_b32_e64 v35, v22, 0x80000
	v_add_nc_u32_e32 v22, v22, v2
	v_and_b32_e32 v21, v25, v21
	v_bfe_u32 v33, v28, 20, 1
	v_cmp_eq_u32_e64 s12, v21, v35
	v_add_nc_u32_e32 v25, -1, v33
	v_cndmask_b32_e64 v21, 0, v25, s12
	v_lshrrev_b32_e32 v25, 23, v28
	s_mov_b32 s12, exec_lo
	v_add_nc_u32_e32 v21, v21, v28
	v_xor_b32_e32 v25, 1, v25
	v_and_b32_e32 v2, 0xfffff, v21
	v_add_nc_u32_e32 v21, v2, v28
                                        ; implicit-def: $vgpr2
	v_cmpx_ne_u32_e64 v22, v25
	s_xor_b32 s12, exec_lo, s12
; %bb.5588:                             ;   in Loop: Header=BB6_4953 Depth=2
	v_cmp_lt_u32_e32 vcc_lo, 0xffffff, v21
	v_sub_nc_u32_e32 v2, v22, v25
	v_cndmask_b32_e64 v22, 0, 1, vcc_lo
	v_add_co_ci_u32_e64 v2, null, 0, v2, vcc_lo
	v_lshrrev_b32_e32 v21, v22, v21
; %bb.5589:                             ;   in Loop: Header=BB6_4953 Depth=2
	s_andn2_saveexec_b32 s12, s12
	s_cbranch_execz .LBB6_4950
; %bb.5590:                             ;   in Loop: Header=BB6_4953 Depth=2
	v_bfe_u32 v2, v21, 23, 1
	s_branch .LBB6_4950
.LBB6_5591:                             ;   in Loop: Header=BB6_4953 Depth=2
	s_or_saveexec_b32 s12, s12
	v_mov_b32_e32 v23, 0x7f800001
	s_xor_b32 exec_lo, exec_lo, s12
	s_cbranch_execz .LBB6_4957
.LBB6_5592:                             ;   in Loop: Header=BB6_4953 Depth=2
	v_cmp_ne_u16_e32 vcc_lo, 0, v3
	v_mov_b32_e32 v23, 0
	s_andn2_b32 s27, s27, exec_lo
	s_and_b32 s28, vcc_lo, exec_lo
	s_or_b32 s27, s27, s28
	s_or_b32 exec_lo, exec_lo, s12
	s_and_saveexec_b32 s12, s27
	s_cbranch_execnz .LBB6_4958
	s_branch .LBB6_4959
.LBB6_5593:                             ;   in Loop: Header=BB6_4953 Depth=2
	s_or_saveexec_b32 s12, s12
	v_mov_b32_e32 v3, 0x7f800001
	s_xor_b32 exec_lo, exec_lo, s12
	s_cbranch_execz .LBB6_4963
.LBB6_5594:                             ;   in Loop: Header=BB6_4953 Depth=2
	v_cmp_ne_u16_sdwa s28, v2, v30 src0_sel:BYTE_0 src1_sel:DWORD
	v_mov_b32_e32 v3, 0
	s_andn2_b32 s27, s27, exec_lo
	s_and_b32 s28, s28, exec_lo
	s_or_b32 s27, s27, s28
	s_or_b32 exec_lo, exec_lo, s12
	s_and_saveexec_b32 s12, s27
	s_cbranch_execnz .LBB6_4964
	s_branch .LBB6_4965
.LBB6_5595:                             ;   in Loop: Header=BB6_4953 Depth=2
	s_or_saveexec_b32 s27, s27
	v_mov_b32_e32 v2, 0x7f800001
	s_xor_b32 exec_lo, exec_lo, s27
	s_cbranch_execz .LBB6_4977
.LBB6_5596:                             ;   in Loop: Header=BB6_4953 Depth=2
	v_cmp_ne_u16_sdwa s28, v123, v30 src0_sel:BYTE_0 src1_sel:DWORD
	v_mov_b32_e32 v2, 0
	s_andn2_b32 s12, s12, exec_lo
	s_and_b32 s28, s28, exec_lo
	s_or_b32 s12, s12, s28
	s_or_b32 exec_lo, exec_lo, s27
	s_and_saveexec_b32 s27, s12
	s_cbranch_execnz .LBB6_4978
	s_branch .LBB6_4979
.LBB6_5597:                             ;   in Loop: Header=BB6_4953 Depth=2
	s_or_saveexec_b32 s27, s27
	v_mov_b32_e32 v3, 0x7f800001
	s_xor_b32 exec_lo, exec_lo, s27
	s_cbranch_execz .LBB6_4983
.LBB6_5598:                             ;   in Loop: Header=BB6_4953 Depth=2
	v_cmp_ne_u16_sdwa s28, v26, v30 src0_sel:BYTE_0 src1_sel:DWORD
	v_mov_b32_e32 v3, 0
	s_andn2_b32 s12, s12, exec_lo
	s_and_b32 s28, s28, exec_lo
	s_or_b32 s12, s12, s28
	s_or_b32 exec_lo, exec_lo, s27
	s_and_saveexec_b32 s27, s12
	s_cbranch_execnz .LBB6_4984
	s_branch .LBB6_4985
.LBB6_5599:                             ;   in Loop: Header=BB6_4953 Depth=2
	s_or_saveexec_b32 s27, s27
	v_mov_b32_e32 v2, 0x7f800001
	s_xor_b32 exec_lo, exec_lo, s27
	s_cbranch_execz .LBB6_4997
.LBB6_5600:                             ;   in Loop: Header=BB6_4953 Depth=2
	v_cmp_ne_u16_sdwa s28, v122, v30 src0_sel:BYTE_0 src1_sel:DWORD
	v_mov_b32_e32 v2, 0
	s_andn2_b32 s12, s12, exec_lo
	s_and_b32 s28, s28, exec_lo
	s_or_b32 s12, s12, s28
	s_or_b32 exec_lo, exec_lo, s27
	s_and_saveexec_b32 s27, s12
	s_cbranch_execnz .LBB6_4998
	s_branch .LBB6_4999
.LBB6_5601:                             ;   in Loop: Header=BB6_4953 Depth=2
	s_or_saveexec_b32 s27, s27
	v_mov_b32_e32 v3, 0x7f800001
	s_xor_b32 exec_lo, exec_lo, s27
	s_cbranch_execz .LBB6_5003
.LBB6_5602:                             ;   in Loop: Header=BB6_4953 Depth=2
	v_cmp_ne_u16_sdwa s28, v32, v30 src0_sel:BYTE_0 src1_sel:DWORD
	v_mov_b32_e32 v3, 0
	s_andn2_b32 s12, s12, exec_lo
	s_and_b32 s28, s28, exec_lo
	s_or_b32 s12, s12, s28
	s_or_b32 exec_lo, exec_lo, s27
	s_and_saveexec_b32 s27, s12
	s_cbranch_execnz .LBB6_5004
	s_branch .LBB6_5005
.LBB6_5603:                             ;   in Loop: Header=BB6_4953 Depth=2
	s_or_saveexec_b32 s27, s27
	v_mov_b32_e32 v2, 0x7f800001
	s_xor_b32 exec_lo, exec_lo, s27
	s_cbranch_execz .LBB6_5017
.LBB6_5604:                             ;   in Loop: Header=BB6_4953 Depth=2
	v_cmp_ne_u16_sdwa s28, v121, v30 src0_sel:BYTE_0 src1_sel:DWORD
	v_mov_b32_e32 v2, 0
	s_andn2_b32 s12, s12, exec_lo
	s_and_b32 s28, s28, exec_lo
	s_or_b32 s12, s12, s28
	s_or_b32 exec_lo, exec_lo, s27
	s_and_saveexec_b32 s27, s12
	s_cbranch_execnz .LBB6_5018
	s_branch .LBB6_5019
.LBB6_5605:                             ;   in Loop: Header=BB6_4953 Depth=2
	s_or_saveexec_b32 s27, s27
	v_mov_b32_e32 v3, 0x7f800001
	s_xor_b32 exec_lo, exec_lo, s27
	s_cbranch_execz .LBB6_5023
.LBB6_5606:                             ;   in Loop: Header=BB6_4953 Depth=2
	v_cmp_ne_u16_sdwa s28, v36, v30 src0_sel:BYTE_0 src1_sel:DWORD
	v_mov_b32_e32 v3, 0
	s_andn2_b32 s12, s12, exec_lo
	s_and_b32 s28, s28, exec_lo
	s_or_b32 s12, s12, s28
	s_or_b32 exec_lo, exec_lo, s27
	s_and_saveexec_b32 s27, s12
	s_cbranch_execnz .LBB6_5024
	s_branch .LBB6_5025
.LBB6_5607:                             ;   in Loop: Header=BB6_4953 Depth=2
	s_or_saveexec_b32 s27, s27
	v_mov_b32_e32 v2, 0x7f800001
	s_xor_b32 exec_lo, exec_lo, s27
	s_cbranch_execz .LBB6_5037
.LBB6_5608:                             ;   in Loop: Header=BB6_4953 Depth=2
	v_cmp_ne_u16_sdwa s28, v120, v30 src0_sel:BYTE_0 src1_sel:DWORD
	v_mov_b32_e32 v2, 0
	s_andn2_b32 s12, s12, exec_lo
	s_and_b32 s28, s28, exec_lo
	s_or_b32 s12, s12, s28
	s_or_b32 exec_lo, exec_lo, s27
	s_and_saveexec_b32 s27, s12
	s_cbranch_execnz .LBB6_5038
	s_branch .LBB6_5039
.LBB6_5609:                             ;   in Loop: Header=BB6_4953 Depth=2
	s_or_saveexec_b32 s27, s27
	v_mov_b32_e32 v3, 0x7f800001
	s_xor_b32 exec_lo, exec_lo, s27
	s_cbranch_execz .LBB6_5043
.LBB6_5610:                             ;   in Loop: Header=BB6_4953 Depth=2
	v_cmp_ne_u16_sdwa s28, v39, v30 src0_sel:BYTE_0 src1_sel:DWORD
	v_mov_b32_e32 v3, 0
	s_andn2_b32 s12, s12, exec_lo
	s_and_b32 s28, s28, exec_lo
	s_or_b32 s12, s12, s28
	s_or_b32 exec_lo, exec_lo, s27
	s_and_saveexec_b32 s27, s12
	s_cbranch_execnz .LBB6_5044
	s_branch .LBB6_5045
.LBB6_5611:                             ;   in Loop: Header=BB6_4953 Depth=2
	s_or_saveexec_b32 s27, s27
	v_mov_b32_e32 v2, 0x7f800001
	s_xor_b32 exec_lo, exec_lo, s27
	s_cbranch_execz .LBB6_5057
.LBB6_5612:                             ;   in Loop: Header=BB6_4953 Depth=2
	v_cmp_ne_u16_sdwa s28, v111, v30 src0_sel:BYTE_0 src1_sel:DWORD
	v_mov_b32_e32 v2, 0
	s_andn2_b32 s12, s12, exec_lo
	s_and_b32 s28, s28, exec_lo
	s_or_b32 s12, s12, s28
	s_or_b32 exec_lo, exec_lo, s27
	s_and_saveexec_b32 s27, s12
	s_cbranch_execnz .LBB6_5058
	s_branch .LBB6_5059
.LBB6_5613:                             ;   in Loop: Header=BB6_4953 Depth=2
	s_or_saveexec_b32 s27, s27
	v_mov_b32_e32 v3, 0x7f800001
	s_xor_b32 exec_lo, exec_lo, s27
	s_cbranch_execz .LBB6_5063
.LBB6_5614:                             ;   in Loop: Header=BB6_4953 Depth=2
	v_cmp_ne_u16_sdwa s28, v50, v30 src0_sel:BYTE_0 src1_sel:DWORD
	v_mov_b32_e32 v3, 0
	s_andn2_b32 s12, s12, exec_lo
	s_and_b32 s28, s28, exec_lo
	s_or_b32 s12, s12, s28
	s_or_b32 exec_lo, exec_lo, s27
	s_and_saveexec_b32 s27, s12
	s_cbranch_execnz .LBB6_5064
	s_branch .LBB6_5065
.LBB6_5615:                             ;   in Loop: Header=BB6_4953 Depth=2
	s_or_saveexec_b32 s27, s27
	v_mov_b32_e32 v2, 0x7f800001
	s_xor_b32 exec_lo, exec_lo, s27
	s_cbranch_execz .LBB6_5077
.LBB6_5616:                             ;   in Loop: Header=BB6_4953 Depth=2
	v_cmp_ne_u16_sdwa s28, v110, v30 src0_sel:BYTE_0 src1_sel:DWORD
	v_mov_b32_e32 v2, 0
	s_andn2_b32 s12, s12, exec_lo
	s_and_b32 s28, s28, exec_lo
	s_or_b32 s12, s12, s28
	s_or_b32 exec_lo, exec_lo, s27
	s_and_saveexec_b32 s27, s12
	s_cbranch_execnz .LBB6_5078
	s_branch .LBB6_5079
.LBB6_5617:                             ;   in Loop: Header=BB6_4953 Depth=2
	s_or_saveexec_b32 s27, s27
	v_mov_b32_e32 v3, 0x7f800001
	s_xor_b32 exec_lo, exec_lo, s27
	s_cbranch_execz .LBB6_5083
.LBB6_5618:                             ;   in Loop: Header=BB6_4953 Depth=2
	v_cmp_ne_u16_sdwa s28, v86, v30 src0_sel:BYTE_0 src1_sel:DWORD
	v_mov_b32_e32 v3, 0
	s_andn2_b32 s12, s12, exec_lo
	s_and_b32 s28, s28, exec_lo
	s_or_b32 s12, s12, s28
	s_or_b32 exec_lo, exec_lo, s27
	s_and_saveexec_b32 s27, s12
	s_cbranch_execnz .LBB6_5084
	s_branch .LBB6_5085
.LBB6_5619:                             ;   in Loop: Header=BB6_4953 Depth=2
	s_or_saveexec_b32 s27, s27
	v_mov_b32_e32 v2, 0x7f800001
	s_xor_b32 exec_lo, exec_lo, s27
	s_cbranch_execz .LBB6_5097
.LBB6_5620:                             ;   in Loop: Header=BB6_4953 Depth=2
	v_cmp_ne_u16_sdwa s28, v109, v30 src0_sel:BYTE_0 src1_sel:DWORD
	v_mov_b32_e32 v2, 0
	s_andn2_b32 s12, s12, exec_lo
	s_and_b32 s28, s28, exec_lo
	s_or_b32 s12, s12, s28
	s_or_b32 exec_lo, exec_lo, s27
	s_and_saveexec_b32 s27, s12
	s_cbranch_execnz .LBB6_5098
	s_branch .LBB6_5099
.LBB6_5621:                             ;   in Loop: Header=BB6_4953 Depth=2
	s_or_saveexec_b32 s27, s27
	v_mov_b32_e32 v3, 0x7f800001
	s_xor_b32 exec_lo, exec_lo, s27
	s_cbranch_execz .LBB6_5103
.LBB6_5622:                             ;   in Loop: Header=BB6_4953 Depth=2
	v_cmp_ne_u16_sdwa s28, v98, v30 src0_sel:BYTE_0 src1_sel:DWORD
	v_mov_b32_e32 v3, 0
	s_andn2_b32 s12, s12, exec_lo
	s_and_b32 s28, s28, exec_lo
	s_or_b32 s12, s12, s28
	s_or_b32 exec_lo, exec_lo, s27
	s_and_saveexec_b32 s27, s12
	s_cbranch_execnz .LBB6_5104
	s_branch .LBB6_5105
.LBB6_5623:                             ;   in Loop: Header=BB6_4953 Depth=2
	s_or_saveexec_b32 s27, s27
	v_mov_b32_e32 v2, 0x7f800001
	s_xor_b32 exec_lo, exec_lo, s27
	s_cbranch_execz .LBB6_5117
.LBB6_5624:                             ;   in Loop: Header=BB6_4953 Depth=2
	v_cmp_ne_u16_sdwa s28, v108, v30 src0_sel:BYTE_0 src1_sel:DWORD
	v_mov_b32_e32 v2, 0
	s_andn2_b32 s12, s12, exec_lo
	s_and_b32 s28, s28, exec_lo
	s_or_b32 s12, s12, s28
	s_or_b32 exec_lo, exec_lo, s27
	s_and_saveexec_b32 s27, s12
	s_cbranch_execnz .LBB6_5118
	s_branch .LBB6_5119
.LBB6_5625:                             ;   in Loop: Header=BB6_4953 Depth=2
	s_or_saveexec_b32 s27, s27
	v_mov_b32_e32 v3, 0x7f800001
	s_xor_b32 exec_lo, exec_lo, s27
	s_cbranch_execz .LBB6_5123
.LBB6_5626:                             ;   in Loop: Header=BB6_4953 Depth=2
	v_cmp_ne_u16_sdwa s28, v101, v30 src0_sel:BYTE_0 src1_sel:DWORD
	v_mov_b32_e32 v3, 0
	s_andn2_b32 s12, s12, exec_lo
	s_and_b32 s28, s28, exec_lo
	s_or_b32 s12, s12, s28
	s_or_b32 exec_lo, exec_lo, s27
	s_and_saveexec_b32 s27, s12
	s_cbranch_execnz .LBB6_5124
	s_branch .LBB6_5125
.LBB6_5627:                             ;   in Loop: Header=BB6_4953 Depth=2
	s_or_saveexec_b32 s27, s27
	v_mov_b32_e32 v2, 0x7f800001
	s_xor_b32 exec_lo, exec_lo, s27
	s_cbranch_execz .LBB6_5137
.LBB6_5628:                             ;   in Loop: Header=BB6_4953 Depth=2
	v_cmp_ne_u16_sdwa s28, v107, v30 src0_sel:BYTE_0 src1_sel:DWORD
	v_mov_b32_e32 v2, 0
	s_andn2_b32 s12, s12, exec_lo
	s_and_b32 s28, s28, exec_lo
	s_or_b32 s12, s12, s28
	s_or_b32 exec_lo, exec_lo, s27
	s_and_saveexec_b32 s27, s12
	s_cbranch_execnz .LBB6_5138
	s_branch .LBB6_5139
.LBB6_5629:                             ;   in Loop: Header=BB6_4953 Depth=2
	s_or_saveexec_b32 s27, s27
	v_mov_b32_e32 v3, 0x7f800001
	s_xor_b32 exec_lo, exec_lo, s27
	s_cbranch_execz .LBB6_5143
.LBB6_5630:                             ;   in Loop: Header=BB6_4953 Depth=2
	v_cmp_ne_u16_sdwa s28, v60, v30 src0_sel:BYTE_0 src1_sel:DWORD
	v_mov_b32_e32 v3, 0
	s_andn2_b32 s12, s12, exec_lo
	s_and_b32 s28, s28, exec_lo
	s_or_b32 s12, s12, s28
	s_or_b32 exec_lo, exec_lo, s27
	s_and_saveexec_b32 s27, s12
	s_cbranch_execnz .LBB6_5144
	s_branch .LBB6_5145
.LBB6_5631:                             ;   in Loop: Header=BB6_4953 Depth=2
	s_or_saveexec_b32 s27, s27
	v_mov_b32_e32 v2, 0x7f800001
	s_xor_b32 exec_lo, exec_lo, s27
	s_cbranch_execz .LBB6_5157
.LBB6_5632:                             ;   in Loop: Header=BB6_4953 Depth=2
	v_cmp_ne_u16_sdwa s28, v106, v30 src0_sel:BYTE_0 src1_sel:DWORD
	v_mov_b32_e32 v2, 0
	s_andn2_b32 s12, s12, exec_lo
	s_and_b32 s28, s28, exec_lo
	s_or_b32 s12, s12, s28
	s_or_b32 exec_lo, exec_lo, s27
	s_and_saveexec_b32 s27, s12
	s_cbranch_execnz .LBB6_5158
	s_branch .LBB6_5159
.LBB6_5633:                             ;   in Loop: Header=BB6_4953 Depth=2
	s_or_saveexec_b32 s27, s27
	v_mov_b32_e32 v3, 0x7f800001
	s_xor_b32 exec_lo, exec_lo, s27
	s_cbranch_execz .LBB6_5163
.LBB6_5634:                             ;   in Loop: Header=BB6_4953 Depth=2
	v_cmp_ne_u16_sdwa s28, v63, v30 src0_sel:BYTE_0 src1_sel:DWORD
	v_mov_b32_e32 v3, 0
	s_andn2_b32 s12, s12, exec_lo
	s_and_b32 s28, s28, exec_lo
	s_or_b32 s12, s12, s28
	s_or_b32 exec_lo, exec_lo, s27
	s_and_saveexec_b32 s27, s12
	s_cbranch_execnz .LBB6_5164
	s_branch .LBB6_5165
.LBB6_5635:                             ;   in Loop: Header=BB6_4953 Depth=2
	s_or_saveexec_b32 s27, s27
	v_mov_b32_e32 v2, 0x7f800001
	s_xor_b32 exec_lo, exec_lo, s27
	s_cbranch_execz .LBB6_5177
.LBB6_5636:                             ;   in Loop: Header=BB6_4953 Depth=2
	v_cmp_ne_u16_sdwa s28, v105, v30 src0_sel:BYTE_0 src1_sel:DWORD
	v_mov_b32_e32 v2, 0
	s_andn2_b32 s12, s12, exec_lo
	s_and_b32 s28, s28, exec_lo
	s_or_b32 s12, s12, s28
	s_or_b32 exec_lo, exec_lo, s27
	s_and_saveexec_b32 s27, s12
	s_cbranch_execnz .LBB6_5178
	s_branch .LBB6_5179
.LBB6_5637:                             ;   in Loop: Header=BB6_4953 Depth=2
	s_or_saveexec_b32 s27, s27
	v_mov_b32_e32 v3, 0x7f800001
	s_xor_b32 exec_lo, exec_lo, s27
	s_cbranch_execz .LBB6_5183
.LBB6_5638:                             ;   in Loop: Header=BB6_4953 Depth=2
	v_cmp_ne_u16_sdwa s28, v73, v30 src0_sel:BYTE_0 src1_sel:DWORD
	v_mov_b32_e32 v3, 0
	s_andn2_b32 s12, s12, exec_lo
	s_and_b32 s28, s28, exec_lo
	s_or_b32 s12, s12, s28
	s_or_b32 exec_lo, exec_lo, s27
	s_and_saveexec_b32 s27, s12
	s_cbranch_execnz .LBB6_5184
	s_branch .LBB6_5185
.LBB6_5639:                             ;   in Loop: Header=BB6_4953 Depth=2
	s_or_saveexec_b32 s27, s27
	v_mov_b32_e32 v2, 0x7f800001
	s_xor_b32 exec_lo, exec_lo, s27
	s_cbranch_execz .LBB6_5197
.LBB6_5640:                             ;   in Loop: Header=BB6_4953 Depth=2
	v_cmp_ne_u16_sdwa s28, v104, v30 src0_sel:BYTE_0 src1_sel:DWORD
	v_mov_b32_e32 v2, 0
	s_andn2_b32 s12, s12, exec_lo
	s_and_b32 s28, s28, exec_lo
	s_or_b32 s12, s12, s28
	s_or_b32 exec_lo, exec_lo, s27
	s_and_saveexec_b32 s27, s12
	s_cbranch_execnz .LBB6_5198
	s_branch .LBB6_5199
.LBB6_5641:                             ;   in Loop: Header=BB6_4953 Depth=2
	s_or_saveexec_b32 s27, s27
	v_mov_b32_e32 v3, 0x7f800001
	s_xor_b32 exec_lo, exec_lo, s27
	s_cbranch_execz .LBB6_5203
.LBB6_5642:                             ;   in Loop: Header=BB6_4953 Depth=2
	v_cmp_ne_u16_sdwa s28, v76, v30 src0_sel:BYTE_0 src1_sel:DWORD
	v_mov_b32_e32 v3, 0
	s_andn2_b32 s12, s12, exec_lo
	s_and_b32 s28, s28, exec_lo
	s_or_b32 s12, s12, s28
	s_or_b32 exec_lo, exec_lo, s27
	s_and_saveexec_b32 s27, s12
	s_cbranch_execnz .LBB6_5204
	s_branch .LBB6_5205
.LBB6_5643:                             ;   in Loop: Header=BB6_4953 Depth=2
	s_or_saveexec_b32 s27, s27
	v_mov_b32_e32 v2, 0x7f800001
	s_xor_b32 exec_lo, exec_lo, s27
	s_cbranch_execz .LBB6_5217
.LBB6_5644:                             ;   in Loop: Header=BB6_4953 Depth=2
	v_cmp_ne_u16_sdwa s28, v95, v30 src0_sel:BYTE_0 src1_sel:DWORD
	v_mov_b32_e32 v2, 0
	s_andn2_b32 s12, s12, exec_lo
	s_and_b32 s28, s28, exec_lo
	s_or_b32 s12, s12, s28
	s_or_b32 exec_lo, exec_lo, s27
	s_and_saveexec_b32 s27, s12
	s_cbranch_execnz .LBB6_5218
	s_branch .LBB6_5219
.LBB6_5645:                             ;   in Loop: Header=BB6_4953 Depth=2
	s_or_saveexec_b32 s27, s27
	v_mov_b32_e32 v3, 0x7f800001
	s_xor_b32 exec_lo, exec_lo, s27
	s_cbranch_execz .LBB6_5223
.LBB6_5646:                             ;   in Loop: Header=BB6_4953 Depth=2
	v_cmp_ne_u16_sdwa s28, v79, v30 src0_sel:BYTE_0 src1_sel:DWORD
	v_mov_b32_e32 v3, 0
	s_andn2_b32 s12, s12, exec_lo
	s_and_b32 s28, s28, exec_lo
	s_or_b32 s12, s12, s28
	s_or_b32 exec_lo, exec_lo, s27
	s_and_saveexec_b32 s27, s12
	s_cbranch_execnz .LBB6_5224
	s_branch .LBB6_5225
.LBB6_5647:                             ;   in Loop: Header=BB6_4953 Depth=2
	s_or_saveexec_b32 s27, s27
	v_mov_b32_e32 v2, 0x7f800001
	s_xor_b32 exec_lo, exec_lo, s27
	s_cbranch_execz .LBB6_5237
.LBB6_5648:                             ;   in Loop: Header=BB6_4953 Depth=2
	v_cmp_ne_u16_sdwa s28, v94, v30 src0_sel:BYTE_0 src1_sel:DWORD
	v_mov_b32_e32 v2, 0
	s_andn2_b32 s12, s12, exec_lo
	s_and_b32 s28, s28, exec_lo
	s_or_b32 s12, s12, s28
	s_or_b32 exec_lo, exec_lo, s27
	s_and_saveexec_b32 s27, s12
	s_cbranch_execnz .LBB6_5238
	s_branch .LBB6_5239
.LBB6_5649:                             ;   in Loop: Header=BB6_4953 Depth=2
	s_or_saveexec_b32 s27, s27
	v_mov_b32_e32 v3, 0x7f800001
	s_xor_b32 exec_lo, exec_lo, s27
	s_cbranch_execz .LBB6_5243
.LBB6_5650:                             ;   in Loop: Header=BB6_4953 Depth=2
	v_cmp_ne_u16_sdwa s28, v90, v30 src0_sel:BYTE_0 src1_sel:DWORD
	v_mov_b32_e32 v3, 0
	s_andn2_b32 s12, s12, exec_lo
	s_and_b32 s28, s28, exec_lo
	s_or_b32 s12, s12, s28
	s_or_b32 exec_lo, exec_lo, s27
	s_and_saveexec_b32 s27, s12
	s_cbranch_execnz .LBB6_5244
	s_branch .LBB6_5245
.LBB6_5651:                             ;   in Loop: Header=BB6_4953 Depth=2
	s_or_saveexec_b32 s27, s27
	v_mov_b32_e32 v2, 0x7f800001
	s_xor_b32 exec_lo, exec_lo, s27
	s_cbranch_execz .LBB6_5257
.LBB6_5652:                             ;   in Loop: Header=BB6_4953 Depth=2
	v_cmp_ne_u16_sdwa s28, v93, v30 src0_sel:BYTE_0 src1_sel:DWORD
	v_mov_b32_e32 v2, 0
	s_andn2_b32 s12, s12, exec_lo
	s_and_b32 s28, s28, exec_lo
	s_or_b32 s12, s12, s28
	s_or_b32 exec_lo, exec_lo, s27
	s_and_saveexec_b32 s27, s12
	s_cbranch_execnz .LBB6_5258
	s_branch .LBB6_5259
.LBB6_5653:                             ;   in Loop: Header=BB6_4953 Depth=2
	s_or_saveexec_b32 s27, s27
	v_mov_b32_e32 v3, 0x7f800001
	s_xor_b32 exec_lo, exec_lo, s27
	s_cbranch_execz .LBB6_5263
.LBB6_5654:                             ;   in Loop: Header=BB6_4953 Depth=2
	v_cmp_ne_u16_sdwa s28, v92, v30 src0_sel:BYTE_0 src1_sel:DWORD
	v_mov_b32_e32 v3, 0
	s_andn2_b32 s12, s12, exec_lo
	s_and_b32 s28, s28, exec_lo
	s_or_b32 s12, s12, s28
	s_or_b32 exec_lo, exec_lo, s27
	s_and_saveexec_b32 s27, s12
	s_cbranch_execnz .LBB6_5264
	s_branch .LBB6_5265
.LBB6_5655:                             ;   in Loop: Header=BB6_4953 Depth=2
	s_or_saveexec_b32 s27, s27
	v_mov_b32_e32 v2, 0x7f800001
	s_xor_b32 exec_lo, exec_lo, s27
	s_cbranch_execz .LBB6_5277
.LBB6_5656:                             ;   in Loop: Header=BB6_4953 Depth=2
	v_cmp_ne_u16_sdwa s28, v91, v30 src0_sel:BYTE_0 src1_sel:DWORD
	v_mov_b32_e32 v2, 0
	s_andn2_b32 s12, s12, exec_lo
	s_and_b32 s28, s28, exec_lo
	s_or_b32 s12, s12, s28
	s_or_b32 exec_lo, exec_lo, s27
	s_and_saveexec_b32 s27, s12
	s_cbranch_execnz .LBB6_5278
	s_branch .LBB6_5279
.LBB6_5657:                             ;   in Loop: Header=BB6_4953 Depth=2
	s_or_saveexec_b32 s27, s27
	v_mov_b32_e32 v3, 0x7f800001
	s_xor_b32 exec_lo, exec_lo, s27
	s_cbranch_execz .LBB6_5283
.LBB6_5658:                             ;   in Loop: Header=BB6_4953 Depth=2
	v_cmp_ne_u16_sdwa s28, v89, v30 src0_sel:BYTE_0 src1_sel:DWORD
	v_mov_b32_e32 v3, 0
	s_andn2_b32 s12, s12, exec_lo
	s_and_b32 s28, s28, exec_lo
	s_or_b32 s12, s12, s28
	s_or_b32 exec_lo, exec_lo, s27
	s_and_saveexec_b32 s27, s12
	s_cbranch_execnz .LBB6_5284
	s_branch .LBB6_5285
.LBB6_5659:                             ;   in Loop: Header=BB6_4953 Depth=2
	s_or_saveexec_b32 s27, s27
	v_mov_b32_e32 v2, 0x7f800001
	s_xor_b32 exec_lo, exec_lo, s27
	s_cbranch_execz .LBB6_5297
.LBB6_5660:                             ;   in Loop: Header=BB6_4953 Depth=2
	v_cmp_ne_u16_sdwa s28, v88, v30 src0_sel:BYTE_0 src1_sel:DWORD
	v_mov_b32_e32 v2, 0
	s_andn2_b32 s12, s12, exec_lo
	s_and_b32 s28, s28, exec_lo
	s_or_b32 s12, s12, s28
	s_or_b32 exec_lo, exec_lo, s27
	s_and_saveexec_b32 s27, s12
	s_cbranch_execnz .LBB6_5298
	s_branch .LBB6_5299
.LBB6_5661:                             ;   in Loop: Header=BB6_4953 Depth=2
	s_or_saveexec_b32 s27, s27
	v_mov_b32_e32 v3, 0x7f800001
	s_xor_b32 exec_lo, exec_lo, s27
	s_cbranch_execz .LBB6_5303
.LBB6_5662:                             ;   in Loop: Header=BB6_4953 Depth=2
	v_cmp_ne_u16_sdwa s28, v78, v30 src0_sel:BYTE_0 src1_sel:DWORD
	v_mov_b32_e32 v3, 0
	s_andn2_b32 s12, s12, exec_lo
	s_and_b32 s28, s28, exec_lo
	s_or_b32 s12, s12, s28
	s_or_b32 exec_lo, exec_lo, s27
	s_and_saveexec_b32 s27, s12
	s_cbranch_execnz .LBB6_5304
	s_branch .LBB6_5305
.LBB6_5663:                             ;   in Loop: Header=BB6_4953 Depth=2
	s_or_saveexec_b32 s27, s27
	v_mov_b32_e32 v2, 0x7f800001
	s_xor_b32 exec_lo, exec_lo, s27
	s_cbranch_execz .LBB6_5317
.LBB6_5664:                             ;   in Loop: Header=BB6_4953 Depth=2
	v_cmp_ne_u16_sdwa s28, v77, v30 src0_sel:BYTE_0 src1_sel:DWORD
	v_mov_b32_e32 v2, 0
	s_andn2_b32 s12, s12, exec_lo
	s_and_b32 s28, s28, exec_lo
	s_or_b32 s12, s12, s28
	s_or_b32 exec_lo, exec_lo, s27
	s_and_saveexec_b32 s27, s12
	s_cbranch_execnz .LBB6_5318
	s_branch .LBB6_5319
.LBB6_5665:                             ;   in Loop: Header=BB6_4953 Depth=2
	s_or_saveexec_b32 s27, s27
	v_mov_b32_e32 v3, 0x7f800001
	s_xor_b32 exec_lo, exec_lo, s27
	s_cbranch_execz .LBB6_5323
.LBB6_5666:                             ;   in Loop: Header=BB6_4953 Depth=2
	v_cmp_ne_u16_sdwa s28, v75, v30 src0_sel:BYTE_0 src1_sel:DWORD
	v_mov_b32_e32 v3, 0
	s_andn2_b32 s12, s12, exec_lo
	s_and_b32 s28, s28, exec_lo
	s_or_b32 s12, s12, s28
	s_or_b32 exec_lo, exec_lo, s27
	s_and_saveexec_b32 s27, s12
	s_cbranch_execnz .LBB6_5324
	s_branch .LBB6_5325
.LBB6_5667:                             ;   in Loop: Header=BB6_4953 Depth=2
	s_or_saveexec_b32 s27, s27
	v_mov_b32_e32 v2, 0x7f800001
	s_xor_b32 exec_lo, exec_lo, s27
	s_cbranch_execz .LBB6_5337
.LBB6_5668:                             ;   in Loop: Header=BB6_4953 Depth=2
	v_cmp_ne_u16_sdwa s28, v74, v30 src0_sel:BYTE_0 src1_sel:DWORD
	v_mov_b32_e32 v2, 0
	s_andn2_b32 s12, s12, exec_lo
	s_and_b32 s28, s28, exec_lo
	s_or_b32 s12, s12, s28
	s_or_b32 exec_lo, exec_lo, s27
	s_and_saveexec_b32 s27, s12
	s_cbranch_execnz .LBB6_5338
	s_branch .LBB6_5339
.LBB6_5669:                             ;   in Loop: Header=BB6_4953 Depth=2
	s_or_saveexec_b32 s27, s27
	v_mov_b32_e32 v3, 0x7f800001
	s_xor_b32 exec_lo, exec_lo, s27
	s_cbranch_execz .LBB6_5343
.LBB6_5670:                             ;   in Loop: Header=BB6_4953 Depth=2
	v_cmp_ne_u16_sdwa s28, v72, v30 src0_sel:BYTE_0 src1_sel:DWORD
	v_mov_b32_e32 v3, 0
	s_andn2_b32 s12, s12, exec_lo
	s_and_b32 s28, s28, exec_lo
	s_or_b32 s12, s12, s28
	s_or_b32 exec_lo, exec_lo, s27
	s_and_saveexec_b32 s27, s12
	s_cbranch_execnz .LBB6_5344
	s_branch .LBB6_5345
.LBB6_5671:                             ;   in Loop: Header=BB6_4953 Depth=2
	s_or_saveexec_b32 s27, s27
	v_mov_b32_e32 v2, 0x7f800001
	s_xor_b32 exec_lo, exec_lo, s27
	s_cbranch_execz .LBB6_5357
.LBB6_5672:                             ;   in Loop: Header=BB6_4953 Depth=2
	v_cmp_ne_u16_sdwa s28, v62, v30 src0_sel:BYTE_0 src1_sel:DWORD
	v_mov_b32_e32 v2, 0
	s_andn2_b32 s12, s12, exec_lo
	s_and_b32 s28, s28, exec_lo
	s_or_b32 s12, s12, s28
	s_or_b32 exec_lo, exec_lo, s27
	s_and_saveexec_b32 s27, s12
	s_cbranch_execnz .LBB6_5358
	s_branch .LBB6_5359
.LBB6_5673:                             ;   in Loop: Header=BB6_4953 Depth=2
	s_or_saveexec_b32 s27, s27
	v_mov_b32_e32 v3, 0x7f800001
	s_xor_b32 exec_lo, exec_lo, s27
	s_cbranch_execz .LBB6_5363
.LBB6_5674:                             ;   in Loop: Header=BB6_4953 Depth=2
	v_cmp_ne_u16_sdwa s28, v61, v30 src0_sel:BYTE_0 src1_sel:DWORD
	v_mov_b32_e32 v3, 0
	s_andn2_b32 s12, s12, exec_lo
	s_and_b32 s28, s28, exec_lo
	s_or_b32 s12, s12, s28
	s_or_b32 exec_lo, exec_lo, s27
	s_and_saveexec_b32 s27, s12
	s_cbranch_execnz .LBB6_5364
	s_branch .LBB6_5365
.LBB6_5675:                             ;   in Loop: Header=BB6_4953 Depth=2
	s_or_saveexec_b32 s27, s27
	v_mov_b32_e32 v2, 0x7f800001
	s_xor_b32 exec_lo, exec_lo, s27
	s_cbranch_execz .LBB6_5377
.LBB6_5676:                             ;   in Loop: Header=BB6_4953 Depth=2
	v_cmp_ne_u16_sdwa s28, v103, v30 src0_sel:BYTE_0 src1_sel:DWORD
	v_mov_b32_e32 v2, 0
	s_andn2_b32 s12, s12, exec_lo
	s_and_b32 s28, s28, exec_lo
	s_or_b32 s12, s12, s28
	s_or_b32 exec_lo, exec_lo, s27
	s_and_saveexec_b32 s27, s12
	s_cbranch_execnz .LBB6_5378
	s_branch .LBB6_5379
.LBB6_5677:                             ;   in Loop: Header=BB6_4953 Depth=2
	s_or_saveexec_b32 s27, s27
	v_mov_b32_e32 v3, 0x7f800001
	s_xor_b32 exec_lo, exec_lo, s27
	s_cbranch_execz .LBB6_5383
.LBB6_5678:                             ;   in Loop: Header=BB6_4953 Depth=2
	v_cmp_ne_u16_sdwa s28, v102, v30 src0_sel:BYTE_0 src1_sel:DWORD
	v_mov_b32_e32 v3, 0
	s_andn2_b32 s12, s12, exec_lo
	s_and_b32 s28, s28, exec_lo
	s_or_b32 s12, s12, s28
	s_or_b32 exec_lo, exec_lo, s27
	s_and_saveexec_b32 s27, s12
	s_cbranch_execnz .LBB6_5384
	s_branch .LBB6_5385
.LBB6_5679:                             ;   in Loop: Header=BB6_4953 Depth=2
	s_or_saveexec_b32 s27, s27
	v_mov_b32_e32 v2, 0x7f800001
	s_xor_b32 exec_lo, exec_lo, s27
	s_cbranch_execz .LBB6_5397
.LBB6_5680:                             ;   in Loop: Header=BB6_4953 Depth=2
	v_cmp_ne_u16_sdwa s28, v100, v30 src0_sel:BYTE_0 src1_sel:DWORD
	v_mov_b32_e32 v2, 0
	s_andn2_b32 s12, s12, exec_lo
	s_and_b32 s28, s28, exec_lo
	s_or_b32 s12, s12, s28
	s_or_b32 exec_lo, exec_lo, s27
	s_and_saveexec_b32 s27, s12
	s_cbranch_execnz .LBB6_5398
	s_branch .LBB6_5399
.LBB6_5681:                             ;   in Loop: Header=BB6_4953 Depth=2
	s_or_saveexec_b32 s27, s27
	v_mov_b32_e32 v3, 0x7f800001
	s_xor_b32 exec_lo, exec_lo, s27
	s_cbranch_execz .LBB6_5403
.LBB6_5682:                             ;   in Loop: Header=BB6_4953 Depth=2
	v_cmp_ne_u16_sdwa s28, v99, v30 src0_sel:BYTE_0 src1_sel:DWORD
	v_mov_b32_e32 v3, 0
	s_andn2_b32 s12, s12, exec_lo
	s_and_b32 s28, s28, exec_lo
	s_or_b32 s12, s12, s28
	s_or_b32 exec_lo, exec_lo, s27
	s_and_saveexec_b32 s27, s12
	s_cbranch_execnz .LBB6_5404
	s_branch .LBB6_5405
.LBB6_5683:                             ;   in Loop: Header=BB6_4953 Depth=2
	s_or_saveexec_b32 s27, s27
	v_mov_b32_e32 v2, 0x7f800001
	s_xor_b32 exec_lo, exec_lo, s27
	s_cbranch_execz .LBB6_5417
.LBB6_5684:                             ;   in Loop: Header=BB6_4953 Depth=2
	v_cmp_ne_u16_sdwa s28, v97, v30 src0_sel:BYTE_0 src1_sel:DWORD
	v_mov_b32_e32 v2, 0
	s_andn2_b32 s12, s12, exec_lo
	s_and_b32 s28, s28, exec_lo
	s_or_b32 s12, s12, s28
	s_or_b32 exec_lo, exec_lo, s27
	s_and_saveexec_b32 s27, s12
	s_cbranch_execnz .LBB6_5418
	s_branch .LBB6_5419
.LBB6_5685:                             ;   in Loop: Header=BB6_4953 Depth=2
	s_or_saveexec_b32 s27, s27
	v_mov_b32_e32 v3, 0x7f800001
	s_xor_b32 exec_lo, exec_lo, s27
	s_cbranch_execz .LBB6_5423
.LBB6_5686:                             ;   in Loop: Header=BB6_4953 Depth=2
	v_cmp_ne_u16_sdwa s28, v96, v30 src0_sel:BYTE_0 src1_sel:DWORD
	v_mov_b32_e32 v3, 0
	s_andn2_b32 s12, s12, exec_lo
	s_and_b32 s28, s28, exec_lo
	s_or_b32 s12, s12, s28
	s_or_b32 exec_lo, exec_lo, s27
	s_and_saveexec_b32 s27, s12
	s_cbranch_execnz .LBB6_5424
	s_branch .LBB6_5425
.LBB6_5687:                             ;   in Loop: Header=BB6_4953 Depth=2
	s_or_saveexec_b32 s27, s27
	v_mov_b32_e32 v2, 0x7f800001
	s_xor_b32 exec_lo, exec_lo, s27
	s_cbranch_execz .LBB6_5437
.LBB6_5688:                             ;   in Loop: Header=BB6_4953 Depth=2
	v_cmp_ne_u16_sdwa s28, v85, v30 src0_sel:BYTE_0 src1_sel:DWORD
	v_mov_b32_e32 v2, 0
	s_andn2_b32 s12, s12, exec_lo
	s_and_b32 s28, s28, exec_lo
	s_or_b32 s12, s12, s28
	s_or_b32 exec_lo, exec_lo, s27
	s_and_saveexec_b32 s27, s12
	s_cbranch_execnz .LBB6_5438
	s_branch .LBB6_5439
.LBB6_5689:                             ;   in Loop: Header=BB6_4953 Depth=2
	s_or_saveexec_b32 s27, s27
	v_mov_b32_e32 v3, 0x7f800001
	s_xor_b32 exec_lo, exec_lo, s27
	s_cbranch_execz .LBB6_5443
.LBB6_5690:                             ;   in Loop: Header=BB6_4953 Depth=2
	v_cmp_ne_u16_sdwa s28, v51, v30 src0_sel:BYTE_0 src1_sel:DWORD
	v_mov_b32_e32 v3, 0
	s_andn2_b32 s12, s12, exec_lo
	s_and_b32 s28, s28, exec_lo
	s_or_b32 s12, s12, s28
	s_or_b32 exec_lo, exec_lo, s27
	s_and_saveexec_b32 s27, s12
	s_cbranch_execnz .LBB6_5444
	s_branch .LBB6_5445
.LBB6_5691:                             ;   in Loop: Header=BB6_4953 Depth=2
	s_or_saveexec_b32 s27, s27
	v_mov_b32_e32 v2, 0x7f800001
	s_xor_b32 exec_lo, exec_lo, s27
	s_cbranch_execz .LBB6_5457
.LBB6_5692:                             ;   in Loop: Header=BB6_4953 Depth=2
	v_cmp_ne_u16_sdwa s28, v49, v30 src0_sel:BYTE_0 src1_sel:DWORD
	v_mov_b32_e32 v2, 0
	s_andn2_b32 s12, s12, exec_lo
	s_and_b32 s28, s28, exec_lo
	s_or_b32 s12, s12, s28
	s_or_b32 exec_lo, exec_lo, s27
	s_and_saveexec_b32 s27, s12
	s_cbranch_execnz .LBB6_5458
	s_branch .LBB6_5459
.LBB6_5693:                             ;   in Loop: Header=BB6_4953 Depth=2
	s_or_saveexec_b32 s27, s27
	v_mov_b32_e32 v3, 0x7f800001
	s_xor_b32 exec_lo, exec_lo, s27
	s_cbranch_execz .LBB6_5463
.LBB6_5694:                             ;   in Loop: Header=BB6_4953 Depth=2
	v_cmp_ne_u16_sdwa s28, v48, v30 src0_sel:BYTE_0 src1_sel:DWORD
	v_mov_b32_e32 v3, 0
	s_andn2_b32 s12, s12, exec_lo
	s_and_b32 s28, s28, exec_lo
	s_or_b32 s12, s12, s28
	s_or_b32 exec_lo, exec_lo, s27
	s_and_saveexec_b32 s27, s12
	s_cbranch_execnz .LBB6_5464
	s_branch .LBB6_5465
.LBB6_5695:                             ;   in Loop: Header=BB6_4953 Depth=2
	s_or_saveexec_b32 s27, s27
	v_mov_b32_e32 v2, 0x7f800001
	s_xor_b32 exec_lo, exec_lo, s27
	s_cbranch_execz .LBB6_5477
.LBB6_5696:                             ;   in Loop: Header=BB6_4953 Depth=2
	v_cmp_ne_u16_sdwa s28, v38, v30 src0_sel:BYTE_0 src1_sel:DWORD
	v_mov_b32_e32 v2, 0
	s_andn2_b32 s12, s12, exec_lo
	s_and_b32 s28, s28, exec_lo
	s_or_b32 s12, s12, s28
	s_or_b32 exec_lo, exec_lo, s27
	s_and_saveexec_b32 s27, s12
	s_cbranch_execnz .LBB6_5478
	s_branch .LBB6_5479
.LBB6_5697:                             ;   in Loop: Header=BB6_4953 Depth=2
	s_or_saveexec_b32 s27, s27
	v_mov_b32_e32 v3, 0x7f800001
	s_xor_b32 exec_lo, exec_lo, s27
	s_cbranch_execz .LBB6_5483
.LBB6_5698:                             ;   in Loop: Header=BB6_4953 Depth=2
	v_cmp_ne_u16_sdwa s28, v37, v30 src0_sel:BYTE_0 src1_sel:DWORD
	v_mov_b32_e32 v3, 0
	s_andn2_b32 s12, s12, exec_lo
	s_and_b32 s28, s28, exec_lo
	s_or_b32 s12, s12, s28
	s_or_b32 exec_lo, exec_lo, s27
	s_and_saveexec_b32 s27, s12
	s_cbranch_execnz .LBB6_5484
	s_branch .LBB6_5485
.LBB6_5699:                             ;   in Loop: Header=BB6_4953 Depth=2
	s_or_saveexec_b32 s27, s27
	v_mov_b32_e32 v2, 0x7f800001
	s_xor_b32 exec_lo, exec_lo, s27
	s_cbranch_execz .LBB6_5497
.LBB6_5700:                             ;   in Loop: Header=BB6_4953 Depth=2
	v_cmp_ne_u16_sdwa s28, v35, v30 src0_sel:BYTE_0 src1_sel:DWORD
	v_mov_b32_e32 v2, 0
	s_andn2_b32 s12, s12, exec_lo
	s_and_b32 s28, s28, exec_lo
	s_or_b32 s12, s12, s28
	s_or_b32 exec_lo, exec_lo, s27
	s_and_saveexec_b32 s27, s12
	s_cbranch_execnz .LBB6_5498
	s_branch .LBB6_5499
.LBB6_5701:                             ;   in Loop: Header=BB6_4953 Depth=2
	s_or_saveexec_b32 s27, s27
	v_mov_b32_e32 v3, 0x7f800001
	s_xor_b32 exec_lo, exec_lo, s27
	s_cbranch_execz .LBB6_5503
.LBB6_5702:                             ;   in Loop: Header=BB6_4953 Depth=2
	v_cmp_ne_u16_sdwa s28, v34, v30 src0_sel:BYTE_0 src1_sel:DWORD
	v_mov_b32_e32 v3, 0
	s_andn2_b32 s12, s12, exec_lo
	s_and_b32 s28, s28, exec_lo
	s_or_b32 s12, s12, s28
	s_or_b32 exec_lo, exec_lo, s27
	s_and_saveexec_b32 s27, s12
	s_cbranch_execnz .LBB6_5504
	s_branch .LBB6_5505
.LBB6_5703:                             ;   in Loop: Header=BB6_4953 Depth=2
	s_or_saveexec_b32 s27, s27
	v_mov_b32_e32 v2, 0x7f800001
	s_xor_b32 exec_lo, exec_lo, s27
	s_cbranch_execz .LBB6_5517
.LBB6_5704:                             ;   in Loop: Header=BB6_4953 Depth=2
	v_cmp_ne_u16_sdwa s28, v33, v30 src0_sel:BYTE_0 src1_sel:DWORD
	v_mov_b32_e32 v2, 0
	s_andn2_b32 s12, s12, exec_lo
	s_and_b32 s28, s28, exec_lo
	s_or_b32 s12, s12, s28
	s_or_b32 exec_lo, exec_lo, s27
	s_and_saveexec_b32 s27, s12
	s_cbranch_execnz .LBB6_5518
	s_branch .LBB6_5519
.LBB6_5705:                             ;   in Loop: Header=BB6_4953 Depth=2
	s_or_saveexec_b32 s27, s27
	v_mov_b32_e32 v3, 0x7f800001
	s_xor_b32 exec_lo, exec_lo, s27
	s_cbranch_execz .LBB6_5523
.LBB6_5706:                             ;   in Loop: Header=BB6_4953 Depth=2
	v_cmp_ne_u16_sdwa s28, v29, v30 src0_sel:BYTE_0 src1_sel:DWORD
	v_mov_b32_e32 v3, 0
	s_andn2_b32 s12, s12, exec_lo
	s_and_b32 s28, s28, exec_lo
	s_or_b32 s12, s12, s28
	s_or_b32 exec_lo, exec_lo, s27
	s_and_saveexec_b32 s27, s12
	s_cbranch_execnz .LBB6_5524
	s_branch .LBB6_5525
.LBB6_5707:                             ;   in Loop: Header=BB6_4953 Depth=2
	s_or_saveexec_b32 s27, s27
	v_mov_b32_e32 v2, 0x7f800001
	s_xor_b32 exec_lo, exec_lo, s27
	s_cbranch_execz .LBB6_5537
.LBB6_5708:                             ;   in Loop: Header=BB6_4953 Depth=2
	v_cmp_ne_u16_sdwa s28, v28, v30 src0_sel:BYTE_0 src1_sel:DWORD
	v_mov_b32_e32 v2, 0
	s_andn2_b32 s12, s12, exec_lo
	s_and_b32 s28, s28, exec_lo
	s_or_b32 s12, s12, s28
	s_or_b32 exec_lo, exec_lo, s27
	s_and_saveexec_b32 s27, s12
	s_cbranch_execnz .LBB6_5538
	s_branch .LBB6_5539
.LBB6_5709:                             ;   in Loop: Header=BB6_4953 Depth=2
	s_or_saveexec_b32 s27, s27
	v_mov_b32_e32 v3, 0x7f800001
	s_xor_b32 exec_lo, exec_lo, s27
	s_cbranch_execz .LBB6_5543
.LBB6_5710:                             ;   in Loop: Header=BB6_4953 Depth=2
	v_cmp_ne_u16_sdwa s28, v27, v30 src0_sel:BYTE_0 src1_sel:DWORD
	v_mov_b32_e32 v3, 0
	s_andn2_b32 s12, s12, exec_lo
	s_and_b32 s28, s28, exec_lo
	s_or_b32 s12, s12, s28
	s_or_b32 exec_lo, exec_lo, s27
	s_and_saveexec_b32 s27, s12
	s_cbranch_execnz .LBB6_5544
	s_branch .LBB6_5545
.LBB6_5711:                             ;   in Loop: Header=BB6_4953 Depth=2
	s_or_saveexec_b32 s27, s27
	v_mov_b32_e32 v2, 0x7f800001
	s_xor_b32 exec_lo, exec_lo, s27
	s_cbranch_execz .LBB6_5557
.LBB6_5712:                             ;   in Loop: Header=BB6_4953 Depth=2
	v_cmp_ne_u16_sdwa s28, v25, v30 src0_sel:BYTE_0 src1_sel:DWORD
	v_mov_b32_e32 v2, 0
	s_andn2_b32 s12, s12, exec_lo
	s_and_b32 s28, s28, exec_lo
	s_or_b32 s12, s12, s28
	s_or_b32 exec_lo, exec_lo, s27
	s_and_saveexec_b32 s27, s12
	s_cbranch_execnz .LBB6_5558
	s_branch .LBB6_5559
.LBB6_5713:                             ;   in Loop: Header=BB6_4953 Depth=2
	s_or_saveexec_b32 s27, s27
	v_mov_b32_e32 v3, 0x7f800001
	s_xor_b32 exec_lo, exec_lo, s27
	s_cbranch_execz .LBB6_5563
.LBB6_5714:                             ;   in Loop: Header=BB6_4953 Depth=2
	v_cmp_ne_u16_sdwa s28, v24, v30 src0_sel:BYTE_0 src1_sel:DWORD
	v_mov_b32_e32 v3, 0
	s_andn2_b32 s12, s12, exec_lo
	s_and_b32 s28, s28, exec_lo
	s_or_b32 s12, s12, s28
	s_or_b32 exec_lo, exec_lo, s27
	s_and_saveexec_b32 s27, s12
	s_cbranch_execnz .LBB6_5564
	s_branch .LBB6_5565
.LBB6_5715:                             ;   in Loop: Header=BB6_4953 Depth=2
	s_or_saveexec_b32 s27, s27
	v_mov_b32_e32 v2, 0x7f800001
	s_xor_b32 exec_lo, exec_lo, s27
	s_cbranch_execz .LBB6_5577
.LBB6_5716:                             ;   in Loop: Header=BB6_4953 Depth=2
	v_cmp_ne_u16_sdwa s28, v22, v30 src0_sel:BYTE_0 src1_sel:DWORD
	v_mov_b32_e32 v2, 0
	s_andn2_b32 s12, s12, exec_lo
	s_and_b32 s28, s28, exec_lo
	s_or_b32 s12, s12, s28
	s_or_b32 exec_lo, exec_lo, s27
	s_and_saveexec_b32 s27, s12
	s_cbranch_execnz .LBB6_5578
	s_branch .LBB6_5579
.LBB6_5717:                             ;   in Loop: Header=BB6_4953 Depth=2
	s_or_saveexec_b32 s27, s27
	v_mov_b32_e32 v3, 0x7f800001
	s_xor_b32 exec_lo, exec_lo, s27
	s_cbranch_execz .LBB6_5583
.LBB6_5718:                             ;   in Loop: Header=BB6_4953 Depth=2
	v_cmp_ne_u16_sdwa s28, v21, v30 src0_sel:BYTE_0 src1_sel:DWORD
	v_mov_b32_e32 v3, 0
	s_andn2_b32 s12, s12, exec_lo
	s_and_b32 s28, s28, exec_lo
	s_or_b32 s12, s12, s28
	s_or_b32 exec_lo, exec_lo, s27
	s_and_saveexec_b32 s27, s12
	s_cbranch_execnz .LBB6_5584
	s_branch .LBB6_5585
.LBB6_5719:                             ;   in Loop: Header=BB6_2943 Depth=1
	s_or_b32 exec_lo, exec_lo, s26
.LBB6_5720:                             ;   in Loop: Header=BB6_2943 Depth=1
	s_or_b32 exec_lo, exec_lo, s25
	v_and_b32_e32 v3, 0xfffffc00, v17
	v_cmp_ne_u32_e32 vcc_lo, v17, v3
	s_and_b32 exec_lo, exec_lo, vcc_lo
	s_cbranch_execz .LBB6_5748
; %bb.5721:                             ;   in Loop: Header=BB6_2943 Depth=1
	v_add_nc_u32_e32 v2, v18, v20
	v_lshlrev_b32_e32 v10, 5, v19
	v_and_b32_e32 v2, 0xffffffe0, v2
	v_sub_nc_u32_e32 v2, v18, v2
	v_sub_nc_u32_e32 v10, v2, v10
	v_and_b32_e32 v2, 0x3ff, v17
	v_sub_nc_u32_e32 v2, v2, v10
	v_cmp_lt_i32_e32 vcc_lo, 0, v2
	s_and_b32 exec_lo, exec_lo, vcc_lo
	s_cbranch_execz .LBB6_5748
; %bb.5722:                             ;   in Loop: Header=BB6_2943 Depth=1
	s_trap 2
	ds_read_b128 v[11:14], v0
	ds_read_b64 v[17:18], v0
	v_add3_u32 v3, v3, v16, v10
	s_mov_b32 s25, 0
	v_ashrrev_i32_e32 v15, 31, v3
	s_waitcnt lgkmcnt(1)
	v_add_co_u32 v10, vcc_lo, v11, v3
	v_add_co_ci_u32_e64 v11, null, v12, v15, vcc_lo
	v_add_co_u32 v12, vcc_lo, v13, v3
	v_add_co_ci_u32_e64 v13, null, v14, v15, vcc_lo
	s_waitcnt lgkmcnt(0)
	v_add_co_u32 v14, vcc_lo, v17, v3
	v_add_co_ci_u32_e64 v15, null, v18, v15, vcc_lo
	s_branch .LBB6_5726
.LBB6_5723:                             ;   in Loop: Header=BB6_5726 Depth=2
	s_or_b32 exec_lo, exec_lo, s12
	v_lshrrev_b32_e32 v17, 20, v17
	v_cmp_gt_i32_e32 vcc_lo, 16, v16
	v_min_i32_e32 v18, 15, v16
	v_and_b32_sdwa v3, v3, v119 dst_sel:DWORD dst_unused:UNUSED_PAD src0_sel:BYTE_3 src1_sel:DWORD
	v_cndmask_b32_e32 v17, 7, v17, vcc_lo
	v_lshlrev_b32_e32 v18, 3, v18
	v_and_b32_e32 v19, 7, v17
	v_or_b32_e32 v16, v16, v17
	v_or3_b32 v3, v18, v3, v19
	v_cmp_ne_u32_e32 vcc_lo, 0, v16
	v_cndmask_b32_e32 v16, 0, v3, vcc_lo
.LBB6_5724:                             ;   in Loop: Header=BB6_5726 Depth=2
	s_or_b32 exec_lo, exec_lo, s27
.LBB6_5725:                             ;   in Loop: Header=BB6_5726 Depth=2
	s_or_b32 exec_lo, exec_lo, s26
	v_sub_nc_u32_e32 v2, v2, v112
	v_add_co_u32 v10, vcc_lo, v10, v112
	v_add_co_ci_u32_e64 v11, null, 0, v11, vcc_lo
	v_add_co_u32 v12, vcc_lo, v12, v112
	flat_store_byte v[14:15], v16 glc slc
	v_add_co_ci_u32_e64 v13, null, 0, v13, vcc_lo
	v_cmp_gt_i32_e32 vcc_lo, 1, v2
	v_add_co_u32 v14, s12, v14, v112
	v_add_co_ci_u32_e64 v15, null, 0, v15, s12
	s_or_b32 s25, vcc_lo, s25
	s_andn2_b32 exec_lo, exec_lo, s25
	s_cbranch_execz .LBB6_5748
.LBB6_5726:                             ;   Parent Loop BB6_2943 Depth=1
                                        ; =>  This Inner Loop Header: Depth=2
	flat_load_ubyte v17, v[10:11] slc
	flat_load_ubyte v3, v[12:13] slc
	s_mov_b32 s12, 0
	s_mov_b32 s26, exec_lo
	s_waitcnt vmcnt(1) lgkmcnt(1)
	v_cmpx_lt_i16_e32 0x7f, v17
	s_xor_b32 s26, exec_lo, s26
	s_cbranch_execz .LBB6_5744
; %bb.5727:                             ;   in Loop: Header=BB6_5726 Depth=2
	s_mov_b32 s12, -1
	s_mov_b32 s27, exec_lo
	v_cmpx_eq_u16_e32 0x80, v17
; %bb.5728:                             ;   in Loop: Header=BB6_5726 Depth=2
	s_xor_b32 s12, exec_lo, -1
; %bb.5729:                             ;   in Loop: Header=BB6_5726 Depth=2
	s_or_b32 exec_lo, exec_lo, s27
	s_and_b32 s12, s12, exec_lo
	s_or_saveexec_b32 s26, s26
	v_mov_b32_e32 v16, 0x7f800001
	s_xor_b32 exec_lo, exec_lo, s26
	s_cbranch_execnz .LBB6_5745
.LBB6_5730:                             ;   in Loop: Header=BB6_5726 Depth=2
	s_or_b32 exec_lo, exec_lo, s26
	s_and_saveexec_b32 s26, s12
	s_cbranch_execz .LBB6_5732
.LBB6_5731:                             ;   in Loop: Header=BB6_5726 Depth=2
	v_and_b32_e32 v16, 0xffff, v17
	v_lshlrev_b32_e32 v17, 24, v17
	v_and_b32_e32 v18, 7, v16
	v_bfe_u32 v21, v16, 3, 4
	v_and_b32_e32 v17, 0x80000000, v17
	v_ffbh_u32_e32 v19, v18
	v_cmp_eq_u32_e32 vcc_lo, 0, v21
	v_min_u32_e32 v19, 32, v19
	v_subrev_nc_u32_e32 v20, 28, v19
	v_sub_nc_u32_e32 v19, 29, v19
	v_lshlrev_b32_e32 v16, v20, v16
	v_cndmask_b32_e32 v19, v21, v19, vcc_lo
	v_and_b32_e32 v16, 7, v16
	v_cndmask_b32_e32 v16, v18, v16, vcc_lo
	v_lshl_add_u32 v18, v19, 23, 0x3b800000
	v_lshlrev_b32_e32 v16, 20, v16
	v_or3_b32 v16, v17, v18, v16
.LBB6_5732:                             ;   in Loop: Header=BB6_5726 Depth=2
	s_or_b32 exec_lo, exec_lo, s26
	s_waitcnt vmcnt(0) lgkmcnt(0)
	v_cmp_gt_i16_sdwa s26, v3, v115 src0_sel:BYTE_0 src1_sel:DWORD
	s_mov_b32 s12, 0
	s_and_saveexec_b32 s27, s26
	s_xor_b32 s26, exec_lo, s27
	s_cbranch_execz .LBB6_5746
; %bb.5733:                             ;   in Loop: Header=BB6_5726 Depth=2
	v_cmp_eq_u16_sdwa s28, v3, v119 src0_sel:BYTE_0 src1_sel:DWORD
	s_mov_b32 s12, -1
	s_and_saveexec_b32 s27, s28
; %bb.5734:                             ;   in Loop: Header=BB6_5726 Depth=2
	s_xor_b32 s12, exec_lo, -1
; %bb.5735:                             ;   in Loop: Header=BB6_5726 Depth=2
	s_or_b32 exec_lo, exec_lo, s27
	s_and_b32 s12, s12, exec_lo
	s_or_saveexec_b32 s26, s26
	v_mov_b32_e32 v17, 0x7f800001
	s_xor_b32 exec_lo, exec_lo, s26
	s_cbranch_execnz .LBB6_5747
.LBB6_5736:                             ;   in Loop: Header=BB6_5726 Depth=2
	s_or_b32 exec_lo, exec_lo, s26
	s_and_saveexec_b32 s26, s12
	s_cbranch_execz .LBB6_5738
.LBB6_5737:                             ;   in Loop: Header=BB6_5726 Depth=2
	v_and_b32_e32 v17, 7, v3
	v_lshrrev_b16 v19, 3, v3
	v_ffbh_u32_e32 v18, v17
	v_and_b32_e32 v19, 15, v19
	v_min_u32_e32 v18, 32, v18
	v_cmp_eq_u32_e32 vcc_lo, 0, v19
	v_subrev_nc_u32_e32 v20, 28, v18
	v_sub_nc_u32_e32 v18, 29, v18
	v_lshlrev_b32_e32 v20, v20, v3
	v_lshlrev_b32_e32 v3, 24, v3
	v_cndmask_b32_e32 v18, v19, v18, vcc_lo
	v_and_b32_e32 v20, 7, v20
	v_and_b32_e32 v3, 0x80000000, v3
	v_lshl_add_u32 v18, v18, 23, 0x3b800000
	v_cndmask_b32_e32 v17, v17, v20, vcc_lo
	v_lshlrev_b32_e32 v17, 20, v17
	v_or3_b32 v17, v3, v18, v17
.LBB6_5738:                             ;   in Loop: Header=BB6_5726 Depth=2
	s_or_b32 exec_lo, exec_lo, s26
	v_add_f32_e32 v3, v16, v17
	v_and_b32_e32 v16, 0x7f800000, v3
	v_cmp_ne_u32_e32 vcc_lo, 0x7f800000, v16
	v_mov_b32_e32 v16, 0x80
	s_and_saveexec_b32 s26, vcc_lo
	s_cbranch_execz .LBB6_5725
; %bb.5739:                             ;   in Loop: Header=BB6_5726 Depth=2
	v_mov_b32_e32 v16, 0
	s_mov_b32 s27, exec_lo
	v_cmpx_ne_u32_e32 0, v3
	s_cbranch_execz .LBB6_5724
; %bb.5740:                             ;   in Loop: Header=BB6_5726 Depth=2
	v_bfe_u32 v16, v3, 23, 8
	v_and_b32_e32 v17, 0x7fffff, v3
	v_sub_nc_u32_e32 v18, 0x78, v16
	v_cmp_gt_u32_e32 vcc_lo, 0x79, v16
	v_or_b32_e32 v19, 0x800000, v17
	v_cndmask_b32_e32 v18, 0, v18, vcc_lo
	v_cmp_eq_u32_e32 vcc_lo, 0, v16
	v_add_nc_u32_e32 v16, 0xffffff89, v16
	v_cndmask_b32_e64 v18, v18, 0x77, vcc_lo
	v_cndmask_b32_e32 v17, v19, v17, vcc_lo
	v_cndmask_b32_e64 v16, v16, 0xffffff8a, vcc_lo
	v_lshl_add_u32 v19, 0x100000, v18, -1
	v_lshrrev_b32_e32 v20, v18, v17
	v_lshlrev_b32_e64 v22, v18, 0x80000
	v_add_nc_u32_e32 v18, v18, v16
	v_and_b32_e32 v17, v19, v17
	v_bfe_u32 v21, v20, 20, 1
	v_cmp_eq_u32_e64 s12, v17, v22
	v_add_nc_u32_e32 v19, -1, v21
	v_cndmask_b32_e64 v17, 0, v19, s12
	v_lshrrev_b32_e32 v19, 23, v20
	s_mov_b32 s12, exec_lo
	v_add_nc_u32_e32 v17, v17, v20
	v_xor_b32_e32 v19, 1, v19
	v_and_b32_e32 v16, 0xfffff, v17
	v_add_nc_u32_e32 v17, v16, v20
                                        ; implicit-def: $vgpr16
	v_cmpx_ne_u32_e64 v18, v19
	s_xor_b32 s12, exec_lo, s12
; %bb.5741:                             ;   in Loop: Header=BB6_5726 Depth=2
	v_cmp_lt_u32_e32 vcc_lo, 0xffffff, v17
	v_sub_nc_u32_e32 v16, v18, v19
	v_cndmask_b32_e64 v18, 0, 1, vcc_lo
	v_add_co_ci_u32_e64 v16, null, 0, v16, vcc_lo
	v_lshrrev_b32_e32 v17, v18, v17
; %bb.5742:                             ;   in Loop: Header=BB6_5726 Depth=2
	s_andn2_saveexec_b32 s12, s12
	s_cbranch_execz .LBB6_5723
; %bb.5743:                             ;   in Loop: Header=BB6_5726 Depth=2
	v_bfe_u32 v16, v17, 23, 1
	s_branch .LBB6_5723
.LBB6_5744:                             ;   in Loop: Header=BB6_5726 Depth=2
	s_or_saveexec_b32 s26, s26
	v_mov_b32_e32 v16, 0x7f800001
	s_xor_b32 exec_lo, exec_lo, s26
	s_cbranch_execz .LBB6_5730
.LBB6_5745:                             ;   in Loop: Header=BB6_5726 Depth=2
	v_cmp_ne_u16_e32 vcc_lo, 0, v17
	v_mov_b32_e32 v16, 0
	s_andn2_b32 s12, s12, exec_lo
	s_and_b32 s27, vcc_lo, exec_lo
	s_or_b32 s12, s12, s27
	s_or_b32 exec_lo, exec_lo, s26
	s_and_saveexec_b32 s26, s12
	s_cbranch_execnz .LBB6_5731
	s_branch .LBB6_5732
.LBB6_5746:                             ;   in Loop: Header=BB6_5726 Depth=2
	s_or_saveexec_b32 s26, s26
	v_mov_b32_e32 v17, 0x7f800001
	s_xor_b32 exec_lo, exec_lo, s26
	s_cbranch_execz .LBB6_5736
.LBB6_5747:                             ;   in Loop: Header=BB6_5726 Depth=2
	v_cmp_ne_u16_sdwa s27, v3, v30 src0_sel:BYTE_0 src1_sel:DWORD
	v_mov_b32_e32 v17, 0
	s_andn2_b32 s12, s12, exec_lo
	s_and_b32 s27, s27, exec_lo
	s_or_b32 s12, s12, s27
	s_or_b32 exec_lo, exec_lo, s26
	s_and_saveexec_b32 s26, s12
	s_cbranch_execnz .LBB6_5737
	s_branch .LBB6_5738
.LBB6_5748:                             ;   in Loop: Header=BB6_2943 Depth=1
	s_or_b32 exec_lo, exec_lo, s13
	v_cmp_ne_u32_e64 s12, 0, v59
	s_and_saveexec_b32 s13, s6
	s_cbranch_execz .LBB6_5767
.LBB6_5749:                             ;   in Loop: Header=BB6_2943 Depth=1
	s_and_saveexec_b32 s25, s19
	s_xor_b32 s25, exec_lo, s25
	s_cbranch_execz .LBB6_5764
; %bb.5750:                             ;   in Loop: Header=BB6_2943 Depth=1
	s_and_saveexec_b32 s26, s7
	s_cbranch_execz .LBB6_5763
; %bb.5751:                             ;   in Loop: Header=BB6_2943 Depth=1
	s_mov_b32 s28, exec_lo
	s_mov_b32 s27, exec_lo
	v_mbcnt_lo_u32_b32 v2, s28, 0
	s_waitcnt vmcnt(0) lgkmcnt(0)
	s_waitcnt_vscnt null, 0x0
	buffer_gl1_inv
	buffer_gl0_inv
	v_cmpx_eq_u32_e32 0, v2
	s_cbranch_execz .LBB6_5753
; %bb.5752:                             ;   in Loop: Header=BB6_2943 Depth=1
	s_bcnt1_i32_b32 s28, s28
	v_mov_b32_e32 v29, s28
	ds_add_u64 v0, v[29:30]
	s_trap 2
.LBB6_5753:                             ;   in Loop: Header=BB6_2943 Depth=1
	s_or_b32 exec_lo, exec_lo, s27
	s_trap 2
	ds_read_b64 v[2:3], v0
	s_waitcnt lgkmcnt(0)
	buffer_gl0_inv
	v_add_co_u32 v70, vcc_lo, v70, v87
	v_add_co_ci_u32_e64 v71, null, 0, v71, vcc_lo
	s_mov_b32 s27, exec_lo
	v_cmpx_lt_u64_e64 v[2:3], v[70:71]
	s_cbranch_execz .LBB6_5762
; %bb.5754:                             ;   in Loop: Header=BB6_2943 Depth=1
	s_mov_b32 s28, 0
	s_mov_b32 s41, 0
                                        ; implicit-def: $sgpr29
                                        ; implicit-def: $sgpr40
	s_inst_prefetch 0x1
	s_branch .LBB6_5756
	.p2align	6
.LBB6_5755:                             ;   in Loop: Header=BB6_5756 Depth=2
	s_or_b32 exec_lo, exec_lo, s43
	s_and_b32 s42, exec_lo, s44
	s_or_b32 s28, s42, s28
	s_andn2_b32 s29, s29, exec_lo
	s_and_b32 s42, s40, exec_lo
	s_or_b32 s29, s29, s42
	s_andn2_b32 exec_lo, exec_lo, s28
	s_cbranch_execz .LBB6_5760
.LBB6_5756:                             ;   Parent Loop BB6_2943 Depth=1
                                        ; =>  This Inner Loop Header: Depth=2
	s_add_i32 s41, s41, 1
	s_cmpk_lg_i32 s41, 0x2710
	s_cselect_b32 s42, -1, 0
	s_and_b32 vcc_lo, exec_lo, s42
	s_cbranch_vccz .LBB6_5758
; %bb.5757:                             ;   in Loop: Header=BB6_5756 Depth=2
	s_mov_b32 s44, -1
	s_or_b32 s40, s40, exec_lo
	s_and_saveexec_b32 s43, s42
	s_cbranch_execz .LBB6_5755
	s_branch .LBB6_5759
	.p2align	6
.LBB6_5758:                             ;   in Loop: Header=BB6_5756 Depth=2
	s_trap 2
	ds_read_b64 v[2:3], v0
	s_andn2_b32 s42, s42, exec_lo
	s_mov_b32 s41, 0
	s_waitcnt lgkmcnt(0)
	flat_load_dword v2, v[2:3] glc dlc
	s_waitcnt vmcnt(0) lgkmcnt(0)
	buffer_gl1_inv
	buffer_gl0_inv
	v_cmp_eq_u32_e32 vcc_lo, 0, v2
	s_and_b32 s43, vcc_lo, exec_lo
	s_or_b32 s42, s42, s43
	s_mov_b32 s44, -1
	s_or_b32 s40, s40, exec_lo
	s_and_saveexec_b32 s43, s42
	s_cbranch_execz .LBB6_5755
.LBB6_5759:                             ;   in Loop: Header=BB6_5756 Depth=2
	s_sleep 1
	s_trap 2
	ds_read_b64 v[2:3], v0
	s_waitcnt lgkmcnt(0)
	buffer_gl0_inv
	s_andn2_b32 s40, s40, exec_lo
	v_cmp_ge_u64_e32 vcc_lo, v[2:3], v[70:71]
	s_orn2_b32 s44, vcc_lo, exec_lo
	s_branch .LBB6_5755
.LBB6_5760:                             ;   in Loop: Header=BB6_2943 Depth=1
	s_inst_prefetch 0x2
	s_or_b32 exec_lo, exec_lo, s28
	s_and_saveexec_b32 s28, s29
	s_xor_b32 s28, exec_lo, s28
	s_cbranch_execz .LBB6_5762
; %bb.5761:                             ;   in Loop: Header=BB6_2943 Depth=1
	v_mov_b32_e32 v2, 1
	ds_write_b32 v0, v2
	s_trap 2
.LBB6_5762:                             ;   in Loop: Header=BB6_2943 Depth=1
	s_or_b32 exec_lo, exec_lo, s27
	;;#ASMSTART
	s_wakeup
	;;#ASMEND
.LBB6_5763:                             ;   in Loop: Header=BB6_2943 Depth=1
	s_or_b32 exec_lo, exec_lo, s26
.LBB6_5764:                             ;   in Loop: Header=BB6_2943 Depth=1
	s_andn2_saveexec_b32 s25, s25
	s_cbranch_execz .LBB6_5766
; %bb.5765:                             ;   in Loop: Header=BB6_2943 Depth=1
	s_waitcnt vmcnt(0) lgkmcnt(0)
	s_waitcnt_vscnt null, 0x0
	buffer_gl1_inv
	buffer_gl0_inv
	s_barrier
.LBB6_5766:                             ;   in Loop: Header=BB6_2943 Depth=1
	s_or_b32 exec_lo, exec_lo, s25
.LBB6_5767:                             ;   in Loop: Header=BB6_2943 Depth=1
	s_or_b32 exec_lo, exec_lo, s13
	v_and_b32_e32 v2, 16, v117
	v_cmp_ne_u32_e32 vcc_lo, 0, v2
	s_and_b32 s13, vcc_lo, s12
	s_and_saveexec_b32 s12, s13
	s_cbranch_execz .LBB6_5769
; %bb.5768:                             ;   in Loop: Header=BB6_2943 Depth=1
	s_waitcnt vmcnt(0) lgkmcnt(0)
	s_waitcnt_vscnt null, 0x0
	buffer_gl1_inv
	buffer_gl0_inv
.LBB6_5769:                             ;   in Loop: Header=BB6_2943 Depth=1
	s_or_b32 exec_lo, exec_lo, s12
	v_and_b32_e32 v2, 32, v117
	s_mov_b32 s12, exec_lo
	v_cmpx_ne_u32_e32 0, v2
	s_cbranch_execz .LBB6_5771
; %bb.5770:                             ;   in Loop: Header=BB6_2943 Depth=1
	v_add_co_u32 v8, vcc_lo, v8, 1
	v_add_co_ci_u32_e64 v9, null, 0, v9, vcc_lo
	s_waitcnt vmcnt(0) lgkmcnt(0)
	s_waitcnt_vscnt null, 0x0
	flat_store_dwordx2 v[64:65], v[8:9]
.LBB6_5771:                             ;   in Loop: Header=BB6_2943 Depth=1
	s_or_b32 exec_lo, exec_lo, s12
	v_mov_b32_e32 v2, v58
.LBB6_5772:                             ;   in Loop: Header=BB6_2943 Depth=1
	s_or_b32 exec_lo, exec_lo, s24
	s_and_saveexec_b32 s13, s23
	s_cbranch_execz .LBB6_2942
; %bb.5773:                             ;   in Loop: Header=BB6_2943 Depth=1
	v_and_b32_e32 v3, 4, v117
	s_mov_b32 s23, exec_lo
	v_cmpx_ne_u32_e32 0, v3
	s_cbranch_execz .LBB6_5795
; %bb.5774:                             ;   in Loop: Header=BB6_2943 Depth=1
	s_waitcnt lgkmcnt(0)
	v_add_co_u32 v10, vcc_lo, v8, 1
	v_add_co_ci_u32_e64 v11, null, 0, v9, vcc_lo
	s_mov_b32 s24, exec_lo
	s_waitcnt vmcnt(0)
	v_cmpx_lt_u64_e64 v[68:69], v[10:11]
	s_cbranch_execz .LBB6_5786
; %bb.5775:                             ;   in Loop: Header=BB6_2943 Depth=1
	v_and_b32_e32 v3, 64, v117
	s_mov_b32 s25, 0
	s_mov_b32 s29, 0
                                        ; implicit-def: $sgpr26
                                        ; implicit-def: $sgpr27
                                        ; implicit-def: $sgpr28
	v_cmp_eq_u32_e32 vcc_lo, 0, v3
	s_branch .LBB6_5779
.LBB6_5776:                             ;   in Loop: Header=BB6_5779 Depth=2
	s_waitcnt vmcnt(0) lgkmcnt(0)
	v_cmp_ge_u64_e64 s12, v[68:69], v[10:11]
	s_or_b32 s42, s42, exec_lo
	s_orn2_b32 s41, s12, exec_lo
.LBB6_5777:                             ;   in Loop: Header=BB6_5779 Depth=2
	s_or_b32 exec_lo, exec_lo, s44
	s_andn2_b32 s12, s28, exec_lo
	s_and_b32 s28, s42, exec_lo
	s_andn2_b32 s27, s27, exec_lo
	s_and_b32 s41, s41, exec_lo
	s_or_b32 s28, s12, s28
	s_or_b32 s27, s27, s41
.LBB6_5778:                             ;   in Loop: Header=BB6_5779 Depth=2
	s_or_b32 exec_lo, exec_lo, s40
	s_and_b32 s12, exec_lo, s27
	s_or_b32 s25, s12, s25
	s_andn2_b32 s12, s26, exec_lo
	s_and_b32 s26, s28, exec_lo
	s_or_b32 s26, s12, s26
	s_andn2_b32 exec_lo, exec_lo, s25
	s_cbranch_execz .LBB6_5783
.LBB6_5779:                             ;   Parent Loop BB6_2943 Depth=1
                                        ; =>  This Inner Loop Header: Depth=2
	s_sleep 1
	s_waitcnt vmcnt(0) lgkmcnt(0)
	flat_load_dwordx2 v[68:69], v[64:65] glc dlc
	s_or_b32 s28, s28, exec_lo
	s_or_b32 s27, s27, exec_lo
                                        ; implicit-def: $vgpr3
	s_and_saveexec_b32 s40, vcc_lo
	s_cbranch_execz .LBB6_5778
; %bb.5780:                             ;   in Loop: Header=BB6_5779 Depth=2
	s_cmpk_lt_i32 s29, 0x270f
	s_mov_b32 s41, -1
	s_cselect_b32 s43, -1, 0
	s_cmpk_gt_i32 s29, 0x270e
	s_cbranch_scc0 .LBB6_5782
; %bb.5781:                             ;   in Loop: Header=BB6_5779 Depth=2
	s_trap 2
	ds_read_b64 v[12:13], v0
	s_andn2_b32 s29, s43, exec_lo
	s_mov_b32 s42, 0
	s_waitcnt vmcnt(0) lgkmcnt(0)
	s_waitcnt_vscnt null, 0x0
	flat_load_dword v3, v[12:13] glc dlc
	s_waitcnt vmcnt(0) lgkmcnt(0)
	buffer_gl1_inv
	buffer_gl0_inv
	v_cmp_eq_u32_e64 s12, 0, v3
	s_and_b32 s12, s12, exec_lo
	s_or_b32 s43, s29, s12
	s_mov_b32 s29, 0
	s_and_saveexec_b32 s44, s43
	s_cbranch_execz .LBB6_5777
	s_branch .LBB6_5776
.LBB6_5782:                             ;   in Loop: Header=BB6_5779 Depth=2
	s_add_i32 s29, s29, 1
	s_mov_b32 s42, -1
                                        ; implicit-def: $vgpr3
	s_and_saveexec_b32 s44, s43
	s_cbranch_execz .LBB6_5777
	s_branch .LBB6_5776
.LBB6_5783:                             ;   in Loop: Header=BB6_2943 Depth=1
	s_or_b32 exec_lo, exec_lo, s25
	s_xor_b32 s12, s26, -1
	s_and_saveexec_b32 s25, s12
	s_xor_b32 s12, exec_lo, s25
	s_cbranch_execz .LBB6_5785
; %bb.5784:                             ;   in Loop: Header=BB6_2943 Depth=1
	v_or_b32_e32 v117, 64, v117
	s_waitcnt vmcnt(0) lgkmcnt(0)
	s_waitcnt_vscnt null, 0x0
	ds_write_b32 v0, v3
	s_trap 2
.LBB6_5785:                             ;   in Loop: Header=BB6_2943 Depth=1
	s_or_b32 exec_lo, exec_lo, s12
.LBB6_5786:                             ;   in Loop: Header=BB6_2943 Depth=1
	s_or_b32 exec_lo, exec_lo, s24
	v_and_b32_e32 v3, 0x100, v117
	s_mov_b32 s12, -1
	;;#ASMSTART
	s_wakeup
	;;#ASMEND
	v_cmp_ne_u32_e32 vcc_lo, 0, v3
	v_and_b32_e32 v3, 7, v8
                                        ; implicit-def: $vgpr8_vgpr9
	s_and_saveexec_b32 s24, vcc_lo
	s_cbranch_execz .LBB6_5790
; %bb.5787:                             ;   in Loop: Header=BB6_2943 Depth=1
	v_mad_u64_u32 v[12:13], null, v3, 24, v[6:7]
	flat_load_dword v8, v[12:13]
	s_waitcnt vmcnt(0) lgkmcnt(0)
	v_cmp_eq_u32_e64 s12, 1, v8
	v_cmp_ne_u32_e32 vcc_lo, 1, v8
                                        ; implicit-def: $vgpr8_vgpr9
	s_and_saveexec_b32 s25, s12
	s_cbranch_execz .LBB6_5789
; %bb.5788:                             ;   in Loop: Header=BB6_2943 Depth=1
	flat_load_dword v8, v[12:13] offset:4 glc dlc
	s_waitcnt vmcnt(0) lgkmcnt(0)
	v_ashrrev_i32_e32 v9, 31, v8
.LBB6_5789:                             ;   in Loop: Header=BB6_2943 Depth=1
	s_or_b32 exec_lo, exec_lo, s25
	s_orn2_b32 s12, vcc_lo, exec_lo
.LBB6_5790:                             ;   in Loop: Header=BB6_2943 Depth=1
	s_or_b32 exec_lo, exec_lo, s24
	s_and_saveexec_b32 s24, s12
; %bb.5791:                             ;   in Loop: Header=BB6_2943 Depth=1
	v_mad_i64_i32 v[8:9], null, v3, v118, 0
; %bb.5792:                             ;   in Loop: Header=BB6_2943 Depth=1
	s_or_b32 exec_lo, exec_lo, s24
	v_add_co_u32 v8, vcc_lo, v66, v8
	v_and_b32_e32 v3, 0x2000, v117
	v_add_co_ci_u32_e64 v9, null, v67, v9, vcc_lo
	s_mov_b32 s12, exec_lo
	ds_write_b64 v0, v[8:9] offset:728
	v_cmpx_ne_u32_e32 0, v3
	s_cbranch_execz .LBB6_5794
; %bb.5793:                             ;   in Loop: Header=BB6_2943 Depth=1
	ds_read_b64 v[8:9], v0 offset:872
	s_waitcnt lgkmcnt(0)
	v_add_co_u32 v8, vcc_lo, v8, 1
	v_add_co_ci_u32_e64 v9, null, 0, v9, vcc_lo
	ds_write_b64 v0, v[8:9] offset:872
.LBB6_5794:                             ;   in Loop: Header=BB6_2943 Depth=1
	s_or_b32 exec_lo, exec_lo, s12
	v_mov_b32_e32 v8, v10
	v_mov_b32_e32 v9, v11
.LBB6_5795:                             ;   in Loop: Header=BB6_2943 Depth=1
	s_or_b32 exec_lo, exec_lo, s23
	s_and_saveexec_b32 s12, s6
	s_cbranch_execz .LBB6_5814
; %bb.5796:                             ;   in Loop: Header=BB6_2943 Depth=1
	s_and_saveexec_b32 s23, s19
	s_xor_b32 s23, exec_lo, s23
	s_cbranch_execz .LBB6_5811
; %bb.5797:                             ;   in Loop: Header=BB6_2943 Depth=1
	s_and_saveexec_b32 s24, s7
	s_cbranch_execz .LBB6_5810
; %bb.5798:                             ;   in Loop: Header=BB6_2943 Depth=1
	s_mov_b32 s26, exec_lo
	s_mov_b32 s25, exec_lo
	v_mbcnt_lo_u32_b32 v3, s26, 0
	s_waitcnt vmcnt(0) lgkmcnt(0)
	s_waitcnt_vscnt null, 0x0
	buffer_gl1_inv
	buffer_gl0_inv
	v_cmpx_eq_u32_e32 0, v3
	s_cbranch_execz .LBB6_5800
; %bb.5799:                             ;   in Loop: Header=BB6_2943 Depth=1
	s_bcnt1_i32_b32 s26, s26
	v_mov_b32_e32 v29, s26
	ds_add_u64 v0, v[29:30]
	s_trap 2
.LBB6_5800:                             ;   in Loop: Header=BB6_2943 Depth=1
	s_or_b32 exec_lo, exec_lo, s25
	s_trap 2
	ds_read_b64 v[10:11], v0
	s_waitcnt lgkmcnt(0)
	buffer_gl0_inv
	v_add_co_u32 v70, vcc_lo, v70, v87
	v_add_co_ci_u32_e64 v71, null, 0, v71, vcc_lo
	s_mov_b32 s25, exec_lo
	v_cmpx_lt_u64_e64 v[10:11], v[70:71]
	s_cbranch_execz .LBB6_5809
; %bb.5801:                             ;   in Loop: Header=BB6_2943 Depth=1
	s_mov_b32 s26, 0
	s_mov_b32 s29, 0
                                        ; implicit-def: $sgpr27
                                        ; implicit-def: $sgpr28
	s_inst_prefetch 0x1
	s_branch .LBB6_5803
	.p2align	6
.LBB6_5802:                             ;   in Loop: Header=BB6_5803 Depth=2
	s_or_b32 exec_lo, exec_lo, s41
	s_and_b32 s40, exec_lo, s42
	s_or_b32 s26, s40, s26
	s_andn2_b32 s27, s27, exec_lo
	s_and_b32 s40, s28, exec_lo
	s_or_b32 s27, s27, s40
	s_andn2_b32 exec_lo, exec_lo, s26
	s_cbranch_execz .LBB6_5807
.LBB6_5803:                             ;   Parent Loop BB6_2943 Depth=1
                                        ; =>  This Inner Loop Header: Depth=2
	s_add_i32 s29, s29, 1
	s_cmpk_lg_i32 s29, 0x2710
	s_cselect_b32 s40, -1, 0
	s_and_b32 vcc_lo, exec_lo, s40
	s_cbranch_vccz .LBB6_5805
; %bb.5804:                             ;   in Loop: Header=BB6_5803 Depth=2
	s_mov_b32 s42, -1
	s_or_b32 s28, s28, exec_lo
	s_and_saveexec_b32 s41, s40
	s_cbranch_execz .LBB6_5802
	s_branch .LBB6_5806
	.p2align	6
.LBB6_5805:                             ;   in Loop: Header=BB6_5803 Depth=2
	s_trap 2
	ds_read_b64 v[10:11], v0
	s_andn2_b32 s40, s40, exec_lo
	s_mov_b32 s29, 0
	s_waitcnt lgkmcnt(0)
	flat_load_dword v3, v[10:11] glc dlc
	s_waitcnt vmcnt(0) lgkmcnt(0)
	buffer_gl1_inv
	buffer_gl0_inv
	v_cmp_eq_u32_e32 vcc_lo, 0, v3
	s_and_b32 s41, vcc_lo, exec_lo
	s_or_b32 s40, s40, s41
	s_mov_b32 s42, -1
	s_or_b32 s28, s28, exec_lo
	s_and_saveexec_b32 s41, s40
	s_cbranch_execz .LBB6_5802
.LBB6_5806:                             ;   in Loop: Header=BB6_5803 Depth=2
	s_sleep 1
	s_trap 2
	ds_read_b64 v[10:11], v0
	s_waitcnt lgkmcnt(0)
	buffer_gl0_inv
	s_andn2_b32 s28, s28, exec_lo
	v_cmp_ge_u64_e32 vcc_lo, v[10:11], v[70:71]
	s_orn2_b32 s42, vcc_lo, exec_lo
	s_branch .LBB6_5802
.LBB6_5807:                             ;   in Loop: Header=BB6_2943 Depth=1
	s_inst_prefetch 0x2
	s_or_b32 exec_lo, exec_lo, s26
	s_and_saveexec_b32 s26, s27
	s_xor_b32 s26, exec_lo, s26
	s_cbranch_execz .LBB6_5809
; %bb.5808:                             ;   in Loop: Header=BB6_2943 Depth=1
	v_mov_b32_e32 v3, 1
	ds_write_b32 v0, v3
	s_trap 2
.LBB6_5809:                             ;   in Loop: Header=BB6_2943 Depth=1
	s_or_b32 exec_lo, exec_lo, s25
	;;#ASMSTART
	s_wakeup
	;;#ASMEND
.LBB6_5810:                             ;   in Loop: Header=BB6_2943 Depth=1
	s_or_b32 exec_lo, exec_lo, s24
.LBB6_5811:                             ;   in Loop: Header=BB6_2943 Depth=1
	s_andn2_saveexec_b32 s23, s23
	s_cbranch_execz .LBB6_5813
; %bb.5812:                             ;   in Loop: Header=BB6_2943 Depth=1
	s_waitcnt vmcnt(0) lgkmcnt(0)
	s_waitcnt_vscnt null, 0x0
	buffer_gl1_inv
	buffer_gl0_inv
	s_barrier
.LBB6_5813:                             ;   in Loop: Header=BB6_2943 Depth=1
	s_or_b32 exec_lo, exec_lo, s23
.LBB6_5814:                             ;   in Loop: Header=BB6_2943 Depth=1
	s_or_b32 exec_lo, exec_lo, s12
	s_trap 2
	ds_read_b32 v3, v0
	v_sub_nc_u32_e32 v2, v84, v2
	v_min_i32_e32 v2, v58, v2
	v_cmp_lt_i32_e32 vcc_lo, 0, v2
	s_waitcnt lgkmcnt(0)
	v_readfirstlane_b32 s12, v3
	v_and_b32_e32 v3, 16, v117
	s_cmp_eq_u32 s12, 0
	v_cmp_ne_u32_e64 s12, 0, v3
	s_cselect_b32 s23, -1, 0
	s_and_b32 s23, vcc_lo, s23
	s_and_b32 s23, s12, s23
	s_and_saveexec_b32 s12, s23
	s_cbranch_execz .LBB6_5816
; %bb.5815:                             ;   in Loop: Header=BB6_2943 Depth=1
	s_waitcnt vmcnt(0)
	s_waitcnt_vscnt null, 0x0
	buffer_gl1_inv
	buffer_gl0_inv
.LBB6_5816:                             ;   in Loop: Header=BB6_2943 Depth=1
	s_or_b32 exec_lo, exec_lo, s12
	v_and_b32_e32 v2, 32, v117
	s_mov_b32 s12, exec_lo
	v_cmpx_ne_u32_e32 0, v2
	s_cbranch_execz .LBB6_2941
; %bb.5817:                             ;   in Loop: Header=BB6_2943 Depth=1
	v_add_co_u32 v8, vcc_lo, v8, 1
	v_add_co_ci_u32_e64 v9, null, 0, v9, vcc_lo
	s_waitcnt vmcnt(0)
	s_waitcnt_vscnt null, 0x0
	flat_store_dwordx2 v[64:65], v[8:9]
	s_branch .LBB6_2941
.LBB6_5818:
	s_or_b32 exec_lo, exec_lo, s20
	buffer_load_dword v58, off, s[0:3], s33 offset:188 ; 4-byte Folded Reload
.LBB6_5819:
	s_or_b32 exec_lo, exec_lo, s18
.LBB6_5820:
	s_or_b32 exec_lo, exec_lo, s14
                                        ; implicit-def: $vgpr52_vgpr53
                                        ; implicit-def: $vgpr4_vgpr5
                                        ; implicit-def: $vgpr82_vgpr83
                                        ; implicit-def: $vgpr118
                                        ; implicit-def: $vgpr68_vgpr69
                                        ; implicit-def: $vgpr66_vgpr67
                                        ; implicit-def: $vgpr64_vgpr65
                                        ; implicit-def: $vgpr0
                                        ; implicit-def: $vgpr32
                                        ; implicit-def: $vgpr80
.LBB6_5821:
	s_andn2_saveexec_b32 s17, s17
	s_cbranch_execz .LBB6_5995
; %bb.5822:
	v_mov_b32_e32 v70, 0
	v_mov_b32_e32 v71, 0
	s_mov_b32 s18, exec_lo
	v_cmpx_ne_u64_e32 0, v[4:5]
	s_cbranch_execz .LBB6_5994
; %bb.5823:
	v_ashrrev_i32_e32 v2, 31, v0
	v_and_b32_e32 v3, 31, v31
	v_lshrrev_b32_e32 v23, 5, v1
	s_ashr_i32 s10, s16, 31
	v_cmp_eq_u32_e32 vcc_lo, 32, v1
	v_lshrrev_b32_e32 v2, 27, v2
	s_lshr_b32 s10, s10, 24
	s_waitcnt vmcnt(2)
	v_mov_b32_e32 v12, 0
	s_waitcnt vmcnt(1) lgkmcnt(1)
	v_cmp_ne_u64_e64 s7, 0, v[82:83]
	v_mov_b32_e32 v70, 0
	v_add_nc_u32_e32 v2, v0, v2
	v_cmp_ge_i32_e64 s5, v0, v1
	v_cmp_ne_u32_e64 s6, 32, v1
	s_waitcnt vmcnt(0)
	v_cmp_ne_u32_sdwa s19, v1, v58 src0_sel:DWORD src1_sel:WORD_0
	v_mov_b32_e32 v11, 0
	v_and_b32_e32 v10, 0xffffffe0, v2
	v_ashrrev_i32_e32 v25, 5, v2
	v_and_b32_e32 v24, 0x1fe0, v1
	v_mov_b32_e32 v13, 0
	v_mov_b32_e32 v71, 0
	v_sub_nc_u32_e32 v26, v0, v10
	v_lshlrev_b32_e32 v2, 12, v25
	s_add_i32 s16, s16, s10
	v_cmp_eq_u32_e64 s10, 0, v3
	v_lshlrev_b32_e32 v27, 12, v23
	v_lshlrev_b32_e32 v29, 9, v23
	v_lshl_add_u32 v28, v26, 4, v2
	v_lshlrev_b32_e32 v30, 10, v23
	v_cmp_gt_i32_e64 s11, 1, v26
	v_cmp_lt_i32_e64 s12, v26, v32
	v_mov_b32_e32 v33, 1
	v_ashrrev_i32_e32 v32, 31, v28
	s_ashr_i32 s20, s16, 8
	s_mov_b32 s16, 0
	s_xor_b32 s21, vcc_lo, -1
	s_trap 2
	s_branch .LBB6_5827
.LBB6_5824:                             ;   in Loop: Header=BB6_5827 Depth=1
	s_or_b32 exec_lo, exec_lo, s22
	v_add_co_u32 v8, vcc_lo, v8, 1
	v_add_co_ci_u32_e64 v9, null, 0, v9, vcc_lo
	s_waitcnt vmcnt(0) lgkmcnt(0)
	s_waitcnt_vscnt null, 0x0
	flat_store_dwordx2 v[64:65], v[8:9]
.LBB6_5825:                             ;   in Loop: Header=BB6_5827 Depth=1
	s_or_b32 exec_lo, exec_lo, s13
.LBB6_5826:                             ;   in Loop: Header=BB6_5827 Depth=1
	s_or_b32 exec_lo, exec_lo, s14
	v_add_co_u32 v12, vcc_lo, v12, v80
	v_add_co_ci_u32_e64 v13, null, 0, v13, vcc_lo
	v_cmp_ge_u64_e32 vcc_lo, v[12:13], v[4:5]
	s_or_b32 s16, vcc_lo, s16
	s_andn2_b32 exec_lo, exec_lo, s16
	s_cbranch_execz .LBB6_5993
.LBB6_5827:                             ; =>This Loop Header: Depth=1
                                        ;     Child Loop BB6_5836 Depth 2
                                        ;     Child Loop BB6_5860 Depth 2
                                        ;     Child Loop BB6_5879 Depth 2
                                        ;     Child Loop BB6_5901 Depth 2
                                        ;     Child Loop BB6_5906 Depth 2
                                        ;     Child Loop BB6_5914 Depth 2
                                        ;     Child Loop BB6_5919 Depth 2
                                        ;     Child Loop BB6_5928 Depth 2
                                        ;     Child Loop BB6_5953 Depth 2
                                        ;     Child Loop BB6_5977 Depth 2
	v_sub_co_u32 v2, vcc_lo, v4, v12
	v_sub_co_ci_u32_e64 v3, null, v5, v13, vcc_lo
	v_cmp_lt_u64_e32 vcc_lo, v[80:81], v[2:3]
	v_cndmask_b32_e32 v14, v2, v80, vcc_lo
	v_cndmask_b32_e64 v15, v3, 0, vcc_lo
	v_add_nc_u32_e32 v2, 15, v14
	v_cmp_eq_u64_e32 vcc_lo, 0, v[14:15]
	v_and_b32_e32 v2, 0x7ffffff0, v2
	s_or_b32 s22, s5, vcc_lo
	s_xor_b32 s13, s22, -1
	v_max_i32_e32 v10, s20, v2
	v_mov_b32_e32 v2, 0
	s_and_saveexec_b32 s23, s13
	s_cbranch_execz .LBB6_5946
; %bb.5828:                             ;   in Loop: Header=BB6_5827 Depth=1
	s_and_saveexec_b32 s13, s4
	s_cbranch_execz .LBB6_5830
; %bb.5829:                             ;   in Loop: Header=BB6_5827 Depth=1
	s_trap 2
	ds_read_b64 v[2:3], v0
	s_waitcnt lgkmcnt(0)
	v_add_co_u32 v15, vcc_lo, v2, v52
	v_add_co_ci_u32_e64 v3, null, v3, v53, vcc_lo
	v_mov_b32_e32 v2, v11
	v_add_co_u32 v15, vcc_lo, v15, v12
	v_add_co_ci_u32_e64 v16, null, v3, v13, vcc_lo
	v_mov_b32_e32 v3, v11
	ds_write_b64 v0, v[15:16]
	ds_write_b64 v0, v[2:3]
.LBB6_5830:                             ;   in Loop: Header=BB6_5827 Depth=1
	s_or_b32 exec_lo, exec_lo, s13
	v_and_b32_e32 v2, 8, v117
	v_min_u32_e32 v10, v10, v14
	s_mov_b32 s14, exec_lo
	v_cmpx_ne_u32_e32 0, v2
	s_cbranch_execz .LBB6_5852
; %bb.5831:                             ;   in Loop: Header=BB6_5827 Depth=1
	s_waitcnt vmcnt(0)
	v_add_co_u32 v2, vcc_lo, v68, 8
	v_add_co_ci_u32_e64 v3, null, 0, v69, vcc_lo
	s_waitcnt lgkmcnt(0)
	v_add_co_u32 v15, vcc_lo, v8, 1
	v_add_co_ci_u32_e64 v16, null, 0, v9, vcc_lo
	s_mov_b32 s24, exec_lo
	v_cmpx_lt_u64_e64 v[2:3], v[15:16]
	s_cbranch_execz .LBB6_5843
; %bb.5832:                             ;   in Loop: Header=BB6_5827 Depth=1
	v_and_b32_e32 v2, 64, v117
	s_mov_b32 s25, 0
	s_mov_b32 s29, 0
                                        ; implicit-def: $sgpr26
                                        ; implicit-def: $sgpr27
                                        ; implicit-def: $sgpr28
	v_cmp_eq_u32_e32 vcc_lo, 0, v2
	s_branch .LBB6_5836
.LBB6_5833:                             ;   in Loop: Header=BB6_5836 Depth=2
	s_waitcnt vmcnt(0) lgkmcnt(0)
	v_add_co_u32 v17, s13, v68, 8
	v_add_co_ci_u32_e64 v18, null, 0, v69, s13
	s_or_b32 s42, s42, exec_lo
	v_cmp_ge_u64_e64 s13, v[17:18], v[15:16]
	s_orn2_b32 s41, s13, exec_lo
.LBB6_5834:                             ;   in Loop: Header=BB6_5836 Depth=2
	s_or_b32 exec_lo, exec_lo, s44
	s_andn2_b32 s13, s28, exec_lo
	s_and_b32 s28, s42, exec_lo
	s_andn2_b32 s27, s27, exec_lo
	s_and_b32 s41, s41, exec_lo
	s_or_b32 s28, s13, s28
	s_or_b32 s27, s27, s41
.LBB6_5835:                             ;   in Loop: Header=BB6_5836 Depth=2
	s_or_b32 exec_lo, exec_lo, s40
	s_and_b32 s13, exec_lo, s27
	s_or_b32 s25, s13, s25
	s_andn2_b32 s13, s26, exec_lo
	s_and_b32 s26, s28, exec_lo
	s_or_b32 s26, s13, s26
	s_andn2_b32 exec_lo, exec_lo, s25
	s_cbranch_execz .LBB6_5840
.LBB6_5836:                             ;   Parent Loop BB6_5827 Depth=1
                                        ; =>  This Inner Loop Header: Depth=2
	s_sleep 1
	s_waitcnt vmcnt(0) lgkmcnt(0)
	flat_load_dwordx2 v[68:69], v[64:65] glc dlc
	s_or_b32 s28, s28, exec_lo
	s_or_b32 s27, s27, exec_lo
                                        ; implicit-def: $vgpr2
	s_and_saveexec_b32 s40, vcc_lo
	s_cbranch_execz .LBB6_5835
; %bb.5837:                             ;   in Loop: Header=BB6_5836 Depth=2
	s_cmpk_lt_i32 s29, 0x270f
	s_mov_b32 s41, -1
	s_cselect_b32 s43, -1, 0
	s_cmpk_gt_i32 s29, 0x270e
	s_cbranch_scc0 .LBB6_5839
; %bb.5838:                             ;   in Loop: Header=BB6_5836 Depth=2
	s_trap 2
	ds_read_b64 v[2:3], v0
	s_andn2_b32 s29, s43, exec_lo
	s_mov_b32 s42, 0
	s_waitcnt vmcnt(0) lgkmcnt(0)
	s_waitcnt_vscnt null, 0x0
	flat_load_dword v2, v[2:3] glc dlc
	s_waitcnt vmcnt(0) lgkmcnt(0)
	buffer_gl1_inv
	buffer_gl0_inv
	v_cmp_eq_u32_e64 s13, 0, v2
	s_and_b32 s13, s13, exec_lo
	s_or_b32 s43, s29, s13
	s_mov_b32 s29, 0
	s_and_saveexec_b32 s44, s43
	s_cbranch_execz .LBB6_5834
	s_branch .LBB6_5833
.LBB6_5839:                             ;   in Loop: Header=BB6_5836 Depth=2
	s_add_i32 s29, s29, 1
	s_mov_b32 s42, -1
                                        ; implicit-def: $vgpr2
	s_and_saveexec_b32 s44, s43
	s_cbranch_execz .LBB6_5834
	s_branch .LBB6_5833
.LBB6_5840:                             ;   in Loop: Header=BB6_5827 Depth=1
	s_or_b32 exec_lo, exec_lo, s25
	s_xor_b32 s13, s26, -1
	s_and_saveexec_b32 s25, s13
	s_xor_b32 s13, exec_lo, s25
	s_cbranch_execz .LBB6_5842
; %bb.5841:                             ;   in Loop: Header=BB6_5827 Depth=1
	v_or_b32_e32 v117, 64, v117
	s_waitcnt vmcnt(0) lgkmcnt(0)
	s_waitcnt_vscnt null, 0x0
	ds_write_b32 v0, v2
	s_trap 2
.LBB6_5842:                             ;   in Loop: Header=BB6_5827 Depth=1
	s_or_b32 exec_lo, exec_lo, s13
.LBB6_5843:                             ;   in Loop: Header=BB6_5827 Depth=1
	s_or_b32 exec_lo, exec_lo, s24
	v_and_b32_e32 v2, 0x100, v117
	s_mov_b32 s13, -1
	;;#ASMSTART
	s_wakeup
	;;#ASMEND
	v_cmp_ne_u32_e32 vcc_lo, 0, v2
	v_and_b32_e32 v2, 7, v8
                                        ; implicit-def: $vgpr8_vgpr9
	s_and_saveexec_b32 s24, vcc_lo
	s_cbranch_execz .LBB6_5847
; %bb.5844:                             ;   in Loop: Header=BB6_5827 Depth=1
	v_mad_u64_u32 v[17:18], null, v2, 24, v[6:7]
	s_mov_b32 s25, exec_lo
                                        ; implicit-def: $vgpr8_vgpr9
	flat_load_dword v3, v[17:18]
	flat_store_dwordx2 v[17:18], v[10:11] offset:8
	s_waitcnt vmcnt(0) lgkmcnt(1)
	v_cmp_ne_u32_e32 vcc_lo, 1, v3
	v_cmpx_eq_u32_e32 1, v3
	s_cbranch_execz .LBB6_5846
; %bb.5845:                             ;   in Loop: Header=BB6_5827 Depth=1
	flat_load_dword v8, v[17:18] offset:4 glc dlc
	s_waitcnt vmcnt(0) lgkmcnt(0)
	v_ashrrev_i32_e32 v9, 31, v8
.LBB6_5846:                             ;   in Loop: Header=BB6_5827 Depth=1
	s_or_b32 exec_lo, exec_lo, s25
	s_orn2_b32 s13, vcc_lo, exec_lo
.LBB6_5847:                             ;   in Loop: Header=BB6_5827 Depth=1
	s_or_b32 exec_lo, exec_lo, s24
	s_and_saveexec_b32 s24, s13
; %bb.5848:                             ;   in Loop: Header=BB6_5827 Depth=1
	v_mad_i64_i32 v[8:9], null, v2, v118, 0
; %bb.5849:                             ;   in Loop: Header=BB6_5827 Depth=1
	s_or_b32 exec_lo, exec_lo, s24
	v_add_co_u32 v2, vcc_lo, v66, v8
	v_and_b32_e32 v17, 0x2000, v117
	v_add_co_ci_u32_e64 v3, null, v67, v9, vcc_lo
	s_mov_b32 s13, exec_lo
	ds_write_b64 v0, v[2:3] offset:784
	v_cmpx_ne_u32_e32 0, v17
	s_cbranch_execz .LBB6_5851
; %bb.5850:                             ;   in Loop: Header=BB6_5827 Depth=1
	ds_read_b64 v[2:3], v0 offset:872
	s_waitcnt lgkmcnt(0)
	v_add_co_u32 v2, vcc_lo, v2, 1
	v_add_co_ci_u32_e64 v3, null, 0, v3, vcc_lo
	ds_write_b64 v0, v[2:3] offset:872
.LBB6_5851:                             ;   in Loop: Header=BB6_5827 Depth=1
	s_or_b32 exec_lo, exec_lo, s13
	v_mov_b32_e32 v8, v15
	v_mov_b32_e32 v9, v16
.LBB6_5852:                             ;   in Loop: Header=BB6_5827 Depth=1
	s_or_b32 exec_lo, exec_lo, s14
	s_and_saveexec_b32 s13, s6
	s_cbranch_execz .LBB6_5871
; %bb.5853:                             ;   in Loop: Header=BB6_5827 Depth=1
	s_and_saveexec_b32 s14, s19
	s_xor_b32 s14, exec_lo, s14
	s_cbranch_execz .LBB6_5868
; %bb.5854:                             ;   in Loop: Header=BB6_5827 Depth=1
	s_and_saveexec_b32 s24, s10
	s_cbranch_execz .LBB6_5867
; %bb.5855:                             ;   in Loop: Header=BB6_5827 Depth=1
	s_mov_b32 s26, exec_lo
	s_mov_b32 s25, exec_lo
	v_mbcnt_lo_u32_b32 v2, s26, 0
	s_waitcnt vmcnt(0) lgkmcnt(0)
	s_waitcnt_vscnt null, 0x0
	buffer_gl1_inv
	buffer_gl0_inv
	v_cmpx_eq_u32_e32 0, v2
	s_cbranch_execz .LBB6_5857
; %bb.5856:                             ;   in Loop: Header=BB6_5827 Depth=1
	s_bcnt1_i32_b32 s26, s26
	v_mov_b32_e32 v3, v11
	v_mov_b32_e32 v2, s26
	ds_add_u64 v0, v[2:3]
	s_trap 2
.LBB6_5857:                             ;   in Loop: Header=BB6_5827 Depth=1
	s_or_b32 exec_lo, exec_lo, s25
	s_trap 2
	ds_read_b64 v[2:3], v0
	s_waitcnt lgkmcnt(0)
	buffer_gl0_inv
	v_add_co_u32 v70, vcc_lo, v70, v23
	v_add_co_ci_u32_e64 v71, null, 0, v71, vcc_lo
	s_mov_b32 s25, exec_lo
	v_cmpx_lt_u64_e64 v[2:3], v[70:71]
	s_cbranch_execz .LBB6_5866
; %bb.5858:                             ;   in Loop: Header=BB6_5827 Depth=1
	s_mov_b32 s26, 0
	s_mov_b32 s29, 0
                                        ; implicit-def: $sgpr27
                                        ; implicit-def: $sgpr28
	s_inst_prefetch 0x1
	s_branch .LBB6_5860
	.p2align	6
.LBB6_5859:                             ;   in Loop: Header=BB6_5860 Depth=2
	s_or_b32 exec_lo, exec_lo, s41
	s_and_b32 s40, exec_lo, s42
	s_or_b32 s26, s40, s26
	s_andn2_b32 s27, s27, exec_lo
	s_and_b32 s40, s28, exec_lo
	s_or_b32 s27, s27, s40
	s_andn2_b32 exec_lo, exec_lo, s26
	s_cbranch_execz .LBB6_5864
.LBB6_5860:                             ;   Parent Loop BB6_5827 Depth=1
                                        ; =>  This Inner Loop Header: Depth=2
	s_add_i32 s29, s29, 1
	s_cmpk_lg_i32 s29, 0x2710
	s_cselect_b32 s40, -1, 0
	s_and_b32 vcc_lo, exec_lo, s40
	s_cbranch_vccz .LBB6_5862
; %bb.5861:                             ;   in Loop: Header=BB6_5860 Depth=2
	s_mov_b32 s42, -1
	s_or_b32 s28, s28, exec_lo
	s_and_saveexec_b32 s41, s40
	s_cbranch_execz .LBB6_5859
	s_branch .LBB6_5863
	.p2align	6
.LBB6_5862:                             ;   in Loop: Header=BB6_5860 Depth=2
	s_trap 2
	ds_read_b64 v[2:3], v0
	s_andn2_b32 s40, s40, exec_lo
	s_mov_b32 s29, 0
	s_waitcnt lgkmcnt(0)
	flat_load_dword v2, v[2:3] glc dlc
	s_waitcnt vmcnt(0) lgkmcnt(0)
	buffer_gl1_inv
	buffer_gl0_inv
	v_cmp_eq_u32_e32 vcc_lo, 0, v2
	s_and_b32 s41, vcc_lo, exec_lo
	s_or_b32 s40, s40, s41
	s_mov_b32 s42, -1
	s_or_b32 s28, s28, exec_lo
	s_and_saveexec_b32 s41, s40
	s_cbranch_execz .LBB6_5859
.LBB6_5863:                             ;   in Loop: Header=BB6_5860 Depth=2
	s_sleep 1
	s_trap 2
	ds_read_b64 v[2:3], v0
	s_waitcnt lgkmcnt(0)
	buffer_gl0_inv
	s_andn2_b32 s28, s28, exec_lo
	v_cmp_ge_u64_e32 vcc_lo, v[2:3], v[70:71]
	s_orn2_b32 s42, vcc_lo, exec_lo
	s_branch .LBB6_5859
.LBB6_5864:                             ;   in Loop: Header=BB6_5827 Depth=1
	s_inst_prefetch 0x2
	s_or_b32 exec_lo, exec_lo, s26
	s_and_saveexec_b32 s26, s27
	s_xor_b32 s26, exec_lo, s26
	s_cbranch_execz .LBB6_5866
; %bb.5865:                             ;   in Loop: Header=BB6_5827 Depth=1
	ds_write_b32 v0, v33
	s_trap 2
.LBB6_5866:                             ;   in Loop: Header=BB6_5827 Depth=1
	s_or_b32 exec_lo, exec_lo, s25
	;;#ASMSTART
	s_wakeup
	;;#ASMEND
.LBB6_5867:                             ;   in Loop: Header=BB6_5827 Depth=1
	s_or_b32 exec_lo, exec_lo, s24
.LBB6_5868:                             ;   in Loop: Header=BB6_5827 Depth=1
	s_andn2_saveexec_b32 s14, s14
	s_cbranch_execz .LBB6_5870
; %bb.5869:                             ;   in Loop: Header=BB6_5827 Depth=1
	s_waitcnt vmcnt(0) lgkmcnt(0)
	s_waitcnt_vscnt null, 0x0
	buffer_gl1_inv
	buffer_gl0_inv
	s_barrier
.LBB6_5870:                             ;   in Loop: Header=BB6_5827 Depth=1
	s_or_b32 exec_lo, exec_lo, s14
.LBB6_5871:                             ;   in Loop: Header=BB6_5827 Depth=1
	s_or_b32 exec_lo, exec_lo, s13
	s_trap 2
	ds_read_b32 v2, v0
	v_and_b32_e32 v3, 0x4000, v117
	v_cmp_ne_u32_e32 vcc_lo, 0, v3
	s_and_b32 s14, s21, vcc_lo
	s_and_saveexec_b32 s13, s14
	s_cbranch_execz .LBB6_5890
; %bb.5872:                             ;   in Loop: Header=BB6_5827 Depth=1
	s_and_saveexec_b32 s14, s19
	s_xor_b32 s14, exec_lo, s14
	s_cbranch_execz .LBB6_5887
; %bb.5873:                             ;   in Loop: Header=BB6_5827 Depth=1
	s_and_saveexec_b32 s24, s10
	s_cbranch_execz .LBB6_5886
; %bb.5874:                             ;   in Loop: Header=BB6_5827 Depth=1
	s_mov_b32 s26, exec_lo
	s_mov_b32 s25, exec_lo
	v_mbcnt_lo_u32_b32 v3, s26, 0
	s_waitcnt vmcnt(0) lgkmcnt(0)
	s_waitcnt_vscnt null, 0x0
	buffer_gl1_inv
	buffer_gl0_inv
	v_cmpx_eq_u32_e32 0, v3
	s_cbranch_execz .LBB6_5876
; %bb.5875:                             ;   in Loop: Header=BB6_5827 Depth=1
	s_bcnt1_i32_b32 s26, s26
	v_mov_b32_e32 v16, v11
	v_mov_b32_e32 v15, s26
	ds_add_u64 v0, v[15:16]
	s_trap 2
.LBB6_5876:                             ;   in Loop: Header=BB6_5827 Depth=1
	s_or_b32 exec_lo, exec_lo, s25
	s_trap 2
	ds_read_b64 v[15:16], v0
	s_waitcnt lgkmcnt(0)
	buffer_gl0_inv
	v_add_co_u32 v70, vcc_lo, v70, v23
	v_add_co_ci_u32_e64 v71, null, 0, v71, vcc_lo
	s_mov_b32 s25, exec_lo
	v_cmpx_lt_u64_e64 v[15:16], v[70:71]
	s_cbranch_execz .LBB6_5885
; %bb.5877:                             ;   in Loop: Header=BB6_5827 Depth=1
	s_mov_b32 s26, 0
	s_mov_b32 s29, 0
                                        ; implicit-def: $sgpr27
                                        ; implicit-def: $sgpr28
	s_inst_prefetch 0x1
	s_branch .LBB6_5879
	.p2align	6
.LBB6_5878:                             ;   in Loop: Header=BB6_5879 Depth=2
	s_or_b32 exec_lo, exec_lo, s41
	s_and_b32 s40, exec_lo, s42
	s_or_b32 s26, s40, s26
	s_andn2_b32 s27, s27, exec_lo
	s_and_b32 s40, s28, exec_lo
	s_or_b32 s27, s27, s40
	s_andn2_b32 exec_lo, exec_lo, s26
	s_cbranch_execz .LBB6_5883
.LBB6_5879:                             ;   Parent Loop BB6_5827 Depth=1
                                        ; =>  This Inner Loop Header: Depth=2
	s_add_i32 s29, s29, 1
	s_cmpk_lg_i32 s29, 0x2710
	s_cselect_b32 s40, -1, 0
	s_and_b32 vcc_lo, exec_lo, s40
	s_cbranch_vccz .LBB6_5881
; %bb.5880:                             ;   in Loop: Header=BB6_5879 Depth=2
	s_mov_b32 s42, -1
	s_or_b32 s28, s28, exec_lo
	s_and_saveexec_b32 s41, s40
	s_cbranch_execz .LBB6_5878
	s_branch .LBB6_5882
	.p2align	6
.LBB6_5881:                             ;   in Loop: Header=BB6_5879 Depth=2
	s_trap 2
	ds_read_b64 v[15:16], v0
	s_andn2_b32 s40, s40, exec_lo
	s_mov_b32 s29, 0
	s_waitcnt lgkmcnt(0)
	flat_load_dword v3, v[15:16] glc dlc
	s_waitcnt vmcnt(0) lgkmcnt(0)
	buffer_gl1_inv
	buffer_gl0_inv
	v_cmp_eq_u32_e32 vcc_lo, 0, v3
	s_and_b32 s41, vcc_lo, exec_lo
	s_or_b32 s40, s40, s41
	s_mov_b32 s42, -1
	s_or_b32 s28, s28, exec_lo
	s_and_saveexec_b32 s41, s40
	s_cbranch_execz .LBB6_5878
.LBB6_5882:                             ;   in Loop: Header=BB6_5879 Depth=2
	s_sleep 1
	s_trap 2
	ds_read_b64 v[15:16], v0
	s_waitcnt lgkmcnt(0)
	buffer_gl0_inv
	s_andn2_b32 s28, s28, exec_lo
	v_cmp_ge_u64_e32 vcc_lo, v[15:16], v[70:71]
	s_orn2_b32 s42, vcc_lo, exec_lo
	s_branch .LBB6_5878
.LBB6_5883:                             ;   in Loop: Header=BB6_5827 Depth=1
	s_inst_prefetch 0x2
	s_or_b32 exec_lo, exec_lo, s26
	s_and_saveexec_b32 s26, s27
	s_xor_b32 s26, exec_lo, s26
	s_cbranch_execz .LBB6_5885
; %bb.5884:                             ;   in Loop: Header=BB6_5827 Depth=1
	ds_write_b32 v0, v33
	s_trap 2
.LBB6_5885:                             ;   in Loop: Header=BB6_5827 Depth=1
	s_or_b32 exec_lo, exec_lo, s25
	;;#ASMSTART
	s_wakeup
	;;#ASMEND
.LBB6_5886:                             ;   in Loop: Header=BB6_5827 Depth=1
	s_or_b32 exec_lo, exec_lo, s24
.LBB6_5887:                             ;   in Loop: Header=BB6_5827 Depth=1
	s_andn2_saveexec_b32 s14, s14
	s_cbranch_execz .LBB6_5889
; %bb.5888:                             ;   in Loop: Header=BB6_5827 Depth=1
	s_waitcnt vmcnt(0) lgkmcnt(0)
	s_waitcnt_vscnt null, 0x0
	buffer_gl1_inv
	buffer_gl0_inv
	s_barrier
.LBB6_5889:                             ;   in Loop: Header=BB6_5827 Depth=1
	s_or_b32 exec_lo, exec_lo, s14
.LBB6_5890:                             ;   in Loop: Header=BB6_5827 Depth=1
	s_or_b32 exec_lo, exec_lo, s13
	s_trap 2
	ds_read_b64 v[15:16], v0
	s_waitcnt lgkmcnt(0)
	v_cmp_eq_u64_e32 vcc_lo, 0, v[15:16]
	s_cbranch_vccnz .LBB6_5898
; %bb.5891:                             ;   in Loop: Header=BB6_5827 Depth=1
	s_trap 2
	ds_read_b64 v[17:18], v0
	s_waitcnt lgkmcnt(0)
	v_cmp_eq_u64_e32 vcc_lo, 0, v[17:18]
	s_cbranch_vccnz .LBB6_5898
; %bb.5892:                             ;   in Loop: Header=BB6_5827 Depth=1
	s_mov_b32 s13, -1
	s_and_saveexec_b32 s14, s11
	s_cbranch_execz .LBB6_5894
; %bb.5893:                             ;   in Loop: Header=BB6_5827 Depth=1
	ds_read_b32 v3, v0 offset:720
	s_waitcnt lgkmcnt(0)
	v_and_b32_e32 v3, 15, v3
	v_cmp_eq_u32_e32 vcc_lo, 0, v3
	s_orn2_b32 s13, vcc_lo, exec_lo
.LBB6_5894:                             ;   in Loop: Header=BB6_5827 Depth=1
	s_or_b32 exec_lo, exec_lo, s14
	s_and_saveexec_b32 s14, s12
	s_cbranch_execz .LBB6_5896
; %bb.5895:                             ;   in Loop: Header=BB6_5827 Depth=1
	ds_read_b32 v3, v0 offset:784
	s_waitcnt lgkmcnt(0)
	v_and_b32_e32 v3, 15, v3
	v_cmp_eq_u32_e32 vcc_lo, 0, v3
	s_and_b32 s24, s13, vcc_lo
	s_andn2_b32 s13, s13, exec_lo
	s_and_b32 s24, s24, exec_lo
	s_or_b32 s13, s13, s24
.LBB6_5896:                             ;   in Loop: Header=BB6_5827 Depth=1
	s_or_b32 exec_lo, exec_lo, s14
	v_cmp_eq_u32_e32 vcc_lo, 0, v2
	s_xor_b32 s13, s13, -1
	v_mov_b32_e32 v2, 0
	v_cndmask_b32_e64 v3, 0, 1, s13
	v_mov_b32_e32 v19, v0
	v_cndmask_b32_e32 v34, 0, v10, vcc_lo
	v_mov_b32_e32 v22, v25
	s_mov_b32 s13, -1
	v_cmp_ne_u32_e32 vcc_lo, 0, v3
	v_mov_b32_e32 v3, v34
	s_cbranch_vccz .LBB6_5899
; %bb.5897:                             ;   in Loop: Header=BB6_5827 Depth=1
	s_and_saveexec_b32 s14, s13
	s_cbranch_execnz .LBB6_5912
	s_branch .LBB6_5920
.LBB6_5898:                             ;   in Loop: Header=BB6_5827 Depth=1
	s_mov_b32 s13, 0
	s_and_saveexec_b32 s14, s6
	s_cbranch_execnz .LBB6_5921
	s_branch .LBB6_5939
.LBB6_5899:                             ;   in Loop: Header=BB6_5827 Depth=1
	v_lshrrev_b32_e32 v2, 12, v34
	s_mov_b32 s14, exec_lo
	v_sub_nc_u32_e32 v35, v2, v25
	v_cmpx_lt_i32_e32 0, v35
	s_cbranch_execz .LBB6_5903
; %bb.5900:                             ;   in Loop: Header=BB6_5827 Depth=1
	v_mov_b32_e32 v20, v18
	v_mov_b32_e32 v22, v16
	;; [unrolled: 1-line block ×4, first 2 shown]
	s_mov_b32 s24, 0
.LBB6_5901:                             ;   Parent Loop BB6_5827 Depth=1
                                        ; =>  This Inner Loop Header: Depth=2
	v_add_co_u32 v2, vcc_lo, v28, v21
	v_add_co_ci_u32_e64 v3, null, v32, v22, vcc_lo
	v_sub_nc_u32_e32 v35, v35, v23
	v_add_co_u32 v44, vcc_lo, 0x800, v2
	v_add_co_ci_u32_e64 v45, null, 0, v3, vcc_lo
	s_clause 0x3
	global_load_dwordx4 v[36:39], v[2:3], off slc
	global_load_dwordx4 v[48:51], v[2:3], off offset:512 slc
	global_load_dwordx4 v[84:87], v[2:3], off offset:1024 slc
	;; [unrolled: 1-line block ×3, first 2 shown]
	s_clause 0x3
	global_load_dwordx4 v[100:103], v[44:45], off slc
	global_load_dwordx4 v[112:115], v[44:45], off offset:512 slc
	global_load_dwordx4 v[40:43], v[44:45], off offset:1024 slc
	;; [unrolled: 1-line block ×3, first 2 shown]
	v_add_co_u32 v2, vcc_lo, v28, v19
	v_add_co_ci_u32_e64 v3, null, v32, v20, vcc_lo
	v_add_co_u32 v21, vcc_lo, v21, v27
	v_add_co_ci_u32_e64 v22, null, 0, v22, vcc_lo
	;; [unrolled: 2-line block ×3, first 2 shown]
	v_cmp_gt_i32_e32 vcc_lo, 1, v35
	v_add_co_u32 v56, s13, 0x800, v2
	v_add_co_ci_u32_e64 v57, null, 0, v3, s13
	s_or_b32 s24, vcc_lo, s24
	s_waitcnt vmcnt(7)
	global_store_dwordx4 v[2:3], v[36:39], off glc slc
	s_waitcnt vmcnt(6)
	global_store_dwordx4 v[2:3], v[48:51], off offset:512 glc slc
	s_waitcnt vmcnt(5)
	global_store_dwordx4 v[2:3], v[84:87], off offset:1024 glc slc
	;; [unrolled: 2-line block ×3, first 2 shown]
	s_waitcnt vmcnt(3)
	global_store_dwordx4 v[56:57], v[100:103], off glc slc
	s_waitcnt vmcnt(2)
	global_store_dwordx4 v[56:57], v[112:115], off offset:512 glc slc
	s_waitcnt vmcnt(1)
	global_store_dwordx4 v[56:57], v[40:43], off offset:1024 glc slc
	;; [unrolled: 2-line block ×3, first 2 shown]
	s_andn2_b32 exec_lo, exec_lo, s24
	s_cbranch_execnz .LBB6_5901
; %bb.5902:                             ;   in Loop: Header=BB6_5827 Depth=1
	s_or_b32 exec_lo, exec_lo, s24
.LBB6_5903:                             ;   in Loop: Header=BB6_5827 Depth=1
	s_or_b32 exec_lo, exec_lo, s14
	v_and_b32_e32 v36, 0x3ffff000, v34
	v_mov_b32_e32 v2, 0
	s_mov_b32 s13, 0
	s_mov_b32 s24, exec_lo
                                        ; implicit-def: $vgpr3
                                        ; implicit-def: $vgpr19
                                        ; implicit-def: $vgpr22
	v_cmpx_ne_u32_e64 v34, v36
	s_cbranch_execz .LBB6_5911
; %bb.5904:                             ;   in Loop: Header=BB6_5827 Depth=1
	v_lshlrev_b32_e32 v2, 5, v35
	v_bfe_u32 v35, v34, 9, 3
	v_and_b32_e32 v22, 0xfff, v34
	s_mov_b32 s25, exec_lo
	v_sub_nc_u32_e32 v2, v26, v2
	v_ashrrev_i32_e32 v3, 31, v2
	v_lshrrev_b32_e32 v3, 27, v3
	v_add_nc_u32_e32 v3, v2, v3
	v_and_b32_e32 v19, 0xffffffe0, v3
	v_ashrrev_i32_e32 v21, 5, v3
	v_sub_nc_u32_e32 v20, v2, v19
	v_and_b32_e32 v2, 0x1ff, v34
	v_lshlrev_b32_e32 v3, 4, v20
	v_cmp_lt_u32_e32 vcc_lo, 15, v2
	v_lshl_add_u32 v19, v21, 9, v3
	v_add_co_ci_u32_e64 v35, null, 0, v35, vcc_lo
	v_sub_nc_u32_e32 v3, v22, v19
	v_sub_nc_u32_e32 v21, v35, v21
	v_cmpx_lt_i32_e32 15, v3
	s_cbranch_execz .LBB6_5908
; %bb.5905:                             ;   in Loop: Header=BB6_5827 Depth=1
	v_add_nc_u32_e32 v19, v19, v36
	s_mov_b32 s26, 0
	v_ashrrev_i32_e32 v22, 31, v19
	.p2align	6
.LBB6_5906:                             ;   Parent Loop BB6_5827 Depth=1
                                        ; =>  This Inner Loop Header: Depth=2
	v_add_co_u32 v35, s13, v15, v19
	v_add_co_ci_u32_e64 v36, null, v16, v22, s13
	v_sub_nc_u32_e32 v3, v3, v29
	v_add_co_u32 v48, s13, v17, v19
	global_load_dwordx4 v[35:38], v[35:36], off slc
	v_add_co_ci_u32_e64 v49, null, v18, v22, s13
	v_cmp_gt_i32_e64 s13, 16, v3
	v_add_co_u32 v19, s14, v19, v29
	v_sub_nc_u32_e32 v21, v21, v23
	v_add_co_ci_u32_e64 v22, null, 0, v22, s14
	s_or_b32 s26, s13, s26
	s_waitcnt vmcnt(0)
	global_store_dwordx4 v[48:49], v[35:38], off glc slc
	s_andn2_b32 exec_lo, exec_lo, s26
	s_cbranch_execnz .LBB6_5906
; %bb.5907:                             ;   in Loop: Header=BB6_5827 Depth=1
	s_or_b32 exec_lo, exec_lo, s26
.LBB6_5908:                             ;   in Loop: Header=BB6_5827 Depth=1
	s_or_b32 exec_lo, exec_lo, s25
	v_and_b32_e32 v3, 15, v34
	s_mov_b32 s14, 0
	s_mov_b32 s25, exec_lo
                                        ; implicit-def: $vgpr19
                                        ; implicit-def: $vgpr22
	v_cndmask_b32_e32 v3, v2, v3, vcc_lo
	v_mov_b32_e32 v2, 0
	v_cmpx_ne_u32_e32 0, v3
	s_cbranch_execz .LBB6_5910
; %bb.5909:                             ;   in Loop: Header=BB6_5827 Depth=1
	v_cmp_lt_i32_e64 s13, 0, v21
	s_mov_b32 s14, exec_lo
	v_cndmask_b32_e64 v2, 0, v23, s13
	v_sub_nc_u32_e32 v2, v2, v21
	v_lshl_add_u32 v19, v2, 5, v20
	v_and_b32_e32 v20, 0x1f0, v34
	v_ashrrev_i32_e32 v2, 31, v19
	v_cndmask_b32_e32 v20, 0, v20, vcc_lo
	v_lshrrev_b32_e32 v2, 27, v2
	v_add_nc_u32_e32 v21, v19, v2
	v_and_or_b32 v2, 0x3ffffe00, v34, v20
	v_ashrrev_i32_e32 v22, 5, v21
.LBB6_5910:                             ;   in Loop: Header=BB6_5827 Depth=1
	s_or_b32 exec_lo, exec_lo, s25
	s_and_b32 s13, s14, exec_lo
.LBB6_5911:                             ;   in Loop: Header=BB6_5827 Depth=1
	s_or_b32 exec_lo, exec_lo, s24
	s_and_saveexec_b32 s14, s13
	s_cbranch_execz .LBB6_5920
.LBB6_5912:                             ;   in Loop: Header=BB6_5827 Depth=1
	v_lshrrev_b32_e32 v20, 10, v3
	v_ashrrev_i32_e32 v21, 31, v19
	s_mov_b32 s13, exec_lo
	v_sub_nc_u32_e32 v20, v20, v22
	v_lshrrev_b32_e32 v21, 27, v21
	v_cmpx_lt_i32_e32 0, v20
	s_cbranch_execz .LBB6_5916
; %bb.5913:                             ;   in Loop: Header=BB6_5827 Depth=1
	v_add_nc_u32_e32 v35, v19, v21
	v_lshlrev_b32_e32 v22, 10, v22
	s_mov_b32 s24, 0
	v_and_b32_e32 v35, 0xffffffe0, v35
	v_sub_nc_u32_e32 v35, v19, v35
	v_add3_u32 v22, v2, v35, v22
	v_ashrrev_i32_e32 v35, 31, v22
.LBB6_5914:                             ;   Parent Loop BB6_5827 Depth=1
                                        ; =>  This Inner Loop Header: Depth=2
	v_add_co_u32 v36, vcc_lo, v22, v15
	v_add_co_ci_u32_e64 v37, null, v35, v16, vcc_lo
	v_sub_nc_u32_e32 v20, v20, v23
	s_clause 0x1f
	flat_load_ubyte v38, v[36:37] slc
	flat_load_ubyte v39, v[36:37] offset:32 slc
	flat_load_ubyte v48, v[36:37] offset:64 slc
	;; [unrolled: 1-line block ×31, first 2 shown]
	v_add_co_u32 v36, vcc_lo, v22, v17
	v_add_co_ci_u32_e64 v37, null, v35, v18, vcc_lo
	v_add_co_u32 v15, vcc_lo, v15, v30
	v_add_co_ci_u32_e64 v16, null, 0, v16, vcc_lo
	;; [unrolled: 2-line block ×3, first 2 shown]
	v_cmp_gt_i32_e32 vcc_lo, 1, v20
	s_waitcnt vmcnt(31) lgkmcnt(31)
	flat_store_byte v[36:37], v38 glc slc
	s_waitcnt vmcnt(30) lgkmcnt(31)
	flat_store_byte v[36:37], v39 offset:32 glc slc
	s_waitcnt vmcnt(29) lgkmcnt(31)
	flat_store_byte v[36:37], v48 offset:64 glc slc
	;; [unrolled: 2-line block ×31, first 2 shown]
	s_or_b32 s24, vcc_lo, s24
	s_andn2_b32 exec_lo, exec_lo, s24
	s_cbranch_execnz .LBB6_5914
; %bb.5915:                             ;   in Loop: Header=BB6_5827 Depth=1
	s_or_b32 exec_lo, exec_lo, s24
.LBB6_5916:                             ;   in Loop: Header=BB6_5827 Depth=1
	s_or_b32 exec_lo, exec_lo, s13
	v_and_b32_e32 v17, 0xfffffc00, v3
	v_cmp_ne_u32_e32 vcc_lo, v3, v17
	s_and_b32 exec_lo, exec_lo, vcc_lo
	s_cbranch_execz .LBB6_5920
; %bb.5917:                             ;   in Loop: Header=BB6_5827 Depth=1
	v_add_nc_u32_e32 v15, v19, v21
	v_lshlrev_b32_e32 v16, 5, v20
	v_and_b32_e32 v3, 0x3ff, v3
	v_and_b32_e32 v15, 0xffffffe0, v15
	v_sub_nc_u32_e32 v15, v19, v15
	v_sub_nc_u32_e32 v18, v15, v16
	v_sub_nc_u32_e32 v3, v3, v18
	v_cmp_lt_i32_e32 vcc_lo, 0, v3
	s_and_b32 exec_lo, exec_lo, vcc_lo
	s_cbranch_execz .LBB6_5920
; %bb.5918:                             ;   in Loop: Header=BB6_5827 Depth=1
	s_trap 2
	ds_read_b64 v[15:16], v0
	v_add3_u32 v2, v17, v2, v18
	s_mov_b32 s24, 0
	v_ashrrev_i32_e32 v17, 31, v2
	.p2align	6
.LBB6_5919:                             ;   Parent Loop BB6_5827 Depth=1
                                        ; =>  This Inner Loop Header: Depth=2
	s_waitcnt lgkmcnt(0)
	v_add_co_u32 v18, vcc_lo, v15, v2
	v_add_co_ci_u32_e64 v19, null, v16, v17, vcc_lo
	v_sub_nc_u32_e32 v3, v3, v24
	v_add_co_u32 v2, s13, v2, v24
	flat_load_ubyte v20, v[18:19] slc
	v_add_co_ci_u32_e64 v17, null, 0, v17, s13
	v_cmp_gt_i32_e32 vcc_lo, 1, v3
	s_or_b32 s24, vcc_lo, s24
	s_waitcnt vmcnt(0) lgkmcnt(0)
	flat_store_byte v[18:19], v20 glc slc
	s_andn2_b32 exec_lo, exec_lo, s24
	s_cbranch_execnz .LBB6_5919
.LBB6_5920:                             ;   in Loop: Header=BB6_5827 Depth=1
	s_or_b32 exec_lo, exec_lo, s14
	v_cmp_ne_u32_e64 s13, 0, v34
	s_and_saveexec_b32 s14, s6
	s_cbranch_execz .LBB6_5939
.LBB6_5921:                             ;   in Loop: Header=BB6_5827 Depth=1
	s_and_saveexec_b32 s24, s19
	s_xor_b32 s24, exec_lo, s24
	s_cbranch_execz .LBB6_5936
; %bb.5922:                             ;   in Loop: Header=BB6_5827 Depth=1
	s_and_saveexec_b32 s25, s10
	s_cbranch_execz .LBB6_5935
; %bb.5923:                             ;   in Loop: Header=BB6_5827 Depth=1
	s_mov_b32 s27, exec_lo
	s_mov_b32 s26, exec_lo
	v_mbcnt_lo_u32_b32 v2, s27, 0
	s_waitcnt vmcnt(0) lgkmcnt(0)
	s_waitcnt_vscnt null, 0x0
	buffer_gl1_inv
	buffer_gl0_inv
	v_cmpx_eq_u32_e32 0, v2
	s_cbranch_execz .LBB6_5925
; %bb.5924:                             ;   in Loop: Header=BB6_5827 Depth=1
	s_bcnt1_i32_b32 s27, s27
	v_mov_b32_e32 v3, v11
	v_mov_b32_e32 v2, s27
	ds_add_u64 v0, v[2:3]
	s_trap 2
.LBB6_5925:                             ;   in Loop: Header=BB6_5827 Depth=1
	s_or_b32 exec_lo, exec_lo, s26
	s_trap 2
	ds_read_b64 v[2:3], v0
	s_waitcnt lgkmcnt(0)
	buffer_gl0_inv
	v_add_co_u32 v70, vcc_lo, v70, v23
	v_add_co_ci_u32_e64 v71, null, 0, v71, vcc_lo
	s_mov_b32 s26, exec_lo
	v_cmpx_lt_u64_e64 v[2:3], v[70:71]
	s_cbranch_execz .LBB6_5934
; %bb.5926:                             ;   in Loop: Header=BB6_5827 Depth=1
	s_mov_b32 s27, 0
	s_mov_b32 s40, 0
                                        ; implicit-def: $sgpr28
                                        ; implicit-def: $sgpr29
	s_inst_prefetch 0x1
	s_branch .LBB6_5928
	.p2align	6
.LBB6_5927:                             ;   in Loop: Header=BB6_5928 Depth=2
	s_or_b32 exec_lo, exec_lo, s42
	s_and_b32 s41, exec_lo, s43
	s_or_b32 s27, s41, s27
	s_andn2_b32 s28, s28, exec_lo
	s_and_b32 s41, s29, exec_lo
	s_or_b32 s28, s28, s41
	s_andn2_b32 exec_lo, exec_lo, s27
	s_cbranch_execz .LBB6_5932
.LBB6_5928:                             ;   Parent Loop BB6_5827 Depth=1
                                        ; =>  This Inner Loop Header: Depth=2
	s_add_i32 s40, s40, 1
	s_cmpk_lg_i32 s40, 0x2710
	s_cselect_b32 s41, -1, 0
	s_and_b32 vcc_lo, exec_lo, s41
	s_cbranch_vccz .LBB6_5930
; %bb.5929:                             ;   in Loop: Header=BB6_5928 Depth=2
	s_mov_b32 s43, -1
	s_or_b32 s29, s29, exec_lo
	s_and_saveexec_b32 s42, s41
	s_cbranch_execz .LBB6_5927
	s_branch .LBB6_5931
	.p2align	6
.LBB6_5930:                             ;   in Loop: Header=BB6_5928 Depth=2
	s_trap 2
	ds_read_b64 v[2:3], v0
	s_andn2_b32 s41, s41, exec_lo
	s_mov_b32 s40, 0
	s_waitcnt lgkmcnt(0)
	flat_load_dword v2, v[2:3] glc dlc
	s_waitcnt vmcnt(0) lgkmcnt(0)
	buffer_gl1_inv
	buffer_gl0_inv
	v_cmp_eq_u32_e32 vcc_lo, 0, v2
	s_and_b32 s42, vcc_lo, exec_lo
	s_or_b32 s41, s41, s42
	s_mov_b32 s43, -1
	s_or_b32 s29, s29, exec_lo
	s_and_saveexec_b32 s42, s41
	s_cbranch_execz .LBB6_5927
.LBB6_5931:                             ;   in Loop: Header=BB6_5928 Depth=2
	s_sleep 1
	s_trap 2
	ds_read_b64 v[2:3], v0
	s_waitcnt lgkmcnt(0)
	buffer_gl0_inv
	s_andn2_b32 s29, s29, exec_lo
	v_cmp_ge_u64_e32 vcc_lo, v[2:3], v[70:71]
	s_orn2_b32 s43, vcc_lo, exec_lo
	s_branch .LBB6_5927
.LBB6_5932:                             ;   in Loop: Header=BB6_5827 Depth=1
	s_inst_prefetch 0x2
	s_or_b32 exec_lo, exec_lo, s27
	s_and_saveexec_b32 s27, s28
	s_xor_b32 s27, exec_lo, s27
	s_cbranch_execz .LBB6_5934
; %bb.5933:                             ;   in Loop: Header=BB6_5827 Depth=1
	ds_write_b32 v0, v33
	s_trap 2
.LBB6_5934:                             ;   in Loop: Header=BB6_5827 Depth=1
	s_or_b32 exec_lo, exec_lo, s26
	;;#ASMSTART
	s_wakeup
	;;#ASMEND
.LBB6_5935:                             ;   in Loop: Header=BB6_5827 Depth=1
	s_or_b32 exec_lo, exec_lo, s25
.LBB6_5936:                             ;   in Loop: Header=BB6_5827 Depth=1
	s_andn2_saveexec_b32 s24, s24
	s_cbranch_execz .LBB6_5938
; %bb.5937:                             ;   in Loop: Header=BB6_5827 Depth=1
	s_waitcnt vmcnt(0) lgkmcnt(0)
	s_waitcnt_vscnt null, 0x0
	buffer_gl1_inv
	buffer_gl0_inv
	s_barrier
.LBB6_5938:                             ;   in Loop: Header=BB6_5827 Depth=1
	s_or_b32 exec_lo, exec_lo, s24
.LBB6_5939:                             ;   in Loop: Header=BB6_5827 Depth=1
	s_or_b32 exec_lo, exec_lo, s14
	v_and_b32_e32 v2, 16, v117
	v_cmp_ne_u32_e32 vcc_lo, 0, v2
	s_and_b32 s14, vcc_lo, s13
	s_and_saveexec_b32 s13, s14
	s_cbranch_execz .LBB6_5941
; %bb.5940:                             ;   in Loop: Header=BB6_5827 Depth=1
	s_waitcnt vmcnt(0) lgkmcnt(0)
	s_waitcnt_vscnt null, 0x0
	buffer_gl1_inv
	buffer_gl0_inv
.LBB6_5941:                             ;   in Loop: Header=BB6_5827 Depth=1
	s_or_b32 exec_lo, exec_lo, s13
	s_mov_b32 s13, exec_lo
	v_cmpx_ne_u32_e32 0, v2
	s_cbranch_execz .LBB6_5945
; %bb.5942:                             ;   in Loop: Header=BB6_5827 Depth=1
	s_and_saveexec_b32 s14, s7
	s_cbranch_execz .LBB6_5944
; %bb.5943:                             ;   in Loop: Header=BB6_5827 Depth=1
	s_waitcnt vmcnt(0) lgkmcnt(0)
	s_waitcnt_vscnt null, 0x0
	flat_store_dword v[82:83], v33
.LBB6_5944:                             ;   in Loop: Header=BB6_5827 Depth=1
	s_or_b32 exec_lo, exec_lo, s14
	v_add_co_u32 v8, vcc_lo, v8, 1
	v_add_co_ci_u32_e64 v9, null, 0, v9, vcc_lo
	s_waitcnt vmcnt(0) lgkmcnt(0)
	s_waitcnt_vscnt null, 0x0
	flat_store_dwordx2 v[64:65], v[8:9]
.LBB6_5945:                             ;   in Loop: Header=BB6_5827 Depth=1
	s_or_b32 exec_lo, exec_lo, s13
	v_mov_b32_e32 v2, v10
.LBB6_5946:                             ;   in Loop: Header=BB6_5827 Depth=1
	s_or_b32 exec_lo, exec_lo, s23
	s_and_saveexec_b32 s14, s22
	s_cbranch_execz .LBB6_5826
; %bb.5947:                             ;   in Loop: Header=BB6_5827 Depth=1
	v_sub_nc_u32_e32 v2, v14, v2
	v_and_b32_e32 v3, 8, v117
	s_mov_b32 s22, exec_lo
	v_min_i32_e32 v14, v10, v2
	v_cmpx_ne_u32_e32 0, v3
	s_cbranch_execz .LBB6_5969
; %bb.5948:                             ;   in Loop: Header=BB6_5827 Depth=1
	s_waitcnt vmcnt(0)
	v_add_co_u32 v2, vcc_lo, v68, 8
	v_add_co_ci_u32_e64 v3, null, 0, v69, vcc_lo
	s_waitcnt lgkmcnt(0)
	v_add_co_u32 v16, vcc_lo, v8, 1
	v_add_co_ci_u32_e64 v17, null, 0, v9, vcc_lo
	s_mov_b32 s23, exec_lo
	v_cmpx_lt_u64_e64 v[2:3], v[16:17]
	s_cbranch_execz .LBB6_5960
; %bb.5949:                             ;   in Loop: Header=BB6_5827 Depth=1
	v_and_b32_e32 v2, 64, v117
	s_mov_b32 s24, 0
	s_mov_b32 s28, 0
                                        ; implicit-def: $sgpr25
                                        ; implicit-def: $sgpr26
                                        ; implicit-def: $sgpr27
	v_cmp_eq_u32_e32 vcc_lo, 0, v2
	s_branch .LBB6_5953
.LBB6_5950:                             ;   in Loop: Header=BB6_5953 Depth=2
	s_waitcnt vmcnt(0) lgkmcnt(0)
	v_add_co_u32 v9, s13, v68, 8
	v_add_co_ci_u32_e64 v10, null, 0, v69, s13
	s_or_b32 s41, s41, exec_lo
	v_cmp_ge_u64_e64 s13, v[9:10], v[16:17]
	s_orn2_b32 s40, s13, exec_lo
.LBB6_5951:                             ;   in Loop: Header=BB6_5953 Depth=2
	s_or_b32 exec_lo, exec_lo, s43
	s_andn2_b32 s13, s27, exec_lo
	s_and_b32 s27, s41, exec_lo
	s_andn2_b32 s26, s26, exec_lo
	s_and_b32 s40, s40, exec_lo
	s_or_b32 s27, s13, s27
	s_or_b32 s26, s26, s40
.LBB6_5952:                             ;   in Loop: Header=BB6_5953 Depth=2
	s_or_b32 exec_lo, exec_lo, s29
	s_and_b32 s13, exec_lo, s26
	s_or_b32 s24, s13, s24
	s_andn2_b32 s13, s25, exec_lo
	s_and_b32 s25, s27, exec_lo
	s_or_b32 s25, s13, s25
	s_andn2_b32 exec_lo, exec_lo, s24
	s_cbranch_execz .LBB6_5957
.LBB6_5953:                             ;   Parent Loop BB6_5827 Depth=1
                                        ; =>  This Inner Loop Header: Depth=2
	s_sleep 1
	s_waitcnt vmcnt(0) lgkmcnt(0)
	flat_load_dwordx2 v[68:69], v[64:65] glc dlc
	s_or_b32 s27, s27, exec_lo
	s_or_b32 s26, s26, exec_lo
                                        ; implicit-def: $vgpr2
	s_and_saveexec_b32 s29, vcc_lo
	s_cbranch_execz .LBB6_5952
; %bb.5954:                             ;   in Loop: Header=BB6_5953 Depth=2
	s_cmpk_lt_i32 s28, 0x270f
	s_mov_b32 s40, -1
	s_cselect_b32 s42, -1, 0
	s_cmpk_gt_i32 s28, 0x270e
	s_cbranch_scc0 .LBB6_5956
; %bb.5955:                             ;   in Loop: Header=BB6_5953 Depth=2
	s_trap 2
	ds_read_b64 v[2:3], v0
	s_andn2_b32 s28, s42, exec_lo
	s_mov_b32 s41, 0
	s_waitcnt vmcnt(0) lgkmcnt(0)
	s_waitcnt_vscnt null, 0x0
	flat_load_dword v2, v[2:3] glc dlc
	s_waitcnt vmcnt(0) lgkmcnt(0)
	buffer_gl1_inv
	buffer_gl0_inv
	v_cmp_eq_u32_e64 s13, 0, v2
	s_and_b32 s13, s13, exec_lo
	s_or_b32 s42, s28, s13
	s_mov_b32 s28, 0
	s_and_saveexec_b32 s43, s42
	s_cbranch_execz .LBB6_5951
	s_branch .LBB6_5950
.LBB6_5956:                             ;   in Loop: Header=BB6_5953 Depth=2
	s_add_i32 s28, s28, 1
	s_mov_b32 s41, -1
                                        ; implicit-def: $vgpr2
	s_and_saveexec_b32 s43, s42
	s_cbranch_execz .LBB6_5951
	s_branch .LBB6_5950
.LBB6_5957:                             ;   in Loop: Header=BB6_5827 Depth=1
	s_or_b32 exec_lo, exec_lo, s24
	s_xor_b32 s13, s25, -1
	s_and_saveexec_b32 s24, s13
	s_xor_b32 s13, exec_lo, s24
	s_cbranch_execz .LBB6_5959
; %bb.5958:                             ;   in Loop: Header=BB6_5827 Depth=1
	v_or_b32_e32 v117, 64, v117
	s_waitcnt vmcnt(0) lgkmcnt(0)
	s_waitcnt_vscnt null, 0x0
	ds_write_b32 v0, v2
	s_trap 2
.LBB6_5959:                             ;   in Loop: Header=BB6_5827 Depth=1
	s_or_b32 exec_lo, exec_lo, s13
.LBB6_5960:                             ;   in Loop: Header=BB6_5827 Depth=1
	s_or_b32 exec_lo, exec_lo, s23
	v_and_b32_e32 v2, 0x100, v117
	s_mov_b32 s13, -1
	;;#ASMSTART
	s_wakeup
	;;#ASMEND
	v_cmp_ne_u32_e32 vcc_lo, 0, v2
	v_and_b32_e32 v2, 7, v8
                                        ; implicit-def: $vgpr8_vgpr9
	s_and_saveexec_b32 s23, vcc_lo
	s_cbranch_execz .LBB6_5964
; %bb.5961:                             ;   in Loop: Header=BB6_5827 Depth=1
	v_mad_u64_u32 v[18:19], null, v2, 24, v[6:7]
	v_ashrrev_i32_e32 v15, 31, v14
	s_mov_b32 s24, exec_lo
                                        ; implicit-def: $vgpr8_vgpr9
	flat_load_dword v3, v[18:19]
	flat_store_dwordx2 v[18:19], v[14:15] offset:8
	s_waitcnt vmcnt(0) lgkmcnt(1)
	v_cmp_ne_u32_e32 vcc_lo, 1, v3
	v_cmpx_eq_u32_e32 1, v3
	s_cbranch_execz .LBB6_5963
; %bb.5962:                             ;   in Loop: Header=BB6_5827 Depth=1
	flat_load_dword v8, v[18:19] offset:4 glc dlc
	s_waitcnt vmcnt(0) lgkmcnt(0)
	v_ashrrev_i32_e32 v9, 31, v8
.LBB6_5963:                             ;   in Loop: Header=BB6_5827 Depth=1
	s_or_b32 exec_lo, exec_lo, s24
	s_orn2_b32 s13, vcc_lo, exec_lo
.LBB6_5964:                             ;   in Loop: Header=BB6_5827 Depth=1
	s_or_b32 exec_lo, exec_lo, s23
	s_and_saveexec_b32 s23, s13
; %bb.5965:                             ;   in Loop: Header=BB6_5827 Depth=1
	v_mad_i64_i32 v[8:9], null, v2, v118, 0
; %bb.5966:                             ;   in Loop: Header=BB6_5827 Depth=1
	s_or_b32 exec_lo, exec_lo, s23
	v_add_co_u32 v2, vcc_lo, v66, v8
	v_and_b32_e32 v10, 0x2000, v117
	v_add_co_ci_u32_e64 v3, null, v67, v9, vcc_lo
	s_mov_b32 s13, exec_lo
	ds_write_b64 v0, v[2:3] offset:784
	v_cmpx_ne_u32_e32 0, v10
	s_cbranch_execz .LBB6_5968
; %bb.5967:                             ;   in Loop: Header=BB6_5827 Depth=1
	ds_read_b64 v[2:3], v0 offset:872
	s_waitcnt lgkmcnt(0)
	v_add_co_u32 v2, vcc_lo, v2, 1
	v_add_co_ci_u32_e64 v3, null, 0, v3, vcc_lo
	ds_write_b64 v0, v[2:3] offset:872
.LBB6_5968:                             ;   in Loop: Header=BB6_5827 Depth=1
	s_or_b32 exec_lo, exec_lo, s13
	v_mov_b32_e32 v8, v16
	v_mov_b32_e32 v9, v17
.LBB6_5969:                             ;   in Loop: Header=BB6_5827 Depth=1
	s_or_b32 exec_lo, exec_lo, s22
	s_and_saveexec_b32 s13, s6
	s_cbranch_execz .LBB6_5988
; %bb.5970:                             ;   in Loop: Header=BB6_5827 Depth=1
	s_and_saveexec_b32 s22, s19
	s_xor_b32 s22, exec_lo, s22
	s_cbranch_execz .LBB6_5985
; %bb.5971:                             ;   in Loop: Header=BB6_5827 Depth=1
	s_and_saveexec_b32 s23, s10
	s_cbranch_execz .LBB6_5984
; %bb.5972:                             ;   in Loop: Header=BB6_5827 Depth=1
	s_mov_b32 s25, exec_lo
	s_mov_b32 s24, exec_lo
	v_mbcnt_lo_u32_b32 v2, s25, 0
	s_waitcnt vmcnt(0) lgkmcnt(0)
	s_waitcnt_vscnt null, 0x0
	buffer_gl1_inv
	buffer_gl0_inv
	v_cmpx_eq_u32_e32 0, v2
	s_cbranch_execz .LBB6_5974
; %bb.5973:                             ;   in Loop: Header=BB6_5827 Depth=1
	s_bcnt1_i32_b32 s25, s25
	v_mov_b32_e32 v10, s25
	ds_add_u64 v0, v[10:11]
	s_trap 2
.LBB6_5974:                             ;   in Loop: Header=BB6_5827 Depth=1
	s_or_b32 exec_lo, exec_lo, s24
	s_trap 2
	ds_read_b64 v[2:3], v0
	s_waitcnt lgkmcnt(0)
	buffer_gl0_inv
	v_add_co_u32 v70, vcc_lo, v70, v23
	v_add_co_ci_u32_e64 v71, null, 0, v71, vcc_lo
	s_mov_b32 s24, exec_lo
	v_cmpx_lt_u64_e64 v[2:3], v[70:71]
	s_cbranch_execz .LBB6_5983
; %bb.5975:                             ;   in Loop: Header=BB6_5827 Depth=1
	s_mov_b32 s25, 0
	s_mov_b32 s28, 0
                                        ; implicit-def: $sgpr26
                                        ; implicit-def: $sgpr27
	s_inst_prefetch 0x1
	s_branch .LBB6_5977
	.p2align	6
.LBB6_5976:                             ;   in Loop: Header=BB6_5977 Depth=2
	s_or_b32 exec_lo, exec_lo, s40
	s_and_b32 s29, exec_lo, s41
	s_or_b32 s25, s29, s25
	s_andn2_b32 s26, s26, exec_lo
	s_and_b32 s29, s27, exec_lo
	s_or_b32 s26, s26, s29
	s_andn2_b32 exec_lo, exec_lo, s25
	s_cbranch_execz .LBB6_5981
.LBB6_5977:                             ;   Parent Loop BB6_5827 Depth=1
                                        ; =>  This Inner Loop Header: Depth=2
	s_add_i32 s28, s28, 1
	s_cmpk_lg_i32 s28, 0x2710
	s_cselect_b32 s29, -1, 0
	s_and_b32 vcc_lo, exec_lo, s29
	s_cbranch_vccz .LBB6_5979
; %bb.5978:                             ;   in Loop: Header=BB6_5977 Depth=2
	s_mov_b32 s41, -1
	s_or_b32 s27, s27, exec_lo
	s_and_saveexec_b32 s40, s29
	s_cbranch_execz .LBB6_5976
	s_branch .LBB6_5980
	.p2align	6
.LBB6_5979:                             ;   in Loop: Header=BB6_5977 Depth=2
	s_trap 2
	ds_read_b64 v[2:3], v0
	s_andn2_b32 s29, s29, exec_lo
	s_mov_b32 s28, 0
	s_waitcnt lgkmcnt(0)
	flat_load_dword v2, v[2:3] glc dlc
	s_waitcnt vmcnt(0) lgkmcnt(0)
	buffer_gl1_inv
	buffer_gl0_inv
	v_cmp_eq_u32_e32 vcc_lo, 0, v2
	s_and_b32 s40, vcc_lo, exec_lo
	s_or_b32 s29, s29, s40
	s_mov_b32 s41, -1
	s_or_b32 s27, s27, exec_lo
	s_and_saveexec_b32 s40, s29
	s_cbranch_execz .LBB6_5976
.LBB6_5980:                             ;   in Loop: Header=BB6_5977 Depth=2
	s_sleep 1
	s_trap 2
	ds_read_b64 v[2:3], v0
	s_waitcnt lgkmcnt(0)
	buffer_gl0_inv
	s_andn2_b32 s27, s27, exec_lo
	v_cmp_ge_u64_e32 vcc_lo, v[2:3], v[70:71]
	s_orn2_b32 s41, vcc_lo, exec_lo
	s_branch .LBB6_5976
.LBB6_5981:                             ;   in Loop: Header=BB6_5827 Depth=1
	s_inst_prefetch 0x2
	s_or_b32 exec_lo, exec_lo, s25
	s_and_saveexec_b32 s25, s26
	s_xor_b32 s25, exec_lo, s25
	s_cbranch_execz .LBB6_5983
; %bb.5982:                             ;   in Loop: Header=BB6_5827 Depth=1
	ds_write_b32 v0, v33
	s_trap 2
.LBB6_5983:                             ;   in Loop: Header=BB6_5827 Depth=1
	s_or_b32 exec_lo, exec_lo, s24
	;;#ASMSTART
	s_wakeup
	;;#ASMEND
.LBB6_5984:                             ;   in Loop: Header=BB6_5827 Depth=1
	s_or_b32 exec_lo, exec_lo, s23
.LBB6_5985:                             ;   in Loop: Header=BB6_5827 Depth=1
	s_andn2_saveexec_b32 s22, s22
	s_cbranch_execz .LBB6_5987
; %bb.5986:                             ;   in Loop: Header=BB6_5827 Depth=1
	s_waitcnt vmcnt(0) lgkmcnt(0)
	s_waitcnt_vscnt null, 0x0
	buffer_gl1_inv
	buffer_gl0_inv
	s_barrier
.LBB6_5987:                             ;   in Loop: Header=BB6_5827 Depth=1
	s_or_b32 exec_lo, exec_lo, s22
.LBB6_5988:                             ;   in Loop: Header=BB6_5827 Depth=1
	s_or_b32 exec_lo, exec_lo, s13
	s_trap 2
	ds_read_b32 v2, v0
	v_cmp_lt_i32_e32 vcc_lo, 0, v14
	s_waitcnt lgkmcnt(0)
	v_readfirstlane_b32 s13, v2
	v_and_b32_e32 v2, 16, v117
	s_cmp_eq_u32 s13, 0
	v_cmp_ne_u32_e64 s13, 0, v2
	s_cselect_b32 s22, -1, 0
	s_and_b32 s22, vcc_lo, s22
	s_and_b32 s22, s13, s22
	s_and_saveexec_b32 s13, s22
	s_cbranch_execz .LBB6_5990
; %bb.5989:                             ;   in Loop: Header=BB6_5827 Depth=1
	s_waitcnt vmcnt(0)
	s_waitcnt_vscnt null, 0x0
	buffer_gl1_inv
	buffer_gl0_inv
.LBB6_5990:                             ;   in Loop: Header=BB6_5827 Depth=1
	s_or_b32 exec_lo, exec_lo, s13
	s_mov_b32 s13, exec_lo
	v_cmpx_ne_u32_e32 0, v2
	s_cbranch_execz .LBB6_5825
; %bb.5991:                             ;   in Loop: Header=BB6_5827 Depth=1
	s_and_saveexec_b32 s22, s7
	s_cbranch_execz .LBB6_5824
; %bb.5992:                             ;   in Loop: Header=BB6_5827 Depth=1
	s_waitcnt vmcnt(0)
	s_waitcnt_vscnt null, 0x0
	flat_store_dword v[82:83], v33
	s_branch .LBB6_5824
.LBB6_5993:
	s_or_b32 exec_lo, exec_lo, s16
.LBB6_5994:
	s_or_b32 exec_lo, exec_lo, s18
.LBB6_5995:
	s_or_b32 exec_lo, exec_lo, s17
	v_and_b32_e32 v0, 0x800, v117
	s_mov_b32 s5, exec_lo
	v_cmpx_eq_u32_e32 0, v0
	s_cbranch_execz .LBB6_6028
; %bb.5996:
	v_and_b32_e32 v0, 48, v117
	s_mov_b32 s4, exec_lo
	v_cmpx_ne_u32_e32 0, v0
	s_cbranch_execz .LBB6_5998
; %bb.5997:
	s_waitcnt vmcnt(0) lgkmcnt(0)
	flat_store_dwordx2 v[54:55], v[8:9] offset:104
.LBB6_5998:
	s_or_b32 exec_lo, exec_lo, s4
	v_and_b32_e32 v0, 0x88, v117
	s_mov_b32 s6, exec_lo
	v_cmpx_eq_u32_e32 0x88, v0
	s_cbranch_execz .LBB6_6008
; %bb.5999:
	s_waitcnt vmcnt(0) lgkmcnt(0)
	v_add_nc_u32_e32 v0, -1, v8
	s_mov_b32 s7, 0
	v_and_b32_e32 v0, 7, v0
	v_mad_u64_u32 v[4:5], null, v0, 24, v[6:7]
	v_and_b32_e32 v0, 64, v117
	v_cmp_eq_u32_e64 s4, 0, v0
	flat_load_dwordx2 v[2:3], v[4:5] offset:8 glc dlc
	s_waitcnt vmcnt(0) lgkmcnt(0)
	v_cmp_ne_u64_e32 vcc_lo, -1, v[2:3]
	s_and_b32 s4, vcc_lo, s4
	s_and_b32 exec_lo, exec_lo, s4
	s_cbranch_execz .LBB6_6008
; %bb.6000:
	s_mov_b32 s11, 0
                                        ; implicit-def: $sgpr4
                                        ; implicit-def: $sgpr10
	s_inst_prefetch 0x1
	s_branch .LBB6_6003
	.p2align	6
.LBB6_6001:                             ;   in Loop: Header=BB6_6003 Depth=1
	flat_load_dwordx2 v[2:3], v[4:5] offset:8 glc dlc
	s_waitcnt vmcnt(0)
	s_andn2_b32 s10, s10, exec_lo
	s_waitcnt lgkmcnt(0)
	v_cmp_eq_u64_e32 vcc_lo, -1, v[2:3]
	s_orn2_b32 s13, vcc_lo, exec_lo
.LBB6_6002:                             ;   in Loop: Header=BB6_6003 Depth=1
	s_or_b32 exec_lo, exec_lo, s14
	s_and_b32 s12, exec_lo, s13
	s_or_b32 s7, s12, s7
	s_andn2_b32 s4, s4, exec_lo
	s_and_b32 s12, s10, exec_lo
	s_or_b32 s4, s4, s12
	s_andn2_b32 exec_lo, exec_lo, s7
	s_cbranch_execz .LBB6_6006
.LBB6_6003:                             ; =>This Inner Loop Header: Depth=1
	s_cmpk_lt_i32 s11, 0x270f
	s_cselect_b32 s12, -1, 0
	s_and_b32 vcc_lo, exec_lo, s12
	s_cbranch_vccnz .LBB6_6005
; %bb.6004:                             ;   in Loop: Header=BB6_6003 Depth=1
	s_trap 2
	ds_read_b64 v[2:3], v0
	s_andn2_b32 s12, s12, exec_lo
	s_mov_b32 s11, 0
	s_waitcnt lgkmcnt(0)
	s_waitcnt_vscnt null, 0x0
	flat_load_dword v0, v[2:3] glc dlc
	s_waitcnt vmcnt(0) lgkmcnt(0)
	buffer_gl1_inv
	buffer_gl0_inv
	v_cmp_eq_u32_e32 vcc_lo, 0, v0
	s_and_b32 s13, vcc_lo, exec_lo
	s_or_b32 s12, s12, s13
	s_mov_b32 s13, -1
	s_or_b32 s10, s10, exec_lo
	s_and_saveexec_b32 s14, s12
	s_cbranch_execz .LBB6_6002
	s_branch .LBB6_6001
	.p2align	6
.LBB6_6005:                             ;   in Loop: Header=BB6_6003 Depth=1
	s_add_i32 s11, s11, 1
                                        ; implicit-def: $vgpr0
	s_mov_b32 s13, -1
	s_or_b32 s10, s10, exec_lo
	s_and_saveexec_b32 s14, s12
	s_cbranch_execz .LBB6_6002
	s_branch .LBB6_6001
.LBB6_6006:
	s_inst_prefetch 0x2
	s_or_b32 exec_lo, exec_lo, s7
	s_and_saveexec_b32 s7, s4
	s_xor_b32 s7, exec_lo, s7
	s_cbranch_execz .LBB6_6008
; %bb.6007:
	s_waitcnt_vscnt null, 0x0
	ds_write_b32 v0, v0
	s_trap 2
.LBB6_6008:
	s_or_b32 exec_lo, exec_lo, s6
	v_and_b32_e32 v0, 0x2000, v117
	s_mov_b32 s4, exec_lo
	v_cmpx_ne_u32_e32 0, v0
	s_cbranch_execz .LBB6_6010
; %bb.6009:
	s_trap 2
	ds_read_b64 v[2:3], v0
	s_clause 0x1
	buffer_load_dword v4, off, s[0:3], s33 offset:192
	buffer_load_dword v5, off, s[0:3], s33 offset:196
	s_waitcnt vmcnt(0) lgkmcnt(0)
	flat_store_dwordx2 v[4:5], v[2:3] offset:16
.LBB6_6010:
	s_or_b32 exec_lo, exec_lo, s4
	v_cmp_ne_u32_e32 vcc_lo, 32, v1
	s_and_b32 exec_lo, exec_lo, vcc_lo
	s_cbranch_execz .LBB6_6028
; %bb.6011:
	s_waitcnt vmcnt(0)
	v_cmp_ne_u32_sdwa s4, v1, v58 src0_sel:DWORD src1_sel:WORD_0
	s_and_saveexec_b32 s6, s4
	s_xor_b32 s4, exec_lo, s6
	s_cbranch_execz .LBB6_6026
; %bb.6012:
	v_and_b32_e32 v0, 31, v31
	s_mov_b32 s6, exec_lo
	v_cmpx_eq_u32_e32 0, v0
	s_cbranch_execz .LBB6_6025
; %bb.6013:
	s_mov_b32 s10, exec_lo
	s_mov_b32 s7, exec_lo
	v_mbcnt_lo_u32_b32 v0, s10, 0
	s_waitcnt lgkmcnt(0)
	s_waitcnt_vscnt null, 0x0
	buffer_gl1_inv
	buffer_gl0_inv
	v_cmpx_eq_u32_e32 0, v0
	s_cbranch_execz .LBB6_6015
; %bb.6014:
	s_bcnt1_i32_b32 s10, s10
	v_mov_b32_e32 v3, 0
	v_mov_b32_e32 v2, s10
	ds_add_u64 v0, v[2:3]
	s_trap 2
.LBB6_6015:
	s_or_b32 exec_lo, exec_lo, s7
	s_trap 2
	ds_read_b64 v[2:3], v0
	s_waitcnt lgkmcnt(0)
	buffer_gl0_inv
	v_lshrrev_b32_e32 v0, 5, v1
	s_mov_b32 s7, exec_lo
	v_add_co_u32 v0, vcc_lo, v70, v0
	v_add_co_ci_u32_e64 v1, null, 0, v71, vcc_lo
	v_cmpx_lt_u64_e64 v[2:3], v[0:1]
	s_cbranch_execz .LBB6_6024
; %bb.6016:
	s_mov_b32 s10, 0
	s_mov_b32 s13, 0
                                        ; implicit-def: $sgpr11
                                        ; implicit-def: $sgpr12
	s_inst_prefetch 0x1
	s_branch .LBB6_6018
	.p2align	6
.LBB6_6017:                             ;   in Loop: Header=BB6_6018 Depth=1
	s_or_b32 exec_lo, exec_lo, s16
	s_and_b32 s14, exec_lo, s17
	s_or_b32 s10, s14, s10
	s_andn2_b32 s11, s11, exec_lo
	s_and_b32 s14, s12, exec_lo
	s_or_b32 s11, s11, s14
	s_andn2_b32 exec_lo, exec_lo, s10
	s_cbranch_execz .LBB6_6022
.LBB6_6018:                             ; =>This Inner Loop Header: Depth=1
	s_add_i32 s13, s13, 1
	s_cmpk_lg_i32 s13, 0x2710
	s_cselect_b32 s14, -1, 0
	s_and_b32 vcc_lo, exec_lo, s14
	s_cbranch_vccz .LBB6_6020
; %bb.6019:                             ;   in Loop: Header=BB6_6018 Depth=1
	s_mov_b32 s17, -1
	s_or_b32 s12, s12, exec_lo
	s_and_saveexec_b32 s16, s14
	s_cbranch_execz .LBB6_6017
	s_branch .LBB6_6021
.LBB6_6020:                             ;   in Loop: Header=BB6_6018 Depth=1
	s_trap 2
	ds_read_b64 v[2:3], v0
	s_andn2_b32 s14, s14, exec_lo
	s_mov_b32 s13, 0
	s_waitcnt lgkmcnt(0)
	flat_load_dword v2, v[2:3] glc dlc
	s_waitcnt vmcnt(0) lgkmcnt(0)
	buffer_gl1_inv
	buffer_gl0_inv
	v_cmp_eq_u32_e32 vcc_lo, 0, v2
	s_and_b32 s16, vcc_lo, exec_lo
	s_or_b32 s14, s14, s16
	s_mov_b32 s17, -1
	s_or_b32 s12, s12, exec_lo
	s_and_saveexec_b32 s16, s14
	s_cbranch_execz .LBB6_6017
.LBB6_6021:                             ;   in Loop: Header=BB6_6018 Depth=1
	s_sleep 1
	s_trap 2
	ds_read_b64 v[2:3], v0
	s_waitcnt lgkmcnt(0)
	buffer_gl0_inv
	s_andn2_b32 s12, s12, exec_lo
	v_cmp_ge_u64_e32 vcc_lo, v[2:3], v[0:1]
	s_orn2_b32 s17, vcc_lo, exec_lo
	s_branch .LBB6_6017
.LBB6_6022:
	s_inst_prefetch 0x2
	s_or_b32 exec_lo, exec_lo, s10
	s_and_saveexec_b32 s10, s11
	s_xor_b32 s10, exec_lo, s10
	s_cbranch_execz .LBB6_6024
; %bb.6023:
	v_mov_b32_e32 v0, 1
	ds_write_b32 v0, v0
	s_trap 2
.LBB6_6024:
	s_or_b32 exec_lo, exec_lo, s7
	;;#ASMSTART
	s_wakeup
	;;#ASMEND
.LBB6_6025:
	s_or_b32 exec_lo, exec_lo, s6
.LBB6_6026:
	s_andn2_saveexec_b32 s4, s4
	s_cbranch_execz .LBB6_6028
; %bb.6027:
	s_waitcnt lgkmcnt(0)
	s_waitcnt_vscnt null, 0x0
	buffer_gl1_inv
	buffer_gl0_inv
	s_barrier
.LBB6_6028:
	s_or_b32 exec_lo, exec_lo, s5
.LBB6_6029:
	s_andn2_saveexec_b32 s25, s15
	s_cbranch_execz .LBB6_6031
; %bb.6030:
	s_getpc_b64 s[4:5]
	s_add_u32 s4, s4, __PRETTY_FUNCTION__._ZN10PrimitivesI11rccl_float87FuncSumIS0_E12FanSymmetricILi1EELi0E11ProtoSimpleILi1ELi1ELi0ELi4ELi0ELi0EELi0ELb0ELi0ELi0ELi0EEC2EiiPKiS9_PKvPvmhhhP15ncclDevWorkCollP14ncclDevWorkP2pii@rel32@lo+4
	s_addc_u32 s5, s5, __PRETTY_FUNCTION__._ZN10PrimitivesI11rccl_float87FuncSumIS0_E12FanSymmetricILi1EELi0E11ProtoSimpleILi1ELi1ELi0ELi4ELi0ELi0EELi0ELb0ELi0ELi0ELi0EEC2EiiPKiS9_PKvPvmhhhP15ncclDevWorkCollP14ncclDevWorkP2pii@rel32@hi+12
	v_mov_b32_e32 v0, s4
	v_mov_b32_e32 v1, s5
	s_getpc_b64 s[6:7]
	s_add_u32 s6, s6, __assert_fail@rel32@lo+4
	s_addc_u32 s7, s7, __assert_fail@rel32@hi+12
	s_swappc_b64 s[30:31], s[6:7]
	; divergent unreachable
.LBB6_6031:
	s_or_b32 exec_lo, exec_lo, s25
	s_clause 0x2e
	buffer_load_dword v126, off, s[0:3], s33
	buffer_load_dword v125, off, s[0:3], s33 offset:4
	buffer_load_dword v124, off, s[0:3], s33 offset:8
	;; [unrolled: 1-line block ×46, first 2 shown]
	v_readlane_b32 s30, v127, 0
	v_readlane_b32 s31, v127, 1
	s_mov_b32 s32, s33
	s_or_saveexec_b32 s4, -1
	buffer_load_dword v127, off, s[0:3], s33 offset:212 ; 4-byte Folded Reload
	s_mov_b32 exec_lo, s4
	s_mov_b32 s33, s47
	s_waitcnt vmcnt(0) lgkmcnt(0)
	s_setpc_b64 s[30:31]
.Lfunc_end6:
	.size	_ZN12_GLOBAL__N_17runRingI11rccl_float87FuncSumIS1_E11ProtoSimpleILi1ELi1ELi0ELi4ELi0ELi0EELi0ELi4ELi0EEEviiP15ncclDevWorkColl, .Lfunc_end6-_ZN12_GLOBAL__N_17runRingI11rccl_float87FuncSumIS1_E11ProtoSimpleILi1ELi1ELi0ELi4ELi0ELi0EELi0ELi4ELi0EEEviiP15ncclDevWorkColl
                                        ; -- End function
	.set .L_ZN12_GLOBAL__N_17runRingI11rccl_float87FuncSumIS1_E11ProtoSimpleILi1ELi1ELi0ELi4ELi0ELi0EELi0ELi4ELi0EEEviiP15ncclDevWorkColl.num_vgpr, max(128, .L__assert_fail.num_vgpr)
	.set .L_ZN12_GLOBAL__N_17runRingI11rccl_float87FuncSumIS1_E11ProtoSimpleILi1ELi1ELi0ELi4ELi0ELi0EELi0ELi4ELi0EEEviiP15ncclDevWorkColl.num_agpr, max(0, .L__assert_fail.num_agpr)
	.set .L_ZN12_GLOBAL__N_17runRingI11rccl_float87FuncSumIS1_E11ProtoSimpleILi1ELi1ELi0ELi4ELi0ELi0EELi0ELi4ELi0EEEviiP15ncclDevWorkColl.numbered_sgpr, max(48, .L__assert_fail.numbered_sgpr)
	.set .L_ZN12_GLOBAL__N_17runRingI11rccl_float87FuncSumIS1_E11ProtoSimpleILi1ELi1ELi0ELi4ELi0ELi0EELi0ELi4ELi0EEEviiP15ncclDevWorkColl.num_named_barrier, max(0, .L__assert_fail.num_named_barrier)
	.set .L_ZN12_GLOBAL__N_17runRingI11rccl_float87FuncSumIS1_E11ProtoSimpleILi1ELi1ELi0ELi4ELi0ELi0EELi0ELi4ELi0EEEviiP15ncclDevWorkColl.private_seg_size, 224+max(.L__assert_fail.private_seg_size)
	.set .L_ZN12_GLOBAL__N_17runRingI11rccl_float87FuncSumIS1_E11ProtoSimpleILi1ELi1ELi0ELi4ELi0ELi0EELi0ELi4ELi0EEEviiP15ncclDevWorkColl.uses_vcc, or(1, .L__assert_fail.uses_vcc)
	.set .L_ZN12_GLOBAL__N_17runRingI11rccl_float87FuncSumIS1_E11ProtoSimpleILi1ELi1ELi0ELi4ELi0ELi0EELi0ELi4ELi0EEEviiP15ncclDevWorkColl.uses_flat_scratch, or(1, .L__assert_fail.uses_flat_scratch)
	.set .L_ZN12_GLOBAL__N_17runRingI11rccl_float87FuncSumIS1_E11ProtoSimpleILi1ELi1ELi0ELi4ELi0ELi0EELi0ELi4ELi0EEEviiP15ncclDevWorkColl.has_dyn_sized_stack, or(0, .L__assert_fail.has_dyn_sized_stack)
	.set .L_ZN12_GLOBAL__N_17runRingI11rccl_float87FuncSumIS1_E11ProtoSimpleILi1ELi1ELi0ELi4ELi0ELi0EELi0ELi4ELi0EEEviiP15ncclDevWorkColl.has_recursion, or(1, .L__assert_fail.has_recursion)
	.set .L_ZN12_GLOBAL__N_17runRingI11rccl_float87FuncSumIS1_E11ProtoSimpleILi1ELi1ELi0ELi4ELi0ELi0EELi0ELi4ELi0EEEviiP15ncclDevWorkColl.has_indirect_call, or(0, .L__assert_fail.has_indirect_call)
	.section	.AMDGPU.csdata,"",@progbits
; Function info:
; codeLenInByte = 215832
; TotalNumSgprs: 50
; NumVgprs: 128
; ScratchSize: 288
; MemoryBound: 1
	.text
	.p2align	2                               ; -- Begin function _Z47ncclDevFunc_Reduce_RING_SIMPLE_Sum_f8e4m3_0_0_4v
	.type	_Z47ncclDevFunc_Reduce_RING_SIMPLE_Sum_f8e4m3_0_0_4v,@function
_Z47ncclDevFunc_Reduce_RING_SIMPLE_Sum_f8e4m3_0_0_4v: ; @_Z47ncclDevFunc_Reduce_RING_SIMPLE_Sum_f8e4m3_0_0_4v
; %bb.0:
	s_waitcnt vmcnt(0) expcnt(0) lgkmcnt(0)
	s_mov_b32 s61, s33
	s_mov_b32 s33, s32
	s_or_saveexec_b32 s4, -1
	buffer_store_dword v43, off, s[0:3], s33 offset:16 ; 4-byte Folded Spill
	s_mov_b32 exec_lo, s4
	s_addk_i32 s32, 0x400
	buffer_store_dword v40, off, s[0:3], s33 offset:12 ; 4-byte Folded Spill
	buffer_store_dword v41, off, s[0:3], s33 offset:8 ; 4-byte Folded Spill
	;; [unrolled: 1-line block ×3, first 2 shown]
	buffer_store_dword v127, off, s[0:3], s33 ; 4-byte Folded Spill
	v_writelane_b32 v43, s34, 0
	v_writelane_b32 v43, s35, 1
	;; [unrolled: 1-line block ×4, first 2 shown]
	s_trap 2
	ds_read_b32 v0, v0
	v_mov_b32_e32 v40, v31
	s_waitcnt lgkmcnt(0)
	v_cmp_gt_i32_e32 vcc_lo, 1, v0
	s_cbranch_vccnz .LBB7_8
; %bb.1:
	v_and_b32_e32 v41, 0x3ff, v40
	v_mov_b32_e32 v42, 5
	s_mov_b32 s58, s12
	s_mov_b64 s[56:57], s[8:9]
	s_mov_b32 s59, 0
	s_inst_prefetch 0x1
	s_branch .LBB7_3
	.p2align	6
.LBB7_2:                                ;   in Loop: Header=BB7_3 Depth=1
	s_or_b32 exec_lo, exec_lo, s60
	s_trap 2
	ds_read_b32 v0, v0
	s_add_i32 s59, s59, 1
	s_waitcnt lgkmcnt(0)
	v_cmp_lt_i32_e32 vcc_lo, s59, v0
	s_cbranch_vccz .LBB7_8
.LBB7_3:                                ; =>This Inner Loop Header: Depth=1
	s_trap 2
	ds_read_b32 v0, v0
	s_cmp_eq_u32 s59, 0
	s_cbranch_scc1 .LBB7_6
; %bb.4:                                ;   in Loop: Header=BB7_3 Depth=1
	s_trap 2
	s_waitcnt lgkmcnt(0)
	ds_read_b32 v1, v0
	s_waitcnt lgkmcnt(0)
	v_xor_b32_e32 v1, v1, v0
	v_and_b32_e32 v1, 0xff0000, v1
	v_cmp_eq_u32_e32 vcc_lo, 0, v1
	s_cbranch_vccnz .LBB7_6
; %bb.5:                                ;   in Loop: Header=BB7_3 Depth=1
	s_waitcnt_vscnt null, 0x0
	s_barrier
	buffer_gl0_inv
	ds_read_b32 v0, v0
.LBB7_6:                                ;   in Loop: Header=BB7_3 Depth=1
	s_waitcnt lgkmcnt(0)
	v_lshlrev_b32_sdwa v1, v42, v0 dst_sel:DWORD dst_unused:UNUSED_PAD src0_sel:DWORD src1_sel:BYTE_2
	s_mov_b32 s60, exec_lo
	v_cmpx_lt_u32_e64 v41, v1
	s_cbranch_execz .LBB7_2
; %bb.7:                                ;   in Loop: Header=BB7_3 Depth=1
	s_mov_b64 s[4:5], src_shared_base
	v_mov_b32_e32 v31, v40
	v_mov_b32_e32 v0, v41
	;; [unrolled: 1-line block ×3, first 2 shown]
	s_getpc_b64 s[6:7]
	s_add_u32 s6, s6, _ZN12_GLOBAL__N_17runRingI11rccl_float87FuncSumIS1_E11ProtoSimpleILi1ELi1ELi0ELi4ELi0ELi0EELi0ELi4ELi0EEEviiP15ncclDevWorkColl@rel32@lo+4
	s_addc_u32 s7, s7, _ZN12_GLOBAL__N_17runRingI11rccl_float87FuncSumIS1_E11ProtoSimpleILi1ELi1ELi0ELi4ELi0ELi0EELi0ELi4ELi0EEEviiP15ncclDevWorkColl@rel32@hi+12
	s_mov_b64 s[8:9], s[56:57]
	s_mov_b32 s12, s58
	s_swappc_b64 s[30:31], s[6:7]
	s_branch .LBB7_2
.LBB7_8:
	s_inst_prefetch 0x2
	s_clause 0x3
	buffer_load_dword v127, off, s[0:3], s33
	buffer_load_dword v42, off, s[0:3], s33 offset:4
	buffer_load_dword v41, off, s[0:3], s33 offset:8
	;; [unrolled: 1-line block ×3, first 2 shown]
	v_readlane_b32 s30, v43, 2
	v_readlane_b32 s31, v43, 3
	;; [unrolled: 1-line block ×4, first 2 shown]
	s_mov_b32 s32, s33
	s_or_saveexec_b32 s4, -1
	buffer_load_dword v43, off, s[0:3], s33 offset:16 ; 4-byte Folded Reload
	s_mov_b32 exec_lo, s4
	s_mov_b32 s33, s61
	s_waitcnt vmcnt(0)
	s_setpc_b64 s[30:31]
.Lfunc_end7:
	.size	_Z47ncclDevFunc_Reduce_RING_SIMPLE_Sum_f8e4m3_0_0_4v, .Lfunc_end7-_Z47ncclDevFunc_Reduce_RING_SIMPLE_Sum_f8e4m3_0_0_4v
                                        ; -- End function
	.set .L_Z47ncclDevFunc_Reduce_RING_SIMPLE_Sum_f8e4m3_0_0_4v.num_vgpr, max(128, .L_ZN12_GLOBAL__N_17runRingI11rccl_float87FuncSumIS1_E11ProtoSimpleILi1ELi1ELi0ELi4ELi0ELi0EELi0ELi4ELi0EEEviiP15ncclDevWorkColl.num_vgpr)
	.set .L_Z47ncclDevFunc_Reduce_RING_SIMPLE_Sum_f8e4m3_0_0_4v.num_agpr, max(0, .L_ZN12_GLOBAL__N_17runRingI11rccl_float87FuncSumIS1_E11ProtoSimpleILi1ELi1ELi0ELi4ELi0ELi0EELi0ELi4ELi0EEEviiP15ncclDevWorkColl.num_agpr)
	.set .L_Z47ncclDevFunc_Reduce_RING_SIMPLE_Sum_f8e4m3_0_0_4v.numbered_sgpr, max(62, .L_ZN12_GLOBAL__N_17runRingI11rccl_float87FuncSumIS1_E11ProtoSimpleILi1ELi1ELi0ELi4ELi0ELi0EELi0ELi4ELi0EEEviiP15ncclDevWorkColl.numbered_sgpr)
	.set .L_Z47ncclDevFunc_Reduce_RING_SIMPLE_Sum_f8e4m3_0_0_4v.num_named_barrier, max(0, .L_ZN12_GLOBAL__N_17runRingI11rccl_float87FuncSumIS1_E11ProtoSimpleILi1ELi1ELi0ELi4ELi0ELi0EELi0ELi4ELi0EEEviiP15ncclDevWorkColl.num_named_barrier)
	.set .L_Z47ncclDevFunc_Reduce_RING_SIMPLE_Sum_f8e4m3_0_0_4v.private_seg_size, 32+max(.L_ZN12_GLOBAL__N_17runRingI11rccl_float87FuncSumIS1_E11ProtoSimpleILi1ELi1ELi0ELi4ELi0ELi0EELi0ELi4ELi0EEEviiP15ncclDevWorkColl.private_seg_size)
	.set .L_Z47ncclDevFunc_Reduce_RING_SIMPLE_Sum_f8e4m3_0_0_4v.uses_vcc, or(1, .L_ZN12_GLOBAL__N_17runRingI11rccl_float87FuncSumIS1_E11ProtoSimpleILi1ELi1ELi0ELi4ELi0ELi0EELi0ELi4ELi0EEEviiP15ncclDevWorkColl.uses_vcc)
	.set .L_Z47ncclDevFunc_Reduce_RING_SIMPLE_Sum_f8e4m3_0_0_4v.uses_flat_scratch, or(0, .L_ZN12_GLOBAL__N_17runRingI11rccl_float87FuncSumIS1_E11ProtoSimpleILi1ELi1ELi0ELi4ELi0ELi0EELi0ELi4ELi0EEEviiP15ncclDevWorkColl.uses_flat_scratch)
	.set .L_Z47ncclDevFunc_Reduce_RING_SIMPLE_Sum_f8e4m3_0_0_4v.has_dyn_sized_stack, or(0, .L_ZN12_GLOBAL__N_17runRingI11rccl_float87FuncSumIS1_E11ProtoSimpleILi1ELi1ELi0ELi4ELi0ELi0EELi0ELi4ELi0EEEviiP15ncclDevWorkColl.has_dyn_sized_stack)
	.set .L_Z47ncclDevFunc_Reduce_RING_SIMPLE_Sum_f8e4m3_0_0_4v.has_recursion, or(1, .L_ZN12_GLOBAL__N_17runRingI11rccl_float87FuncSumIS1_E11ProtoSimpleILi1ELi1ELi0ELi4ELi0ELi0EELi0ELi4ELi0EEEviiP15ncclDevWorkColl.has_recursion)
	.set .L_Z47ncclDevFunc_Reduce_RING_SIMPLE_Sum_f8e4m3_0_0_4v.has_indirect_call, or(0, .L_ZN12_GLOBAL__N_17runRingI11rccl_float87FuncSumIS1_E11ProtoSimpleILi1ELi1ELi0ELi4ELi0ELi0EELi0ELi4ELi0EEEviiP15ncclDevWorkColl.has_indirect_call)
	.section	.AMDGPU.csdata,"",@progbits
; Function info:
; codeLenInByte = 492
; TotalNumSgprs: 64
; NumVgprs: 128
; ScratchSize: 320
; MemoryBound: 0
	.text
	.p2alignl 6, 3214868480
	.fill 48, 4, 3214868480
	.section	.AMDGPU.gpr_maximums,"",@progbits
	.set amdgpu.max_num_vgpr, 128
	.set amdgpu.max_num_agpr, 0
	.set amdgpu.max_num_sgpr, 62
	.text
	.type	__const.__assert_fail.fmt,@object ; @__const.__assert_fail.fmt
	.section	.rodata.str1.16,"aMS",@progbits,1
	.p2align	4, 0x0
__const.__assert_fail.fmt:
	.asciz	"%s:%u: %s: Device-side assertion `%s' failed.\n"
	.size	__const.__assert_fail.fmt, 47

	.type	.str.3,@object                  ; @.str.3
	.section	.rodata.str1.1,"aMS",@progbits,1
.str.3:
	.asciz	"2*(nrecv+nsend) <= nthreads"
	.size	.str.3, 28

	.type	.str.4,@object                  ; @.str.4
.str.4:
	.asciz	"/root/src/amdgpu-assembly/repos/ROCm__rccl/hipify/src/device/prims_simple.h"
	.size	.str.4, 76

	.type	__PRETTY_FUNCTION__._ZN10PrimitivesI11rccl_float87FuncSumIS0_E12FanSymmetricILi1EELi0E11ProtoSimpleILi1ELi1ELi0ELi1ELi0ELi0EELi0ELb0ELi0ELi0ELi0EEC2EiiPKiS9_PKvPvmhhhP15ncclDevWorkCollP14ncclDevWorkP2pii,@object ; @__PRETTY_FUNCTION__._ZN10PrimitivesI11rccl_float87FuncSumIS0_E12FanSymmetricILi1EELi0E11ProtoSimpleILi1ELi1ELi0ELi1ELi0ELi0EELi0ELb0ELi0ELi0ELi0EEC2EiiPKiS9_PKvPvmhhhP15ncclDevWorkCollP14ncclDevWorkP2pii
__PRETTY_FUNCTION__._ZN10PrimitivesI11rccl_float87FuncSumIS0_E12FanSymmetricILi1EELi0E11ProtoSimpleILi1ELi1ELi0ELi1ELi0ELi0EELi0ELb0ELi0ELi0ELi0EEC2EiiPKiS9_PKvPvmhhhP15ncclDevWorkCollP14ncclDevWorkP2pii:
	.asciz	"Primitives<rccl_float8, FuncSum<rccl_float8>, FanSymmetric<1>, 0, ProtoSimple<1, 1, 0, 1>, 0>::Primitives(int, int, const int *, const int *, const void *, void *, uint64_t, uint8_t, uint8_t, uint8_t, struct ncclDevWorkColl *, struct ncclDevWorkP2p *, int, int) [T = rccl_float8, RedOp = FuncSum<rccl_float8>, Fan = FanSymmetric<1>, Direct = 0, Proto = ProtoSimple<1, 1, 0, 1>, P2p = 0, isNetOffload = false, Metadata = 0, Pipeline = 0, useAcc = 0]"
	.size	__PRETTY_FUNCTION__._ZN10PrimitivesI11rccl_float87FuncSumIS0_E12FanSymmetricILi1EELi0E11ProtoSimpleILi1ELi1ELi0ELi1ELi0ELi0EELi0ELb0ELi0ELi0ELi0EEC2EiiPKiS9_PKvPvmhhhP15ncclDevWorkCollP14ncclDevWorkP2pii, 449

	.type	__PRETTY_FUNCTION__._ZN10PrimitivesI11rccl_float87FuncSumIS0_E12FanSymmetricILi1EELi0E11ProtoSimpleILi1ELi1ELi0ELi2ELi0ELi0EELi0ELb0ELi0ELi0ELi0EEC2EiiPKiS9_PKvPvmhhhP15ncclDevWorkCollP14ncclDevWorkP2pii,@object ; @__PRETTY_FUNCTION__._ZN10PrimitivesI11rccl_float87FuncSumIS0_E12FanSymmetricILi1EELi0E11ProtoSimpleILi1ELi1ELi0ELi2ELi0ELi0EELi0ELb0ELi0ELi0ELi0EEC2EiiPKiS9_PKvPvmhhhP15ncclDevWorkCollP14ncclDevWorkP2pii
__PRETTY_FUNCTION__._ZN10PrimitivesI11rccl_float87FuncSumIS0_E12FanSymmetricILi1EELi0E11ProtoSimpleILi1ELi1ELi0ELi2ELi0ELi0EELi0ELb0ELi0ELi0ELi0EEC2EiiPKiS9_PKvPvmhhhP15ncclDevWorkCollP14ncclDevWorkP2pii:
	.asciz	"Primitives<rccl_float8, FuncSum<rccl_float8>, FanSymmetric<1>, 0, ProtoSimple<1, 1, 0, 2>, 0>::Primitives(int, int, const int *, const int *, const void *, void *, uint64_t, uint8_t, uint8_t, uint8_t, struct ncclDevWorkColl *, struct ncclDevWorkP2p *, int, int) [T = rccl_float8, RedOp = FuncSum<rccl_float8>, Fan = FanSymmetric<1>, Direct = 0, Proto = ProtoSimple<1, 1, 0, 2>, P2p = 0, isNetOffload = false, Metadata = 0, Pipeline = 0, useAcc = 0]"
	.size	__PRETTY_FUNCTION__._ZN10PrimitivesI11rccl_float87FuncSumIS0_E12FanSymmetricILi1EELi0E11ProtoSimpleILi1ELi1ELi0ELi2ELi0ELi0EELi0ELb0ELi0ELi0ELi0EEC2EiiPKiS9_PKvPvmhhhP15ncclDevWorkCollP14ncclDevWorkP2pii, 449

	.type	__PRETTY_FUNCTION__._ZN10PrimitivesI11rccl_float87FuncSumIS0_E12FanSymmetricILi1EELi0E11ProtoSimpleILi1ELi1ELi0ELi4ELi0ELi0EELi0ELb0ELi0ELi0ELi0EEC2EiiPKiS9_PKvPvmhhhP15ncclDevWorkCollP14ncclDevWorkP2pii,@object ; @__PRETTY_FUNCTION__._ZN10PrimitivesI11rccl_float87FuncSumIS0_E12FanSymmetricILi1EELi0E11ProtoSimpleILi1ELi1ELi0ELi4ELi0ELi0EELi0ELb0ELi0ELi0ELi0EEC2EiiPKiS9_PKvPvmhhhP15ncclDevWorkCollP14ncclDevWorkP2pii
__PRETTY_FUNCTION__._ZN10PrimitivesI11rccl_float87FuncSumIS0_E12FanSymmetricILi1EELi0E11ProtoSimpleILi1ELi1ELi0ELi4ELi0ELi0EELi0ELb0ELi0ELi0ELi0EEC2EiiPKiS9_PKvPvmhhhP15ncclDevWorkCollP14ncclDevWorkP2pii:
	.asciz	"Primitives<rccl_float8, FuncSum<rccl_float8>, FanSymmetric<1>, 0, ProtoSimple<1, 1, 0, 4>, 0>::Primitives(int, int, const int *, const int *, const void *, void *, uint64_t, uint8_t, uint8_t, uint8_t, struct ncclDevWorkColl *, struct ncclDevWorkP2p *, int, int) [T = rccl_float8, RedOp = FuncSum<rccl_float8>, Fan = FanSymmetric<1>, Direct = 0, Proto = ProtoSimple<1, 1, 0, 4>, P2p = 0, isNetOffload = false, Metadata = 0, Pipeline = 0, useAcc = 0]"
	.size	__PRETTY_FUNCTION__._ZN10PrimitivesI11rccl_float87FuncSumIS0_E12FanSymmetricILi1EELi0E11ProtoSimpleILi1ELi1ELi0ELi4ELi0ELi0EELi0ELb0ELi0ELi0ELi0EEC2EiiPKiS9_PKvPvmhhhP15ncclDevWorkCollP14ncclDevWorkP2pii, 449

	.type	__hip_cuid_4fb9f152fb00d8f0,@object ; @__hip_cuid_4fb9f152fb00d8f0
	.section	.bss,"aw",@nobits
	.globl	__hip_cuid_4fb9f152fb00d8f0
__hip_cuid_4fb9f152fb00d8f0:
	.byte	0                               ; 0x0
	.size	__hip_cuid_4fb9f152fb00d8f0, 1

	.ident	"AMD clang version 22.0.0git (https://github.com/RadeonOpenCompute/llvm-project roc-7.2.4 26084 f58b06dce1f9c15707c5f808fd002e18c2accf7e)"
	.section	".note.GNU-stack","",@progbits
	.addrsig
	.addrsig_sym _Z47ncclDevFunc_Reduce_RING_SIMPLE_Sum_f8e4m3_0_0_1v
	.addrsig_sym _Z47ncclDevFunc_Reduce_RING_SIMPLE_Sum_f8e4m3_0_0_2v
	.addrsig_sym _Z47ncclDevFunc_Reduce_RING_SIMPLE_Sum_f8e4m3_0_0_4v
	.addrsig_sym ncclShmem
	.addrsig_sym __hip_cuid_4fb9f152fb00d8f0
	.amdgpu_metadata
---
amdhsa.kernels:  []
amdhsa.target:   amdgcn-amd-amdhsa--gfx1030
amdhsa.version:
  - 1
  - 2
...

	.end_amdgpu_metadata
